;; amdgpu-corpus repo=ROCm/rocBLAS kind=compiled arch=gfx1201 opt=O3
	.amdgcn_target "amdgcn-amd-amdhsa--gfx1201"
	.amdhsa_code_object_version 6
	.section	.text._ZL26rocblas_hemvn_kernel_upperILb1ELi64ELi4ELi33ELi32ELi16ElPK19rocblas_complex_numIfES3_PS1_EviT6_lT7_lT5_lS6_lS7_lS5_lT8_i,"axG",@progbits,_ZL26rocblas_hemvn_kernel_upperILb1ELi64ELi4ELi33ELi32ELi16ElPK19rocblas_complex_numIfES3_PS1_EviT6_lT7_lT5_lS6_lS7_lS5_lT8_i,comdat
	.globl	_ZL26rocblas_hemvn_kernel_upperILb1ELi64ELi4ELi33ELi32ELi16ElPK19rocblas_complex_numIfES3_PS1_EviT6_lT7_lT5_lS6_lS7_lS5_lT8_i ; -- Begin function _ZL26rocblas_hemvn_kernel_upperILb1ELi64ELi4ELi33ELi32ELi16ElPK19rocblas_complex_numIfES3_PS1_EviT6_lT7_lT5_lS6_lS7_lS5_lT8_i
	.p2align	8
	.type	_ZL26rocblas_hemvn_kernel_upperILb1ELi64ELi4ELi33ELi32ELi16ElPK19rocblas_complex_numIfES3_PS1_EviT6_lT7_lT5_lS6_lS7_lS5_lT8_i,@function
_ZL26rocblas_hemvn_kernel_upperILb1ELi64ELi4ELi33ELi32ELi16ElPK19rocblas_complex_numIfES3_PS1_EviT6_lT7_lT5_lS6_lS7_lS5_lT8_i: ; @_ZL26rocblas_hemvn_kernel_upperILb1ELi64ELi4ELi33ELi32ELi16ElPK19rocblas_complex_numIfES3_PS1_EviT6_lT7_lT5_lS6_lS7_lS5_lT8_i
; %bb.0:
	s_clause 0x1
	s_load_b64 s[2:3], s[0:1], 0x84
	s_load_b32 s33, s[0:1], 0x70
	s_lshr_b32 s34, ttmp7, 16
	s_wait_kmcnt 0x0
	s_lshr_b32 s4, s2, 16
	s_and_b32 s2, s2, 0xffff
	s_and_b32 s3, s3, 0xffff
	s_mul_i32 s2, s4, s2
	s_delay_alu instid0(SALU_CYCLE_1) | instskip(NEXT) | instid1(SALU_CYCLE_1)
	s_mul_i32 s2, s2, s3
	s_cmp_lg_u32 s2, 0x100
	s_cselect_b32 s2, -1, 0
	s_cmp_ge_u32 s34, s33
	s_cselect_b32 s3, -1, 0
	s_delay_alu instid0(SALU_CYCLE_1) | instskip(NEXT) | instid1(SALU_CYCLE_1)
	s_or_b32 s2, s2, s3
	s_and_b32 vcc_lo, exec_lo, s2
	s_cbranch_vccnz .LBB0_189
; %bb.1:
	s_clause 0x2
	s_load_b32 s2, s[0:1], 0x0
	s_load_b512 s[36:51], s[0:1], 0x8
	s_load_b256 s[24:31], s[0:1], 0x48
	v_and_b32_e32 v96, 0x3ff, v0
	s_lshl_b32 s22, ttmp9, 6
	v_bfe_u32 v10, v0, 10, 10
	s_add_nc_u64 s[6:7], s[0:1], 0x78
	s_delay_alu instid0(VALU_DEP_2) | instskip(SKIP_1) | instid1(VALU_DEP_2)
	v_dual_mov_b32 v56, 0 :: v_dual_add_nc_u32 v1, s22, v96
	s_load_b32 s52, s[6:7], 0x0
	v_lshl_add_u32 v9, v10, 6, v96
	v_and_b32_e32 v3, 31, v0
	s_load_b64 s[6:7], s[0:1], 0x68
	v_ashrrev_i32_e32 v2, 31, v1
	s_mov_b32 s4, ttmp9
	v_lshrrev_b32_e32 v11, 5, v9
	s_mov_b32 s35, 0
	v_and_b32_e32 v16, 0x7fe0, v9
	s_mov_b32 s53, s35
	v_lshlrev_b32_e32 v22, 5, v10
	s_wait_kmcnt 0x0
	s_ashr_i32 s3, s2, 31
	s_lshl_b64 s[0:1], s[50:51], 3
	v_mul_lo_u32 v4, s24, v2
	v_mul_lo_u32 v7, s25, v1
	v_mad_co_u64_u32 v[5:6], null, s24, v1, 0
	s_lshr_b32 s5, s3, 26
	s_add_nc_u64 s[0:1], s[48:49], s[0:1]
	s_add_co_i32 s5, s2, s5
	s_add_co_i32 s10, s52, -1
	s_and_not1_b32 s5, s5, 63
	s_lshl_b64 s[8:9], s[42:43], 3
	v_add3_u32 v6, v6, v4, v7
	v_mov_b32_e32 v4, v56
	s_sub_co_i32 s68, s2, s5
	s_cmp_eq_u32 ttmp9, s10
	s_add_nc_u64 s[8:9], s[40:41], s[8:9]
	v_lshlrev_b64_e32 v[5:6], 3, v[5:6]
	v_mad_co_u64_u32 v[7:8], null, s44, v11, v[3:4]
	s_cselect_b32 s40, s68, 0
	s_mul_u64 s[42:43], s[52:53], s[2:3]
	s_cmp_lg_u32 s40, 0
	v_add_co_u32 v97, vcc_lo, s0, v5
	v_dual_mov_b32 v4, v8 :: v_dual_lshlrev_b32 v99, 3, v96
	s_cselect_b32 s69, -1, 0
	s_cmp_eq_u32 s40, 0
	v_add_co_ci_u32_e64 v98, null, s1, v6, vcc_lo
	s_delay_alu instid0(VALU_DEP_2)
	v_mad_co_u64_u32 v[4:5], null, s45, v11, v[4:5]
	s_cselect_b32 s1, -1, 0
	s_ashr_i32 s5, ttmp9, 31
	s_ashr_i32 s23, s22, 31
	s_mul_u64 s[4:5], s[2:3], s[4:5]
	v_add_nc_u32_e32 v13, 24, v11
	v_cmp_gt_i32_e32 vcc_lo, s40, v96
	v_mov_b32_e32 v8, v4
	s_lshl_b64 s[2:3], s[4:5], 3
	s_wait_alu 0xfffe
	s_lshl_b64 s[4:5], s[22:23], 3
	v_lshlrev_b32_e32 v18, 3, v3
	s_add_nc_u64 s[48:49], s[6:7], s[2:3]
	v_lshlrev_b64_e32 v[4:5], 3, v[7:8]
	s_add_nc_u64 s[2:3], s[8:9], s[4:5]
	s_or_b32 s64, s1, vcc_lo
	s_mul_u64 s[4:5], s[44:45], s[22:23]
	v_add_nc_u32_e32 v8, 8, v11
	v_lshlrev_b32_e32 v14, 2, v11
	v_add_co_u32 v6, vcc_lo, s2, v4
	s_wait_alu 0xfffd
	v_add_co_ci_u32_e64 v7, null, s3, v5, vcc_lo
	v_lshl_or_b32 v15, v3, 8, v18
	s_lshl_b64 s[2:3], s[4:5], 3
	s_sub_co_i32 s19, s40, 32
	s_wait_alu 0xfffe
	v_add_co_u32 v101, vcc_lo, v6, s2
	s_wait_alu 0xfffd
	v_add_co_ci_u32_e64 v102, null, s3, v7, vcc_lo
	v_add_nc_u32_e32 v12, 16, v11
	v_cmp_le_i32_e64 s3, s40, v8
	v_add_nc_u32_e32 v104, v15, v16
	v_or_b32_e32 v15, 2, v14
	v_cmp_le_i32_e64 s17, s19, v8
	v_lshrrev_b32_e32 v8, 4, v9
	v_sub_co_u32 v6, s2, 0, v3
	s_wait_alu 0xf1ff
	v_sub_co_ci_u32_e64 v7, null, 0, 0, s2
	v_cmp_le_i32_e64 s2, s40, v11
	v_mul_u32_u24_e32 v19, 0x108, v11
	v_cmp_le_i32_e64 s4, s40, v12
	v_mul_u32_u24_e32 v20, 0x420, v11
	v_cmp_le_u32_e64 s10, v15, v3
	v_cmp_eq_u32_e64 s11, v15, v3
	v_lshlrev_b32_e32 v15, 3, v11
	v_cmp_le_i32_e64 s16, s19, v11
	v_cmp_le_i32_e64 s18, s19, v12
	v_cmp_eq_u32_e64 s20, 1, v11
	v_mul_i32_i24_e32 v111, 0xffffffe8, v11
	v_and_b32_e32 v11, 15, v0
	v_lshlrev_b32_e32 v12, 5, v8
	v_and_b32_e32 v0, 48, v0
	v_or_b32_e32 v17, 1, v14
	s_add_co_i32 s21, ttmp9, 1
	s_xor_b32 s70, s64, -1
	v_mad_u32_u24 v116, 0x218, v11, v12
	v_add_nc_u32_e32 v12, 0x100, v22
	s_ashr_i32 s41, s40, 31
	s_lshl_b64 s[50:51], s[44:45], 6
	s_lshl_b64 s[54:55], s[44:45], 7
	;; [unrolled: 1-line block ×3, first 2 shown]
	v_cmp_le_i32_e64 s5, s40, v13
	v_add_nc_u32_e32 v109, 0x2380, v16
	v_cmp_gt_u32_e64 s14, 32, v9
	v_cmp_le_i32_e64 s19, s19, v13
	s_cmp_lt_u32 s21, s52
	v_lshlrev_b32_e32 v0, 3, v0
	v_or_b32_e32 v13, 0x78, v99
	v_mul_i32_i24_e32 v23, 0xffffffe8, v8
	v_cmp_gt_u32_e64 s21, 64, v9
	v_mad_co_u64_u32 v[8:9], null, s44, v12, 0
	v_add_nc_u32_e32 v16, 0x298, v22
	v_mul_u32_u24_e32 v21, 0x108, v17
	v_cmp_eq_u32_e64 s9, v17, v3
	v_mul_u32_u24_e32 v17, 33, v3
	v_cmp_eq_u32_e64 s0, 0, v10
	v_lshlrev_b32_e32 v112, 2, v10
	v_mad_u32_u24 v115, 0x860, v10, v99
	v_mad_u32_u24 v117, 0x218, v11, v0
	;; [unrolled: 1-line block ×4, first 2 shown]
	v_mad_co_u64_u32 v[10:11], null, s44, v16, 0
	v_cmp_le_u32_e64 s6, v14, v3
	v_cmp_eq_u32_e64 s7, v14, v3
	v_cmp_ge_u32_e64 s8, v14, v3
	v_dual_mov_b32 v0, v9 :: v_dual_add_nc_u32 v105, 8, v104
	v_or_b32_e32 v14, 3, v14
	v_lshlrev_b32_e32 v107, 3, v17
	v_add_nc_u32_e32 v17, 0x290, v22
	v_sub_co_u32 v24, vcc_lo, v8, v4
	s_delay_alu instid0(VALU_DEP_4)
	v_cmp_le_u32_e64 s12, v14, v3
	v_cmp_eq_u32_e64 s13, v14, v3
	v_or_b32_e32 v14, 32, v3
	v_mad_co_u64_u32 v[12:13], null, s45, v12, v[0:1]
	v_mov_b32_e32 v0, v11
	v_add_nc_u32_e32 v110, v107, v15
	v_add_nc_u32_e32 v135, 0x2380, v15
	;; [unrolled: 1-line block ×3, first 2 shown]
	v_cmp_gt_i32_e64 s15, s40, v14
	v_mad_co_u64_u32 v[8:9], null, s45, v16, v[0:1]
	s_wait_alu 0xfffd
	v_sub_co_ci_u32_e64 v136, null, v12, v5, vcc_lo
	v_mad_co_u64_u32 v[13:14], null, s44, v15, 0
	v_mad_co_u64_u32 v[11:12], null, s44, v17, 0
	v_sub_co_u32 v138, vcc_lo, v10, v4
	v_or_b32_e32 v137, 4, v24
	v_add_nc_u32_e32 v24, 0x108, v22
	v_mov_b32_e32 v0, v14
	s_wait_alu 0xfffd
	v_sub_co_ci_u32_e64 v139, null, v8, v5, vcc_lo
	v_mov_b32_e32 v8, v12
	v_sub_co_u32 v140, vcc_lo, v13, v4
	v_mad_co_u64_u32 v[9:10], null, s45, v15, v[0:1]
	v_mad_co_u64_u32 v[14:15], null, s44, v24, 0
	v_add_nc_u32_e32 v25, 0x210, v22
	v_add_nc_u32_e32 v27, 0x190, v22
	;; [unrolled: 1-line block ×3, first 2 shown]
	s_mul_u64 s[58:59], s[24:25], s[22:23]
	v_mad_co_u64_u32 v[16:17], null, s45, v17, v[8:9]
	v_add_nc_u32_e32 v17, 0x288, v22
	s_wait_alu 0xfffd
	v_sub_co_ci_u32_e64 v141, null, v9, v5, vcc_lo
	v_dual_mov_b32 v0, v15 :: v_dual_add_nc_u32 v15, 0x118, v22
	s_delay_alu instid0(VALU_DEP_3) | instskip(SKIP_1) | instid1(VALU_DEP_3)
	v_mad_co_u64_u32 v[8:9], null, s44, v17, 0
	v_sub_co_u32 v142, vcc_lo, v11, v4
	v_mad_co_u64_u32 v[10:11], null, s45, v24, v[0:1]
	v_add_nc_u32_e32 v113, 0x2180, v99
	v_mad_co_u64_u32 v[11:12], null, s44, v15, 0
	v_mov_b32_e32 v0, v9
	s_wait_alu 0xfffd
	v_sub_co_ci_u32_e64 v143, null, v16, v5, vcc_lo
	v_add_nc_u32_e32 v16, 0x280, v22
	v_sub_co_u32 v24, vcc_lo, v14, v4
	s_wait_alu 0xfffd
	v_sub_co_ci_u32_e64 v144, null, v10, v5, vcc_lo
	v_mad_co_u64_u32 v[9:10], null, s45, v17, v[0:1]
	v_dual_mov_b32 v0, v12 :: v_dual_add_nc_u32 v123, 17, v112
	v_mad_co_u64_u32 v[13:14], null, s44, v16, 0
	v_sub_co_u32 v146, vcc_lo, v8, v4
	s_wait_alu 0xfffd
	s_delay_alu instid0(VALU_DEP_4)
	v_sub_co_ci_u32_e64 v147, null, v9, v5, vcc_lo
	v_mad_co_u64_u32 v[9:10], null, s45, v15, v[0:1]
	v_add_nc_u32_e32 v12, 0x180, v22
	v_dual_mov_b32 v8, v14 :: v_dual_add_nc_u32 v125, 19, v112
	v_or_b32_e32 v145, 4, v24
	v_sub_co_u32 v24, vcc_lo, v11, v4
	s_delay_alu instid0(VALU_DEP_4) | instskip(NEXT) | instid1(VALU_DEP_4)
	v_mad_co_u64_u32 v[14:15], null, s44, v12, 0
	v_mad_co_u64_u32 v[16:17], null, s45, v16, v[8:9]
	v_add_nc_u32_e32 v17, 0x218, v22
	v_add_nc_u32_e32 v127, 33, v112
	s_wait_alu 0xfffd
	v_sub_co_ci_u32_e64 v148, null, v9, v5, vcc_lo
	v_mov_b32_e32 v0, v15
	v_mad_co_u64_u32 v[8:9], null, s44, v17, 0
	v_sub_co_u32 v149, vcc_lo, v13, v4
	v_add_nc_u32_e32 v13, 0x188, v22
	s_delay_alu instid0(VALU_DEP_4) | instskip(NEXT) | instid1(VALU_DEP_4)
	v_mad_co_u64_u32 v[10:11], null, s45, v12, v[0:1]
	v_dual_mov_b32 v0, v9 :: v_dual_add_nc_u32 v129, 35, v112
	s_delay_alu instid0(VALU_DEP_3) | instskip(SKIP_2) | instid1(VALU_DEP_3)
	v_mad_co_u64_u32 v[11:12], null, s44, v13, 0
	s_wait_alu 0xfffd
	v_sub_co_ci_u32_e64 v150, null, v16, v5, vcc_lo
	v_mad_co_u64_u32 v[15:16], null, s45, v17, v[0:1]
	v_add_nc_u32_e32 v131, 49, v112
	v_mad_co_u64_u32 v[16:17], null, s44, v25, 0
	v_mov_b32_e32 v0, v12
	v_sub_co_u32 v26, vcc_lo, v14, v4
	s_wait_alu 0xfffd
	v_sub_co_ci_u32_e64 v151, null, v10, v5, vcc_lo
	s_delay_alu instid0(VALU_DEP_3)
	v_mad_co_u64_u32 v[9:10], null, s45, v13, v[0:1]
	v_add_nc_u32_e32 v133, 51, v112
	v_sub_co_u32 v152, vcc_lo, v8, v4
	v_mov_b32_e32 v8, v17
	v_mad_co_u64_u32 v[12:13], null, s44, v27, 0
	s_wait_alu 0xfffd
	v_sub_co_ci_u32_e64 v153, null, v15, v5, vcc_lo
	s_delay_alu instid0(VALU_DEP_3)
	v_mad_co_u64_u32 v[14:15], null, s45, v25, v[8:9]
	v_add_nc_u32_e32 v15, 0x208, v22
	v_sub_co_u32 v17, vcc_lo, v11, v4
	s_wait_alu 0xfffd
	v_sub_co_ci_u32_e64 v154, null, v9, v5, vcc_lo
	v_mov_b32_e32 v0, v13
	v_mad_co_u64_u32 v[8:9], null, s44, v15, 0
	v_sub_co_u32 v155, vcc_lo, v16, v4
	v_add_nc_u32_e32 v16, 0x198, v22
	s_delay_alu instid0(VALU_DEP_4)
	v_mad_co_u64_u32 v[10:11], null, s45, v27, v[0:1]
	s_wait_alu 0xfffd
	v_sub_co_ci_u32_e64 v156, null, v14, v5, vcc_lo
	v_mov_b32_e32 v0, v9
	v_mad_co_u64_u32 v[13:14], null, s44, v16, 0
	v_add_nc_u32_e32 v22, 0x200, v22
	v_sub_co_u32 v12, vcc_lo, v12, v4
	s_wait_alu 0xfffd
	v_sub_co_ci_u32_e64 v157, null, v10, v5, vcc_lo
	v_mad_co_u64_u32 v[9:10], null, s45, v15, v[0:1]
	v_mad_co_u64_u32 v[10:11], null, s44, v22, 0
	v_mov_b32_e32 v0, v14
	v_sub_co_u32 v159, vcc_lo, v8, v4
	v_or_b32_e32 v163, 4, v12
	s_wait_alu 0xfffd
	v_sub_co_ci_u32_e64 v160, null, v9, v5, vcc_lo
	v_mad_co_u64_u32 v[8:9], null, s45, v16, v[0:1]
	v_mov_b32_e32 v0, v11
	s_cselect_b32 s53, -1, 0
	s_add_co_i32 s73, s22, 64
	v_lshlrev_b64_e32 v[58:59], 3, v[1:2]
	v_lshlrev_b64_e32 v[60:61], 3, v[6:7]
	v_mad_co_u64_u32 v[11:12], null, s45, v22, v[0:1]
	v_sub_co_u32 v0, vcc_lo, v13, v4
	v_sub_co_u32 v4, s22, v10, v4
	v_add_nc_u32_e32 v100, 0x2380, v99
	v_cmp_gt_i32_e64 s1, s40, v3
	v_mad_u32_u24 v103, 0x108, v3, v18
	v_add_nc_u32_e32 v106, 16, v104
	v_add_nc_u32_e32 v108, 24, v104
	v_or_b32_e32 v119, 1, v112
	v_or_b32_e32 v120, 2, v112
	;; [unrolled: 1-line block ×3, first 2 shown]
	v_add_nc_u32_e32 v122, 16, v112
	v_add_nc_u32_e32 v124, 18, v112
	;; [unrolled: 1-line block ×6, first 2 shown]
	v_or_b32_e32 v158, 4, v24
	v_or_b32_e32 v161, 4, v26
	;; [unrolled: 1-line block ×3, first 2 shown]
	s_wait_alu 0xfffd
	v_sub_co_ci_u32_e64 v164, null, v8, v5, vcc_lo
	v_or_b32_e32 v165, 4, v0
	s_wait_alu 0xf1ff
	v_sub_co_ci_u32_e64 v166, null, v11, v5, s22
	v_or_b32_e32 v167, 4, v4
	v_add_nc_u32_e32 v168, v116, v23
	v_add_nc_u32_e32 v169, v18, v19
	v_lshlrev_b32_e32 v170, 3, v3
	v_add_nc_u32_e32 v171, v18, v20
	v_add_nc_u32_e32 v172, v18, v21
	s_sub_nc_u64 s[62:63], 0, s[58:59]
	s_mul_u64 s[56:57], s[44:45], 0xc0
	s_add_co_i32 s71, s52, -2
	s_and_b32 s72, s0, s64
	s_wait_alu 0xfffe
	s_sub_nc_u64 s[58:59], 0, s[40:41]
	s_lshl_b64 s[44:45], s[44:45], 9
	s_lshl_b64 s[60:61], s[60:61], 3
	;; [unrolled: 1-line block ×3, first 2 shown]
	s_branch .LBB0_4
.LBB0_2:                                ;   in Loop: Header=BB0_4 Depth=1
	s_wait_alu 0xfffe
	s_or_b32 exec_lo, exec_lo, s22
.LBB0_3:                                ;   in Loop: Header=BB0_4 Depth=1
	s_add_co_i32 s34, s34, 0x10000
	s_delay_alu instid0(SALU_CYCLE_1)
	s_cmp_lt_u32 s34, s33
	s_cbranch_scc0 .LBB0_189
.LBB0_4:                                ; =>This Loop Header: Depth=1
                                        ;     Child Loop BB0_113 Depth 2
	s_mul_u64 s[22:23], s[38:39], s[34:35]
	s_wait_alu 0xfffe
	s_lshl_b64 s[22:23], s[22:23], 3
	s_wait_alu 0xfffe
	s_add_nc_u64 s[22:23], s[36:37], s[22:23]
	global_load_b64 v[0:1], v56, s[22:23]
	s_mov_b32 s23, -1
	s_wait_loadcnt 0x0
	v_or_b32_e32 v0, v0, v1
	s_delay_alu instid0(VALU_DEP_1) | instskip(NEXT) | instid1(VALU_DEP_1)
	v_and_b32_e32 v0, 0x7fffffff, v0
	v_cmp_ne_u32_e64 s22, 0, v0
	s_wait_alu 0xfffe
	s_and_b32 vcc_lo, exec_lo, s22
	s_wait_alu 0xfffe
	s_cbranch_vccnz .LBB0_6
; %bb.5:                                ;   in Loop: Header=BB0_4 Depth=1
	s_mul_u64 s[64:65], s[30:31], s[34:35]
	s_wait_alu 0xfffe
	s_lshl_b64 s[64:65], s[64:65], 3
	s_wait_alu 0xfffe
	s_add_nc_u64 s[64:65], s[28:29], s[64:65]
	global_load_b64 v[0:1], v56, s[64:65]
	s_wait_loadcnt 0x0
	v_cmp_neq_f32_e32 vcc_lo, 1.0, v0
	v_cmp_neq_f32_e64 s23, 0, v1
	s_or_b32 s23, vcc_lo, s23
.LBB0_6:                                ;   in Loop: Header=BB0_4 Depth=1
	s_wait_alu 0xfffe
	s_and_not1_b32 vcc_lo, exec_lo, s23
	s_wait_alu 0xfffe
	s_cbranch_vccnz .LBB0_3
; %bb.7:                                ;   in Loop: Header=BB0_4 Depth=1
	s_and_not1_b32 vcc_lo, exec_lo, s22
	s_wait_alu 0xfffe
	s_cbranch_vccnz .LBB0_3
; %bb.8:                                ;   in Loop: Header=BB0_4 Depth=1
	s_mul_u64 s[22:23], s[26:27], s[34:35]
	s_wait_alu 0xfffe
	s_lshl_b64 s[22:23], s[22:23], 3
	s_wait_alu 0xfffe
	v_add_co_u32 v12, vcc_lo, v97, s22
	s_wait_alu 0xfffd
	v_add_co_ci_u32_e64 v13, null, s23, v98, vcc_lo
	s_and_saveexec_b32 s22, s0
	s_cbranch_execz .LBB0_13
; %bb.9:                                ;   in Loop: Header=BB0_4 Depth=1
	s_and_saveexec_b32 s23, s70
	s_wait_alu 0xfffe
	s_xor_b32 s23, exec_lo, s23
; %bb.10:                               ;   in Loop: Header=BB0_4 Depth=1
	v_mov_b32_e32 v57, v56
	ds_store_b64 v100, v[56:57]
; %bb.11:                               ;   in Loop: Header=BB0_4 Depth=1
	s_wait_alu 0xfffe
	s_and_not1_saveexec_b32 s23, s23
	s_cbranch_execz .LBB0_13
; %bb.12:                               ;   in Loop: Header=BB0_4 Depth=1
	global_load_b64 v[0:1], v[12:13], off
	s_wait_loadcnt 0x0
	ds_store_b64 v100, v[0:1]
.LBB0_13:                               ;   in Loop: Header=BB0_4 Depth=1
	s_wait_alu 0xfffe
	s_or_b32 exec_lo, exec_lo, s22
	s_mul_u64 s[22:23], s[46:47], s[34:35]
                                        ; implicit-def: $vgpr0_vgpr1
	s_wait_alu 0xfffe
	s_lshl_b64 s[22:23], s[22:23], 3
	s_wait_alu 0xfffe
	v_add_co_u32 v2, vcc_lo, v101, s22
	s_wait_alu 0xfffd
	v_add_co_ci_u32_e64 v3, null, s23, v102, vcc_lo
	s_and_b32 vcc_lo, exec_lo, s69
	s_mov_b32 s22, -1
	s_wait_alu 0xfffe
	s_cbranch_vccz .LBB0_25
; %bb.14:                               ;   in Loop: Header=BB0_4 Depth=1
	s_and_saveexec_b32 s22, s2
	s_wait_alu 0xfffe
	s_xor_b32 s22, exec_lo, s22
; %bb.15:                               ;   in Loop: Header=BB0_4 Depth=1
	v_mov_b32_e32 v57, v56
	ds_store_b64 v169, v[56:57]
; %bb.16:                               ;   in Loop: Header=BB0_4 Depth=1
	s_wait_alu 0xfffe
	s_or_saveexec_b32 s22, s22
	v_add_co_u32 v0, vcc_lo, v2, v60
	s_wait_alu 0xfffd
	v_add_co_ci_u32_e64 v1, null, v3, v61, vcc_lo
	s_lshl_b64 s[64:65], s[40:41], 3
	s_wait_alu 0xfffe
	v_add_co_u32 v0, vcc_lo, v0, s64
	s_wait_alu 0xfffd
	v_add_co_ci_u32_e64 v1, null, s65, v1, vcc_lo
	s_delay_alu instid0(VALU_DEP_2) | instskip(SKIP_1) | instid1(VALU_DEP_2)
	v_add_co_u32 v0, vcc_lo, v0, -8
	s_wait_alu 0xfffd
	v_add_co_ci_u32_e64 v1, null, -1, v1, vcc_lo
	s_delay_alu instid0(VALU_DEP_2) | instskip(NEXT) | instid1(VALU_DEP_2)
	v_cndmask_b32_e64 v0, v0, v2, s1
	v_cndmask_b32_e64 v1, v1, v3, s1
	s_xor_b32 exec_lo, exec_lo, s22
	s_cbranch_execnz .LBB0_171
; %bb.17:                               ;   in Loop: Header=BB0_4 Depth=1
	s_or_b32 exec_lo, exec_lo, s22
	s_and_saveexec_b32 s22, s3
	s_wait_alu 0xfffe
	s_xor_b32 s22, exec_lo, s22
	s_cbranch_execnz .LBB0_172
.LBB0_18:                               ;   in Loop: Header=BB0_4 Depth=1
	s_wait_alu 0xfffe
	s_and_not1_saveexec_b32 s22, s22
	s_cbranch_execnz .LBB0_173
.LBB0_19:                               ;   in Loop: Header=BB0_4 Depth=1
	s_wait_alu 0xfffe
	s_or_b32 exec_lo, exec_lo, s22
	s_and_saveexec_b32 s22, s4
	s_wait_alu 0xfffe
	s_xor_b32 s22, exec_lo, s22
	s_cbranch_execnz .LBB0_174
.LBB0_20:                               ;   in Loop: Header=BB0_4 Depth=1
	s_wait_alu 0xfffe
	s_and_not1_saveexec_b32 s22, s22
	s_cbranch_execnz .LBB0_175
.LBB0_21:                               ;   in Loop: Header=BB0_4 Depth=1
	s_wait_alu 0xfffe
	s_or_b32 exec_lo, exec_lo, s22
	s_and_saveexec_b32 s22, s5
	s_wait_alu 0xfffe
	s_xor_b32 s22, exec_lo, s22
	s_cbranch_execnz .LBB0_176
.LBB0_22:                               ;   in Loop: Header=BB0_4 Depth=1
	s_wait_alu 0xfffe
	s_and_not1_saveexec_b32 s22, s22
	s_cbranch_execz .LBB0_24
.LBB0_23:                               ;   in Loop: Header=BB0_4 Depth=1
	v_add_co_u32 v4, vcc_lo, v0, s56
	s_wait_alu 0xfffd
	v_add_co_ci_u32_e64 v5, null, s57, v1, vcc_lo
	global_load_b64 v[4:5], v[4:5], off
	s_wait_loadcnt 0x0
	ds_store_b64 v169, v[4:5] offset:6336
.LBB0_24:                               ;   in Loop: Header=BB0_4 Depth=1
	s_wait_alu 0xfffe
	s_or_b32 exec_lo, exec_lo, s22
	v_add_co_u32 v0, vcc_lo, v0, v170
	s_wait_alu 0xfffd
	v_add_co_ci_u32_e64 v1, null, 0, v1, vcc_lo
	s_lshl_b64 s[22:23], s[58:59], 3
	s_wait_alu 0xfffe
	v_add_co_u32 v0, vcc_lo, v0, s22
	s_wait_alu 0xfffd
	v_add_co_ci_u32_e64 v1, null, s23, v1, vcc_lo
	s_mov_b32 s22, 0
	v_add_co_u32 v0, vcc_lo, v0, 8
	s_wait_alu 0xfffd
	v_add_co_ci_u32_e64 v1, null, 0, v1, vcc_lo
	s_delay_alu instid0(VALU_DEP_2) | instskip(NEXT) | instid1(VALU_DEP_2)
	v_cndmask_b32_e64 v0, v0, v2, s1
	v_cndmask_b32_e64 v1, v1, v3, s1
.LBB0_25:                               ;   in Loop: Header=BB0_4 Depth=1
	s_wait_alu 0xfffe
	s_and_b32 vcc_lo, exec_lo, s22
	s_wait_alu 0xfffe
	s_cbranch_vccz .LBB0_27
; %bb.26:                               ;   in Loop: Header=BB0_4 Depth=1
	v_add_co_u32 v0, vcc_lo, v2, s50
	s_wait_alu 0xfffd
	v_add_co_ci_u32_e64 v1, null, s51, v3, vcc_lo
	s_delay_alu instid0(VALU_DEP_2) | instskip(SKIP_1) | instid1(VALU_DEP_2)
	v_add_co_u32 v4, vcc_lo, v0, s50
	s_wait_alu 0xfffd
	v_add_co_ci_u32_e64 v5, null, s51, v1, vcc_lo
	s_delay_alu instid0(VALU_DEP_2) | instskip(SKIP_1) | instid1(VALU_DEP_2)
	v_add_co_u32 v6, vcc_lo, v4, s50
	s_wait_alu 0xfffd
	v_add_co_ci_u32_e64 v7, null, s51, v5, vcc_lo
	s_clause 0x3
	global_load_b64 v[8:9], v[2:3], off
	global_load_b64 v[10:11], v[0:1], off
	;; [unrolled: 1-line block ×4, first 2 shown]
	v_dual_mov_b32 v0, v2 :: v_dual_mov_b32 v1, v3
	s_wait_loadcnt 0x3
	ds_store_b64 v169, v[8:9]
	s_wait_loadcnt 0x2
	ds_store_b64 v169, v[10:11] offset:2112
	s_wait_loadcnt 0x1
	ds_store_b64 v169, v[4:5] offset:4224
	;; [unrolled: 2-line block ×3, first 2 shown]
.LBB0_27:                               ;   in Loop: Header=BB0_4 Depth=1
	s_mov_b32 s22, 0
	s_wait_dscnt 0x0
	s_barrier_signal -1
	s_barrier_wait -1
	global_inv scope:SCOPE_SE
	s_and_saveexec_b32 s23, s6
	s_wait_alu 0xfffe
	s_xor_b32 s23, exec_lo, s23
; %bb.28:                               ;   in Loop: Header=BB0_4 Depth=1
	s_and_b32 s22, s7, exec_lo
; %bb.29:                               ;   in Loop: Header=BB0_4 Depth=1
	s_wait_alu 0xfffe
	s_or_saveexec_b32 s23, s23
	v_dual_mov_b32 v2, 0 :: v_dual_mov_b32 v3, v103
	s_wait_alu 0xfffe
	s_xor_b32 exec_lo, exec_lo, s23
	s_cbranch_execz .LBB0_31
; %bb.30:                               ;   in Loop: Header=BB0_4 Depth=1
	ds_load_b64 v[4:5], v171
	v_mov_b32_e32 v3, v104
	s_or_b32 s22, s22, exec_lo
	s_wait_dscnt 0x0
	v_xor_b32_e32 v2, 0x80000000, v5
	ds_store_b32 v104, v4
.LBB0_31:                               ;   in Loop: Header=BB0_4 Depth=1
	s_or_b32 exec_lo, exec_lo, s23
	s_wait_alu 0xfffe
	s_and_saveexec_b32 s23, s22
; %bb.32:                               ;   in Loop: Header=BB0_4 Depth=1
	ds_store_b32 v3, v2 offset:4
; %bb.33:                               ;   in Loop: Header=BB0_4 Depth=1
	s_wait_alu 0xfffe
	s_or_b32 exec_lo, exec_lo, s23
	s_mov_b32 s22, 0
                                        ; implicit-def: $vgpr2
	s_and_saveexec_b32 s23, s8
	s_wait_alu 0xfffe
	s_xor_b32 s23, exec_lo, s23
	s_cbranch_execnz .LBB0_167
; %bb.34:                               ;   in Loop: Header=BB0_4 Depth=1
	s_wait_alu 0xfffe
	s_or_saveexec_b32 s23, s23
	v_mov_b32_e32 v3, v105
	s_wait_alu 0xfffe
	s_xor_b32 exec_lo, exec_lo, s23
	s_cbranch_execnz .LBB0_168
.LBB0_35:                               ;   in Loop: Header=BB0_4 Depth=1
	s_or_b32 exec_lo, exec_lo, s23
	s_and_saveexec_b32 s23, s22
.LBB0_36:                               ;   in Loop: Header=BB0_4 Depth=1
	ds_store_b32 v3, v2 offset:4
.LBB0_37:                               ;   in Loop: Header=BB0_4 Depth=1
	s_wait_alu 0xfffe
	s_or_b32 exec_lo, exec_lo, s23
	s_mov_b32 s22, 0
	s_and_saveexec_b32 s23, s10
	s_wait_alu 0xfffe
	s_xor_b32 s23, exec_lo, s23
; %bb.38:                               ;   in Loop: Header=BB0_4 Depth=1
	s_and_b32 s22, s11, exec_lo
; %bb.39:                               ;   in Loop: Header=BB0_4 Depth=1
	s_wait_alu 0xfffe
	s_or_saveexec_b32 s23, s23
	v_dual_mov_b32 v2, 0 :: v_dual_mov_b32 v3, v103
	s_wait_alu 0xfffe
	s_xor_b32 exec_lo, exec_lo, s23
	s_cbranch_execz .LBB0_41
; %bb.40:                               ;   in Loop: Header=BB0_4 Depth=1
	ds_load_b64 v[4:5], v172 offset:264
	v_mov_b32_e32 v3, v106
	s_or_b32 s22, s22, exec_lo
	s_wait_dscnt 0x0
	v_xor_b32_e32 v2, 0x80000000, v5
	ds_store_b32 v106, v4
.LBB0_41:                               ;   in Loop: Header=BB0_4 Depth=1
	s_or_b32 exec_lo, exec_lo, s23
	s_wait_alu 0xfffe
	s_and_saveexec_b32 s23, s22
; %bb.42:                               ;   in Loop: Header=BB0_4 Depth=1
	ds_store_b32 v3, v2 offset:4
; %bb.43:                               ;   in Loop: Header=BB0_4 Depth=1
	s_wait_alu 0xfffe
	s_or_b32 exec_lo, exec_lo, s23
	s_mov_b32 s22, 0
	s_and_saveexec_b32 s23, s12
	s_wait_alu 0xfffe
	s_xor_b32 s23, exec_lo, s23
; %bb.44:                               ;   in Loop: Header=BB0_4 Depth=1
	s_and_b32 s22, s13, exec_lo
; %bb.45:                               ;   in Loop: Header=BB0_4 Depth=1
	s_wait_alu 0xfffe
	s_or_saveexec_b32 s23, s23
	v_dual_mov_b32 v2, 0 :: v_dual_mov_b32 v3, v103
	s_wait_alu 0xfffe
	s_xor_b32 exec_lo, exec_lo, s23
	s_cbranch_execz .LBB0_47
; %bb.46:                               ;   in Loop: Header=BB0_4 Depth=1
	ds_load_b64 v[4:5], v172 offset:528
	v_mov_b32_e32 v3, v108
	s_or_b32 s22, s22, exec_lo
	s_wait_dscnt 0x0
	v_xor_b32_e32 v2, 0x80000000, v5
	ds_store_b32 v108, v4
.LBB0_47:                               ;   in Loop: Header=BB0_4 Depth=1
	s_or_b32 exec_lo, exec_lo, s23
	s_wait_alu 0xfffe
	s_and_saveexec_b32 s23, s22
; %bb.48:                               ;   in Loop: Header=BB0_4 Depth=1
	ds_store_b32 v3, v2 offset:4
; %bb.49:                               ;   in Loop: Header=BB0_4 Depth=1
	s_wait_alu 0xfffe
	s_or_b32 exec_lo, exec_lo, s23
	s_wait_loadcnt_dscnt 0x0
	s_barrier_signal -1
	s_barrier_wait -1
	global_inv scope:SCOPE_SE
	ds_load_b64 v[10:11], v171
	ds_load_b128 v[2:5], v109
	ds_load_2addr_b64 v[6:9], v172 offset1:33
	ds_load_b128 v[14:17], v109 offset:16
	ds_load_b64 v[18:19], v172 offset:528
	s_wait_loadcnt_dscnt 0x0
	s_barrier_signal -1
	s_barrier_wait -1
	global_inv scope:SCOPE_SE
	v_dual_mov_b32 v63, 0 :: v_dual_mul_f32 v20, v3, v11
	v_dual_mul_f32 v11, v2, v11 :: v_dual_mul_f32 v22, v15, v9
	v_mul_f32_e32 v9, v14, v9
	s_delay_alu instid0(VALU_DEP_3) | instskip(SKIP_1) | instid1(VALU_DEP_4)
	v_fma_f32 v2, v2, v10, -v20
	v_mul_f32_e32 v21, v5, v7
	v_fmac_f32_e32 v11, v3, v10
	s_delay_alu instid0(VALU_DEP_4) | instskip(SKIP_3) | instid1(VALU_DEP_1)
	v_fmac_f32_e32 v9, v15, v8
	v_fma_f32 v10, v14, v8, -v22
	v_dual_add_f32 v2, 0, v2 :: v_dual_mul_f32 v7, v4, v7
	v_fma_f32 v4, v4, v6, -v21
	v_dual_add_f32 v2, v2, v4 :: v_dual_fmac_f32 v7, v5, v6
	v_mul_f32_e32 v6, v16, v19
	v_add_f32_e32 v5, 0, v11
	s_delay_alu instid0(VALU_DEP_3) | instskip(NEXT) | instid1(VALU_DEP_3)
	v_dual_mul_f32 v3, v17, v19 :: v_dual_add_f32 v2, v2, v10
	v_fmac_f32_e32 v6, v17, v18
	s_delay_alu instid0(VALU_DEP_3) | instskip(NEXT) | instid1(VALU_DEP_3)
	v_add_f32_e32 v4, v5, v7
	v_fma_f32 v3, v16, v18, -v3
	s_delay_alu instid0(VALU_DEP_2) | instskip(SKIP_1) | instid1(VALU_DEP_2)
	v_add_f32_e32 v4, v4, v9
	v_mov_b32_e32 v62, 0
	v_dual_add_f32 v2, v2, v3 :: v_dual_add_f32 v3, v4, v6
	ds_store_b64 v110, v[2:3]
	s_wait_loadcnt_dscnt 0x0
	s_barrier_signal -1
	s_barrier_wait -1
	global_inv scope:SCOPE_SE
	s_and_saveexec_b32 s22, s14
	s_cbranch_execz .LBB0_51
; %bb.50:                               ;   in Loop: Header=BB0_4 Depth=1
	ds_load_2addr_b64 v[2:5], v107 offset1:7
	ds_load_2addr_b64 v[6:9], v107 offset0:1 offset1:2
	ds_load_2addr_b64 v[14:17], v107 offset0:3 offset1:4
	;; [unrolled: 1-line block ×3, first 2 shown]
	s_wait_dscnt 0x2
	v_dual_add_f32 v2, v6, v2 :: v_dual_add_f32 v3, v7, v3
	s_delay_alu instid0(VALU_DEP_1) | instskip(SKIP_1) | instid1(VALU_DEP_1)
	v_dual_add_f32 v2, v8, v2 :: v_dual_add_f32 v3, v9, v3
	s_wait_dscnt 0x1
	v_dual_add_f32 v2, v2, v14 :: v_dual_add_f32 v3, v3, v15
	s_delay_alu instid0(VALU_DEP_1) | instskip(SKIP_1) | instid1(VALU_DEP_1)
	v_dual_add_f32 v2, v2, v16 :: v_dual_add_f32 v3, v3, v17
	s_wait_dscnt 0x0
	v_dual_add_f32 v2, v2, v18 :: v_dual_add_f32 v3, v3, v19
	s_delay_alu instid0(VALU_DEP_1) | instskip(NEXT) | instid1(VALU_DEP_1)
	v_dual_add_f32 v2, v2, v20 :: v_dual_add_f32 v3, v3, v21
	v_dual_add_f32 v62, v2, v4 :: v_dual_add_f32 v63, v3, v5
.LBB0_51:                               ;   in Loop: Header=BB0_4 Depth=1
	s_wait_alu 0xfffe
	s_or_b32 exec_lo, exec_lo, s22
	v_add_co_u32 v4, vcc_lo, v0, s60
	s_wait_alu 0xfffd
	v_add_co_ci_u32_e64 v5, null, s61, v1, vcc_lo
	s_mov_b32 s22, -1
	v_add_co_u32 v2, vcc_lo, 0x100, v4
	s_wait_alu 0xfffd
	v_add_co_ci_u32_e64 v3, null, 0, v5, vcc_lo
	s_and_b32 vcc_lo, exec_lo, s69
	s_wait_loadcnt 0x0
	s_barrier_signal -1
	s_barrier_wait -1
	global_inv scope:SCOPE_SE
                                        ; implicit-def: $vgpr0_vgpr1
	s_wait_alu 0xfffe
	s_cbranch_vccz .LBB0_63
; %bb.52:                               ;   in Loop: Header=BB0_4 Depth=1
	s_and_saveexec_b32 s22, s16
	s_wait_alu 0xfffe
	s_xor_b32 s22, exec_lo, s22
; %bb.53:                               ;   in Loop: Header=BB0_4 Depth=1
	v_mov_b32_e32 v57, v56
	ds_store_b64 v169, v[56:57]
; %bb.54:                               ;   in Loop: Header=BB0_4 Depth=1
	s_wait_alu 0xfffe
	s_or_saveexec_b32 s22, s22
	v_add_co_u32 v0, vcc_lo, v4, v60
	s_wait_alu 0xfffd
	v_add_co_ci_u32_e64 v1, null, v5, v61, vcc_lo
	s_lshl_b64 s[64:65], s[40:41], 3
	s_wait_alu 0xfffe
	v_add_co_u32 v0, vcc_lo, v0, s64
	s_wait_alu 0xfffd
	v_add_co_ci_u32_e64 v1, null, s65, v1, vcc_lo
	s_delay_alu instid0(VALU_DEP_2) | instskip(SKIP_1) | instid1(VALU_DEP_2)
	v_add_co_u32 v0, vcc_lo, v0, -8
	s_wait_alu 0xfffd
	v_add_co_ci_u32_e64 v1, null, -1, v1, vcc_lo
	s_delay_alu instid0(VALU_DEP_2) | instskip(NEXT) | instid1(VALU_DEP_2)
	v_cndmask_b32_e64 v0, v0, v2, s15
	v_cndmask_b32_e64 v1, v1, v3, s15
	s_xor_b32 exec_lo, exec_lo, s22
	s_cbranch_execnz .LBB0_177
; %bb.55:                               ;   in Loop: Header=BB0_4 Depth=1
	s_or_b32 exec_lo, exec_lo, s22
	s_and_saveexec_b32 s22, s17
	s_wait_alu 0xfffe
	s_xor_b32 s22, exec_lo, s22
	s_cbranch_execnz .LBB0_178
.LBB0_56:                               ;   in Loop: Header=BB0_4 Depth=1
	s_wait_alu 0xfffe
	s_and_not1_saveexec_b32 s22, s22
	s_cbranch_execnz .LBB0_179
.LBB0_57:                               ;   in Loop: Header=BB0_4 Depth=1
	s_wait_alu 0xfffe
	s_or_b32 exec_lo, exec_lo, s22
	s_and_saveexec_b32 s22, s18
	s_wait_alu 0xfffe
	s_xor_b32 s22, exec_lo, s22
	s_cbranch_execnz .LBB0_180
.LBB0_58:                               ;   in Loop: Header=BB0_4 Depth=1
	s_wait_alu 0xfffe
	s_and_not1_saveexec_b32 s22, s22
	s_cbranch_execnz .LBB0_181
.LBB0_59:                               ;   in Loop: Header=BB0_4 Depth=1
	s_wait_alu 0xfffe
	s_or_b32 exec_lo, exec_lo, s22
	s_and_saveexec_b32 s22, s19
	s_wait_alu 0xfffe
	s_xor_b32 s22, exec_lo, s22
	s_cbranch_execnz .LBB0_182
.LBB0_60:                               ;   in Loop: Header=BB0_4 Depth=1
	s_wait_alu 0xfffe
	s_and_not1_saveexec_b32 s22, s22
	s_cbranch_execz .LBB0_62
.LBB0_61:                               ;   in Loop: Header=BB0_4 Depth=1
	v_add_co_u32 v6, vcc_lo, v0, s56
	s_wait_alu 0xfffd
	v_add_co_ci_u32_e64 v7, null, s57, v1, vcc_lo
	global_load_b64 v[6:7], v[6:7], off
	s_wait_loadcnt 0x0
	ds_store_b64 v169, v[6:7] offset:6336
.LBB0_62:                               ;   in Loop: Header=BB0_4 Depth=1
	s_wait_alu 0xfffe
	s_or_b32 exec_lo, exec_lo, s22
	v_add_co_u32 v0, vcc_lo, v0, v170
	s_wait_alu 0xfffd
	v_add_co_ci_u32_e64 v1, null, 0, v1, vcc_lo
	s_lshl_b64 s[22:23], s[58:59], 3
	s_wait_alu 0xfffe
	v_add_co_u32 v0, vcc_lo, v0, s22
	s_wait_alu 0xfffd
	v_add_co_ci_u32_e64 v1, null, s23, v1, vcc_lo
	s_mov_b32 s22, 0
	v_add_co_u32 v0, vcc_lo, 0x108, v0
	s_wait_alu 0xfffd
	v_add_co_ci_u32_e64 v1, null, 0, v1, vcc_lo
	s_delay_alu instid0(VALU_DEP_2) | instskip(NEXT) | instid1(VALU_DEP_2)
	v_cndmask_b32_e64 v0, v0, v2, s15
	v_cndmask_b32_e64 v1, v1, v3, s15
.LBB0_63:                               ;   in Loop: Header=BB0_4 Depth=1
	s_wait_alu 0xfffe
	s_and_b32 vcc_lo, exec_lo, s22
	s_wait_alu 0xfffe
	s_cbranch_vccz .LBB0_65
; %bb.64:                               ;   in Loop: Header=BB0_4 Depth=1
	v_add_co_u32 v0, vcc_lo, v4, s50
	s_wait_alu 0xfffd
	v_add_co_ci_u32_e64 v1, null, s51, v5, vcc_lo
	s_delay_alu instid0(VALU_DEP_2) | instskip(SKIP_1) | instid1(VALU_DEP_2)
	v_add_co_u32 v6, vcc_lo, v0, s50
	s_wait_alu 0xfffd
	v_add_co_ci_u32_e64 v7, null, s51, v1, vcc_lo
	s_delay_alu instid0(VALU_DEP_2) | instskip(SKIP_1) | instid1(VALU_DEP_2)
	v_add_co_u32 v8, vcc_lo, v6, s50
	s_wait_alu 0xfffd
	v_add_co_ci_u32_e64 v9, null, s51, v7, vcc_lo
	s_clause 0x3
	global_load_b64 v[4:5], v[4:5], off offset:256
	global_load_b64 v[10:11], v[0:1], off offset:256
	;; [unrolled: 1-line block ×4, first 2 shown]
	v_dual_mov_b32 v0, v2 :: v_dual_mov_b32 v1, v3
	s_wait_loadcnt 0x3
	ds_store_b64 v169, v[4:5]
	s_wait_loadcnt 0x2
	ds_store_b64 v169, v[10:11] offset:2112
	s_wait_loadcnt 0x1
	ds_store_b64 v169, v[6:7] offset:4224
	;; [unrolled: 2-line block ×3, first 2 shown]
.LBB0_65:                               ;   in Loop: Header=BB0_4 Depth=1
	s_mov_b32 s22, 0
	s_wait_loadcnt_dscnt 0x0
	s_barrier_signal -1
	s_barrier_wait -1
	global_inv scope:SCOPE_SE
	s_and_saveexec_b32 s23, s6
	s_wait_alu 0xfffe
	s_xor_b32 s23, exec_lo, s23
; %bb.66:                               ;   in Loop: Header=BB0_4 Depth=1
	s_and_b32 s22, s7, exec_lo
; %bb.67:                               ;   in Loop: Header=BB0_4 Depth=1
	s_wait_alu 0xfffe
	s_or_saveexec_b32 s23, s23
	v_dual_mov_b32 v2, 0 :: v_dual_mov_b32 v3, v103
	s_wait_alu 0xfffe
	s_xor_b32 exec_lo, exec_lo, s23
	s_cbranch_execz .LBB0_69
; %bb.68:                               ;   in Loop: Header=BB0_4 Depth=1
	ds_load_b64 v[4:5], v171
	v_mov_b32_e32 v3, v104
	s_or_b32 s22, s22, exec_lo
	s_wait_dscnt 0x0
	v_xor_b32_e32 v2, 0x80000000, v5
	ds_store_b32 v104, v4
.LBB0_69:                               ;   in Loop: Header=BB0_4 Depth=1
	s_or_b32 exec_lo, exec_lo, s23
	s_wait_alu 0xfffe
	s_and_saveexec_b32 s23, s22
; %bb.70:                               ;   in Loop: Header=BB0_4 Depth=1
	ds_store_b32 v3, v2 offset:4
; %bb.71:                               ;   in Loop: Header=BB0_4 Depth=1
	s_wait_alu 0xfffe
	s_or_b32 exec_lo, exec_lo, s23
	s_mov_b32 s22, 0
                                        ; implicit-def: $vgpr2
	s_and_saveexec_b32 s23, s8
	s_wait_alu 0xfffe
	s_xor_b32 s23, exec_lo, s23
	s_cbranch_execnz .LBB0_169
; %bb.72:                               ;   in Loop: Header=BB0_4 Depth=1
	s_wait_alu 0xfffe
	s_or_saveexec_b32 s23, s23
	v_mov_b32_e32 v3, v105
	s_wait_alu 0xfffe
	s_xor_b32 exec_lo, exec_lo, s23
	s_cbranch_execnz .LBB0_170
.LBB0_73:                               ;   in Loop: Header=BB0_4 Depth=1
	s_or_b32 exec_lo, exec_lo, s23
	s_and_saveexec_b32 s23, s22
.LBB0_74:                               ;   in Loop: Header=BB0_4 Depth=1
	ds_store_b32 v3, v2 offset:4
.LBB0_75:                               ;   in Loop: Header=BB0_4 Depth=1
	s_wait_alu 0xfffe
	s_or_b32 exec_lo, exec_lo, s23
	s_mov_b32 s22, 0
	s_and_saveexec_b32 s23, s10
	s_wait_alu 0xfffe
	s_xor_b32 s23, exec_lo, s23
; %bb.76:                               ;   in Loop: Header=BB0_4 Depth=1
	s_and_b32 s22, s11, exec_lo
; %bb.77:                               ;   in Loop: Header=BB0_4 Depth=1
	s_wait_alu 0xfffe
	s_or_saveexec_b32 s23, s23
	v_dual_mov_b32 v2, 0 :: v_dual_mov_b32 v3, v103
	s_wait_alu 0xfffe
	s_xor_b32 exec_lo, exec_lo, s23
	s_cbranch_execz .LBB0_79
; %bb.78:                               ;   in Loop: Header=BB0_4 Depth=1
	ds_load_b64 v[4:5], v172 offset:264
	v_mov_b32_e32 v3, v106
	s_or_b32 s22, s22, exec_lo
	s_wait_dscnt 0x0
	v_xor_b32_e32 v2, 0x80000000, v5
	ds_store_b32 v106, v4
.LBB0_79:                               ;   in Loop: Header=BB0_4 Depth=1
	s_or_b32 exec_lo, exec_lo, s23
	s_wait_alu 0xfffe
	s_and_saveexec_b32 s23, s22
; %bb.80:                               ;   in Loop: Header=BB0_4 Depth=1
	ds_store_b32 v3, v2 offset:4
; %bb.81:                               ;   in Loop: Header=BB0_4 Depth=1
	s_wait_alu 0xfffe
	s_or_b32 exec_lo, exec_lo, s23
	s_mov_b32 s22, 0
	s_and_saveexec_b32 s23, s12
	s_wait_alu 0xfffe
	s_xor_b32 s23, exec_lo, s23
; %bb.82:                               ;   in Loop: Header=BB0_4 Depth=1
	s_and_b32 s22, s13, exec_lo
; %bb.83:                               ;   in Loop: Header=BB0_4 Depth=1
	s_wait_alu 0xfffe
	s_or_saveexec_b32 s23, s23
	v_dual_mov_b32 v2, 0 :: v_dual_mov_b32 v3, v103
	s_wait_alu 0xfffe
	s_xor_b32 exec_lo, exec_lo, s23
	s_cbranch_execz .LBB0_85
; %bb.84:                               ;   in Loop: Header=BB0_4 Depth=1
	ds_load_b64 v[4:5], v172 offset:528
	v_mov_b32_e32 v3, v108
	s_or_b32 s22, s22, exec_lo
	s_wait_dscnt 0x0
	v_xor_b32_e32 v2, 0x80000000, v5
	ds_store_b32 v108, v4
.LBB0_85:                               ;   in Loop: Header=BB0_4 Depth=1
	s_or_b32 exec_lo, exec_lo, s23
	s_wait_alu 0xfffe
	s_and_saveexec_b32 s23, s22
; %bb.86:                               ;   in Loop: Header=BB0_4 Depth=1
	ds_store_b32 v3, v2 offset:4
; %bb.87:                               ;   in Loop: Header=BB0_4 Depth=1
	s_wait_alu 0xfffe
	s_or_b32 exec_lo, exec_lo, s23
	s_wait_loadcnt_dscnt 0x0
	s_barrier_signal -1
	s_barrier_wait -1
	global_inv scope:SCOPE_SE
	ds_load_b64 v[10:11], v171
	ds_load_b128 v[2:5], v109 offset:256
	ds_load_2addr_b64 v[6:9], v172 offset1:33
	ds_load_b128 v[14:17], v109 offset:272
	ds_load_b64 v[18:19], v172 offset:528
	s_wait_loadcnt_dscnt 0x0
	s_barrier_signal -1
	s_barrier_wait -1
	global_inv scope:SCOPE_SE
	v_mul_f32_e32 v20, v3, v11
	v_dual_mul_f32 v11, v2, v11 :: v_dual_mul_f32 v22, v15, v9
	v_mul_f32_e32 v9, v14, v9
	s_delay_alu instid0(VALU_DEP_3) | instskip(SKIP_1) | instid1(VALU_DEP_4)
	v_fma_f32 v2, v2, v10, -v20
	v_mul_f32_e32 v21, v5, v7
	v_fmac_f32_e32 v11, v3, v10
	s_delay_alu instid0(VALU_DEP_4) | instskip(SKIP_3) | instid1(VALU_DEP_1)
	v_fmac_f32_e32 v9, v15, v8
	v_fma_f32 v10, v14, v8, -v22
	v_dual_add_f32 v2, 0, v2 :: v_dual_mul_f32 v7, v4, v7
	v_fma_f32 v4, v4, v6, -v21
	v_dual_add_f32 v2, v2, v4 :: v_dual_fmac_f32 v7, v5, v6
	v_mul_f32_e32 v6, v16, v19
	v_add_f32_e32 v5, 0, v11
	s_delay_alu instid0(VALU_DEP_3) | instskip(NEXT) | instid1(VALU_DEP_3)
	v_dual_mul_f32 v3, v17, v19 :: v_dual_add_f32 v2, v2, v10
	v_fmac_f32_e32 v6, v17, v18
	s_delay_alu instid0(VALU_DEP_3) | instskip(NEXT) | instid1(VALU_DEP_3)
	v_add_f32_e32 v4, v5, v7
	v_fma_f32 v3, v16, v18, -v3
	s_delay_alu instid0(VALU_DEP_2) | instskip(NEXT) | instid1(VALU_DEP_1)
	v_add_f32_e32 v4, v4, v9
	v_dual_add_f32 v2, v2, v3 :: v_dual_add_f32 v3, v4, v6
	ds_store_b64 v110, v[2:3]
	s_wait_loadcnt_dscnt 0x0
	s_barrier_signal -1
	s_barrier_wait -1
	global_inv scope:SCOPE_SE
	s_and_saveexec_b32 s22, s20
	s_cbranch_execz .LBB0_89
; %bb.88:                               ;   in Loop: Header=BB0_4 Depth=1
	ds_load_2addr_b64 v[2:5], v107 offset1:7
	ds_load_2addr_b64 v[6:9], v107 offset0:1 offset1:2
	ds_load_2addr_b64 v[14:17], v107 offset0:3 offset1:4
	;; [unrolled: 1-line block ×3, first 2 shown]
	s_wait_dscnt 0x2
	v_dual_add_f32 v2, v6, v2 :: v_dual_add_f32 v3, v7, v3
	s_delay_alu instid0(VALU_DEP_1) | instskip(SKIP_1) | instid1(VALU_DEP_1)
	v_dual_add_f32 v2, v8, v2 :: v_dual_add_f32 v3, v9, v3
	s_wait_dscnt 0x1
	v_dual_add_f32 v2, v2, v14 :: v_dual_add_f32 v3, v3, v15
	s_delay_alu instid0(VALU_DEP_1) | instskip(SKIP_1) | instid1(VALU_DEP_1)
	v_dual_add_f32 v2, v2, v16 :: v_dual_add_f32 v3, v3, v17
	s_wait_dscnt 0x0
	v_dual_add_f32 v2, v2, v18 :: v_dual_add_f32 v3, v3, v19
	s_delay_alu instid0(VALU_DEP_1) | instskip(NEXT) | instid1(VALU_DEP_1)
	v_dual_add_f32 v2, v2, v20 :: v_dual_add_f32 v3, v3, v21
	v_dual_add_f32 v62, v2, v4 :: v_dual_add_f32 v63, v3, v5
.LBB0_89:                               ;   in Loop: Header=BB0_4 Depth=1
	s_wait_alu 0xfffe
	s_or_b32 exec_lo, exec_lo, s22
	v_add_co_u32 v2, vcc_lo, 0xffffff00, v0
	s_wait_alu 0xfffd
	v_add_co_ci_u32_e64 v3, null, -1, v1, vcc_lo
	s_and_b32 vcc_lo, exec_lo, s69
	s_mov_b32 s22, -1
	s_wait_loadcnt 0x0
	s_barrier_signal -1
	s_barrier_wait -1
	global_inv scope:SCOPE_SE
                                        ; implicit-def: $vgpr14_vgpr15
	s_wait_alu 0xfffe
	s_cbranch_vccz .LBB0_101
; %bb.90:                               ;   in Loop: Header=BB0_4 Depth=1
	s_and_saveexec_b32 s22, s16
	s_wait_alu 0xfffe
	s_xor_b32 s22, exec_lo, s22
; %bb.91:                               ;   in Loop: Header=BB0_4 Depth=1
	v_mov_b32_e32 v57, v56
	ds_store_b64 v169, v[56:57]
; %bb.92:                               ;   in Loop: Header=BB0_4 Depth=1
	s_wait_alu 0xfffe
	s_or_saveexec_b32 s22, s22
	v_add_co_u32 v4, vcc_lo, v0, v60
	s_wait_alu 0xfffd
	v_add_co_ci_u32_e64 v5, null, v1, v61, vcc_lo
	s_lshl_b64 s[64:65], s[40:41], 3
	s_wait_alu 0xfffe
	v_add_co_u32 v4, vcc_lo, v4, s64
	s_wait_alu 0xfffd
	v_add_co_ci_u32_e64 v5, null, s65, v5, vcc_lo
	s_delay_alu instid0(VALU_DEP_2) | instskip(SKIP_1) | instid1(VALU_DEP_2)
	v_add_co_u32 v4, vcc_lo, 0xfffffef8, v4
	s_wait_alu 0xfffd
	v_add_co_ci_u32_e64 v5, null, -1, v5, vcc_lo
	s_delay_alu instid0(VALU_DEP_2) | instskip(NEXT) | instid1(VALU_DEP_2)
	v_cndmask_b32_e64 v4, v4, v2, s1
	v_cndmask_b32_e64 v5, v5, v3, s1
	s_xor_b32 exec_lo, exec_lo, s22
	s_cbranch_execnz .LBB0_183
; %bb.93:                               ;   in Loop: Header=BB0_4 Depth=1
	s_or_b32 exec_lo, exec_lo, s22
	s_and_saveexec_b32 s22, s17
	s_wait_alu 0xfffe
	s_xor_b32 s22, exec_lo, s22
	s_cbranch_execnz .LBB0_184
.LBB0_94:                               ;   in Loop: Header=BB0_4 Depth=1
	s_wait_alu 0xfffe
	s_and_not1_saveexec_b32 s22, s22
	s_cbranch_execnz .LBB0_185
.LBB0_95:                               ;   in Loop: Header=BB0_4 Depth=1
	s_wait_alu 0xfffe
	s_or_b32 exec_lo, exec_lo, s22
	s_and_saveexec_b32 s22, s18
	s_wait_alu 0xfffe
	s_xor_b32 s22, exec_lo, s22
	s_cbranch_execnz .LBB0_186
.LBB0_96:                               ;   in Loop: Header=BB0_4 Depth=1
	s_wait_alu 0xfffe
	s_and_not1_saveexec_b32 s22, s22
	s_cbranch_execnz .LBB0_187
.LBB0_97:                               ;   in Loop: Header=BB0_4 Depth=1
	s_wait_alu 0xfffe
	s_or_b32 exec_lo, exec_lo, s22
	s_and_saveexec_b32 s22, s19
	s_wait_alu 0xfffe
	s_xor_b32 s22, exec_lo, s22
	s_cbranch_execnz .LBB0_188
.LBB0_98:                               ;   in Loop: Header=BB0_4 Depth=1
	s_wait_alu 0xfffe
	s_and_not1_saveexec_b32 s22, s22
	s_cbranch_execz .LBB0_100
.LBB0_99:                               ;   in Loop: Header=BB0_4 Depth=1
	v_add_co_u32 v6, vcc_lo, v4, s56
	s_wait_alu 0xfffd
	v_add_co_ci_u32_e64 v7, null, s57, v5, vcc_lo
	global_load_b64 v[6:7], v[6:7], off
	s_wait_loadcnt 0x0
	ds_store_b64 v169, v[6:7] offset:6336
.LBB0_100:                              ;   in Loop: Header=BB0_4 Depth=1
	s_wait_alu 0xfffe
	s_or_b32 exec_lo, exec_lo, s22
	v_add_co_u32 v4, vcc_lo, v4, v170
	s_wait_alu 0xfffd
	v_add_co_ci_u32_e64 v5, null, 0, v5, vcc_lo
	s_lshl_b64 s[22:23], s[58:59], 3
	s_wait_alu 0xfffe
	v_add_co_u32 v4, vcc_lo, v4, s22
	s_wait_alu 0xfffd
	v_add_co_ci_u32_e64 v5, null, s23, v5, vcc_lo
	s_mov_b32 s22, 0
	v_add_co_u32 v4, vcc_lo, v4, 8
	s_wait_alu 0xfffd
	v_add_co_ci_u32_e64 v5, null, 0, v5, vcc_lo
	s_delay_alu instid0(VALU_DEP_2) | instskip(NEXT) | instid1(VALU_DEP_2)
	v_cndmask_b32_e64 v14, v4, v2, s1
	v_cndmask_b32_e64 v15, v5, v3, s1
.LBB0_101:                              ;   in Loop: Header=BB0_4 Depth=1
	s_wait_alu 0xfffe
	s_and_b32 vcc_lo, exec_lo, s22
	s_wait_alu 0xfffe
	s_cbranch_vccz .LBB0_103
; %bb.102:                              ;   in Loop: Header=BB0_4 Depth=1
	v_add_co_u32 v4, vcc_lo, v0, s50
	s_wait_alu 0xfffd
	v_add_co_ci_u32_e64 v5, null, s51, v1, vcc_lo
	v_dual_mov_b32 v15, v3 :: v_dual_mov_b32 v14, v2
	s_delay_alu instid0(VALU_DEP_3) | instskip(SKIP_1) | instid1(VALU_DEP_3)
	v_add_co_u32 v6, vcc_lo, v4, s50
	s_wait_alu 0xfffd
	v_add_co_ci_u32_e64 v7, null, s51, v5, vcc_lo
	s_delay_alu instid0(VALU_DEP_2) | instskip(SKIP_1) | instid1(VALU_DEP_2)
	v_add_co_u32 v8, vcc_lo, v6, s50
	s_wait_alu 0xfffd
	v_add_co_ci_u32_e64 v9, null, s51, v7, vcc_lo
	s_clause 0x3
	global_load_b64 v[0:1], v[0:1], off offset:-256
	global_load_b64 v[4:5], v[4:5], off offset:-256
	;; [unrolled: 1-line block ×4, first 2 shown]
	s_wait_loadcnt 0x3
	ds_store_b64 v169, v[0:1]
	s_wait_loadcnt 0x2
	ds_store_b64 v169, v[4:5] offset:2112
	s_wait_loadcnt 0x1
	ds_store_b64 v169, v[6:7] offset:4224
	;; [unrolled: 2-line block ×3, first 2 shown]
.LBB0_103:                              ;   in Loop: Header=BB0_4 Depth=1
	v_add_nc_u32_e32 v0, v104, v111
	v_add_nc_u32_e32 v1, v109, v111
	s_wait_loadcnt_dscnt 0x0
	s_barrier_signal -1
	s_barrier_wait -1
	global_inv scope:SCOPE_SE
	ds_load_2addr_b64 v[20:23], v110 offset0:8 offset1:16
	ds_load_2addr_b64 v[24:27], v135 offset0:8 offset1:16
	ds_load_b64 v[28:29], v0
	ds_load_b64 v[30:31], v1
	ds_load_b64 v[32:33], v110 offset:192
	ds_load_b64 v[34:35], v135 offset:192
	ds_load_b128 v[8:11], v109 offset:256
	ds_load_b128 v[0:3], v109 offset:272
	ds_load_2addr_b64 v[4:7], v172 offset1:33
	ds_load_b64 v[18:19], v171
	ds_load_b64 v[16:17], v172 offset:528
	s_wait_loadcnt_dscnt 0x0
	s_barrier_signal -1
	s_barrier_wait -1
	global_inv scope:SCOPE_SE
	v_mul_f32_e32 v36, v21, v25
	v_dual_mul_f32 v21, v21, v24 :: v_dual_mul_f32 v38, v23, v27
	v_mul_f32_e32 v37, v29, v31
	v_mul_f32_e32 v29, v29, v30
	s_delay_alu instid0(VALU_DEP_4) | instskip(NEXT) | instid1(VALU_DEP_4)
	v_dual_mul_f32 v23, v23, v26 :: v_dual_fmac_f32 v36, v20, v24
	v_fmac_f32_e32 v38, v22, v26
	s_delay_alu instid0(VALU_DEP_4) | instskip(NEXT) | instid1(VALU_DEP_4)
	v_fmac_f32_e32 v37, v28, v30
	v_fma_f32 v28, v28, v31, -v29
	v_fma_f32 v20, v20, v25, -v21
	v_mul_f32_e32 v26, v33, v34
	v_fma_f32 v22, v22, v27, -v23
	s_delay_alu instid0(VALU_DEP_4) | instskip(SKIP_1) | instid1(VALU_DEP_4)
	v_dual_add_f32 v24, 0, v28 :: v_dual_add_f32 v21, 0, v37
	v_mul_f32_e32 v25, v33, v35
	v_fma_f32 v23, v32, v35, -v26
	s_delay_alu instid0(VALU_DEP_3) | instskip(NEXT) | instid1(VALU_DEP_4)
	v_add_f32_e32 v20, v24, v20
	v_add_f32_e32 v21, v21, v36
	s_delay_alu instid0(VALU_DEP_4) | instskip(NEXT) | instid1(VALU_DEP_3)
	v_fmac_f32_e32 v25, v32, v34
	v_add_f32_e32 v22, v20, v22
	s_delay_alu instid0(VALU_DEP_3) | instskip(NEXT) | instid1(VALU_DEP_1)
	v_add_f32_e32 v21, v21, v38
	v_dual_add_f32 v20, v21, v25 :: v_dual_add_f32 v21, v22, v23
	ds_store_b64 v110, v[20:21]
	s_wait_loadcnt_dscnt 0x0
	s_barrier_signal -1
	s_barrier_wait -1
	global_inv scope:SCOPE_SE
	s_and_saveexec_b32 s22, s20
	s_cbranch_execz .LBB0_105
; %bb.104:                              ;   in Loop: Header=BB0_4 Depth=1
	ds_load_2addr_b64 v[20:23], v107 offset1:1
	ds_load_2addr_b64 v[24:27], v107 offset0:2 offset1:3
	ds_load_2addr_b64 v[28:31], v107 offset0:4 offset1:5
	s_wait_dscnt 0x2
	v_dual_add_f32 v20, v62, v20 :: v_dual_add_f32 v21, v63, v21
	s_delay_alu instid0(VALU_DEP_1) | instskip(SKIP_3) | instid1(VALU_DEP_1)
	v_dual_add_f32 v32, v20, v22 :: v_dual_add_f32 v33, v21, v23
	ds_load_2addr_b64 v[20:23], v107 offset0:6 offset1:7
	s_wait_dscnt 0x2
	v_dual_add_f32 v24, v32, v24 :: v_dual_add_f32 v25, v33, v25
	v_dual_add_f32 v24, v24, v26 :: v_dual_add_f32 v25, v25, v27
	s_wait_dscnt 0x1
	s_delay_alu instid0(VALU_DEP_1) | instskip(NEXT) | instid1(VALU_DEP_1)
	v_dual_add_f32 v24, v24, v28 :: v_dual_add_f32 v25, v25, v29
	v_dual_add_f32 v24, v24, v30 :: v_dual_add_f32 v25, v25, v31
	s_wait_dscnt 0x0
	s_delay_alu instid0(VALU_DEP_1) | instskip(NEXT) | instid1(VALU_DEP_1)
	v_dual_add_f32 v20, v24, v20 :: v_dual_add_f32 v21, v25, v21
	v_dual_add_f32 v62, v20, v22 :: v_dual_add_f32 v63, v21, v23
.LBB0_105:                              ;   in Loop: Header=BB0_4 Depth=1
	s_wait_alu 0xfffe
	s_or_b32 exec_lo, exec_lo, s22
	v_dual_mul_f32 v20, v9, v19 :: v_dual_mul_f32 v21, v11, v5
	v_mul_f32_e32 v19, v8, v19
	v_dual_mul_f32 v5, v10, v5 :: v_dual_mul_f32 v22, v1, v7
	s_delay_alu instid0(VALU_DEP_3) | instskip(NEXT) | instid1(VALU_DEP_4)
	v_fma_f32 v8, v8, v18, -v20
	v_fma_f32 v10, v10, v4, -v21
	v_mul_f32_e32 v7, v0, v7
	s_wait_loadcnt 0x0
	v_fma_f32 v0, v0, v6, -v22
	v_add_f32_e32 v8, 0, v8
	v_fmac_f32_e32 v5, v11, v4
	v_fmac_f32_e32 v7, v1, v6
	s_barrier_signal -1
	s_barrier_wait -1
	v_add_f32_e32 v8, v8, v10
	v_fmac_f32_e32 v19, v9, v18
	global_inv scope:SCOPE_SE
	v_dual_add_f32 v0, v8, v0 :: v_dual_mul_f32 v9, v3, v17
	v_dual_add_f32 v4, 0, v19 :: v_dual_mul_f32 v11, v2, v17
	s_delay_alu instid0(VALU_DEP_2) | instskip(NEXT) | instid1(VALU_DEP_2)
	v_fma_f32 v2, v2, v16, -v9
	v_add_f32_e32 v1, v4, v5
	s_delay_alu instid0(VALU_DEP_2) | instskip(NEXT) | instid1(VALU_DEP_2)
	v_dual_add_f32 v0, v0, v2 :: v_dual_fmac_f32 v11, v3, v16
	v_add_f32_e32 v1, v1, v7
	s_delay_alu instid0(VALU_DEP_1)
	v_add_f32_e32 v1, v1, v11
	ds_store_b64 v110, v[0:1]
	s_wait_loadcnt_dscnt 0x0
	s_barrier_signal -1
	s_barrier_wait -1
	global_inv scope:SCOPE_SE
	s_and_saveexec_b32 s22, s14
	s_cbranch_execz .LBB0_107
; %bb.106:                              ;   in Loop: Header=BB0_4 Depth=1
	ds_load_2addr_b64 v[0:3], v107 offset1:1
	ds_load_2addr_b64 v[4:7], v107 offset0:2 offset1:3
	ds_load_2addr_b64 v[8:11], v107 offset0:4 offset1:5
	s_wait_dscnt 0x2
	v_dual_add_f32 v0, v62, v0 :: v_dual_add_f32 v1, v63, v1
	s_delay_alu instid0(VALU_DEP_1) | instskip(SKIP_3) | instid1(VALU_DEP_1)
	v_dual_add_f32 v16, v0, v2 :: v_dual_add_f32 v17, v1, v3
	ds_load_2addr_b64 v[0:3], v107 offset0:6 offset1:7
	s_wait_dscnt 0x2
	v_dual_add_f32 v4, v16, v4 :: v_dual_add_f32 v5, v17, v5
	v_dual_add_f32 v4, v4, v6 :: v_dual_add_f32 v5, v5, v7
	s_wait_dscnt 0x1
	s_delay_alu instid0(VALU_DEP_1) | instskip(NEXT) | instid1(VALU_DEP_1)
	v_dual_add_f32 v4, v4, v8 :: v_dual_add_f32 v5, v5, v9
	v_dual_add_f32 v4, v4, v10 :: v_dual_add_f32 v5, v5, v11
	s_wait_dscnt 0x0
	s_delay_alu instid0(VALU_DEP_1) | instskip(NEXT) | instid1(VALU_DEP_1)
	v_dual_add_f32 v0, v4, v0 :: v_dual_add_f32 v1, v5, v1
	v_dual_add_f32 v62, v0, v2 :: v_dual_add_f32 v63, v1, v3
.LBB0_107:                              ;   in Loop: Header=BB0_4 Depth=1
	s_wait_alu 0xfffe
	s_or_b32 exec_lo, exec_lo, s22
	s_mul_u64 s[22:23], s[42:43], s[34:35]
	s_and_not1_b32 vcc_lo, exec_lo, s53
	s_wait_alu 0xfffe
	s_lshl_b64 s[22:23], s[22:23], 3
	s_wait_loadcnt 0x0
	s_wait_alu 0xfffe
	s_add_nc_u64 s[64:65], s[48:49], s[22:23]
	s_barrier_signal -1
	s_barrier_wait -1
	global_inv scope:SCOPE_SE
	s_cbranch_vccnz .LBB0_165
; %bb.108:                              ;   in Loop: Header=BB0_4 Depth=1
	v_add_co_u32 v173, vcc_lo, v12, s62
	s_wait_alu 0xfffd
	v_add_co_ci_u32_e64 v174, null, s63, v13, vcc_lo
	v_add_co_u32 v175, vcc_lo, v14, v137
	s_wait_alu 0xfffd
	v_add_co_ci_u32_e64 v176, null, v15, v136, vcc_lo
	;; [unrolled: 3-line block ×17, first 2 shown]
	s_mov_b32 s23, ttmp9
	s_mov_b32 s66, s73
	s_wait_alu 0xfffe
	s_cmp_eq_u32 s71, s23
	s_cselect_b32 s74, s68, 0
	s_and_saveexec_b32 s22, s0
	s_cbranch_execz .LBB0_113
.LBB0_109:                              ;   in Loop: Header=BB0_4 Depth=1
	s_wait_alu 0xfffe
	v_cmp_le_i32_e32 vcc_lo, s74, v96
	s_cmp_lg_u32 s74, 0
	s_cselect_b32 s67, -1, 0
	s_wait_alu 0xfffe
	s_and_b32 s67, s67, vcc_lo
	s_wait_alu 0xfffe
	s_and_saveexec_b32 s75, s67
	s_wait_alu 0xfffe
	s_xor_b32 s67, exec_lo, s75
; %bb.110:                              ;   in Loop: Header=BB0_4 Depth=1
	v_mov_b32_e32 v57, v56
	ds_store_b64 v113, v[56:57]
; %bb.111:                              ;   in Loop: Header=BB0_4 Depth=1
	s_wait_alu 0xfffe
	s_and_not1_saveexec_b32 s67, s67
	s_cbranch_execz .LBB0_113
; %bb.112:                              ;   in Loop: Header=BB0_4 Depth=1
	s_ashr_i32 s67, s66, 31
	s_wait_alu 0xfffe
	s_mul_u64 s[76:77], s[24:25], s[66:67]
	s_wait_alu 0xfffe
	s_lshl_b64 s[76:77], s[76:77], 3
	s_wait_alu 0xfffe
	v_add_co_u32 v0, vcc_lo, v173, s76
	s_wait_alu 0xfffd
	v_add_co_ci_u32_e64 v1, null, s77, v174, vcc_lo
	global_load_b64 v[0:1], v[0:1], off
	s_wait_loadcnt 0x0
	ds_store_b64 v113, v[0:1]
.LBB0_113:                              ;   Parent Loop BB0_4 Depth=1
                                        ; =>  This Inner Loop Header: Depth=2
	s_wait_alu 0xfffe
	s_or_b32 exec_lo, exec_lo, s22
	s_cmp_eq_u32 s74, 0
	v_add_co_u32 v0, vcc_lo, v175, v99
	s_cselect_b32 s67, -1, 0
	s_cmp_lg_u32 s74, 0
	s_wait_alu 0xfffd
	v_add_co_ci_u32_e64 v1, null, 0, v176, vcc_lo
	s_cselect_b32 s22, -1, 0
	s_wait_loadcnt_dscnt 0x0
	s_wait_alu 0xfffe
	s_and_b32 vcc_lo, exec_lo, s22
	s_barrier_signal -1
	s_barrier_wait -1
	global_inv scope:SCOPE_SE
	s_wait_alu 0xfffe
	s_cbranch_vccz .LBB0_121
; %bb.114:                              ;   in Loop: Header=BB0_113 Depth=2
	v_dual_mov_b32 v66, 0 :: v_dual_mov_b32 v65, 0
	v_mov_b32_e32 v64, 0
	s_mov_b32 s75, exec_lo
	v_cmpx_gt_i32_e64 s74, v112
	s_cbranch_execz .LBB0_116
; %bb.115:                              ;   in Loop: Header=BB0_113 Depth=2
	global_load_b64 v[64:65], v[0:1], off offset:-4
.LBB0_116:                              ;   in Loop: Header=BB0_113 Depth=2
	s_wait_alu 0xfffe
	s_or_b32 exec_lo, exec_lo, s75
	v_mov_b32_e32 v67, 0
	s_mov_b32 s75, exec_lo
	v_cmpx_gt_i32_e64 s74, v119
	s_cbranch_execz .LBB0_118
; %bb.117:                              ;   in Loop: Header=BB0_113 Depth=2
	v_add_co_u32 v2, vcc_lo, v183, v99
	s_wait_alu 0xfffd
	v_add_co_ci_u32_e64 v3, null, 0, v184, vcc_lo
	global_load_b64 v[66:67], v[2:3], off offset:-4
.LBB0_118:                              ;   in Loop: Header=BB0_113 Depth=2
	s_wait_alu 0xfffe
	s_or_b32 exec_lo, exec_lo, s75
	v_dual_mov_b32 v68, 0 :: v_dual_mov_b32 v69, 0
	s_mov_b32 s75, exec_lo
	v_cmpx_gt_i32_e64 s74, v120
	s_cbranch_execz .LBB0_120
; %bb.119:                              ;   in Loop: Header=BB0_113 Depth=2
	v_add_co_u32 v2, vcc_lo, v179, v99
	s_wait_alu 0xfffd
	v_add_co_ci_u32_e64 v3, null, 0, v180, vcc_lo
	global_load_b64 v[68:69], v[2:3], off
.LBB0_120:                              ;   in Loop: Header=BB0_113 Depth=2
	s_wait_alu 0xfffe
	s_or_b32 exec_lo, exec_lo, s75
	v_cmp_gt_i32_e64 s75, s74, v121
	s_branch .LBB0_123
.LBB0_121:                              ;   in Loop: Header=BB0_113 Depth=2
	s_mov_b32 s75, 0
                                        ; implicit-def: $vgpr65
                                        ; implicit-def: $vgpr67
                                        ; implicit-def: $vgpr69
	s_cbranch_execz .LBB0_123
; %bb.122:                              ;   in Loop: Header=BB0_113 Depth=2
	v_add_co_u32 v2, vcc_lo, v183, v99
	s_wait_alu 0xfffd
	v_add_co_ci_u32_e64 v3, null, 0, v184, vcc_lo
	v_add_co_u32 v4, vcc_lo, v179, v99
	s_wait_alu 0xfffd
	v_add_co_ci_u32_e64 v5, null, 0, v180, vcc_lo
	s_wait_loadcnt 0x0
	global_load_b64 v[64:65], v[0:1], off offset:-4
	global_load_b64 v[66:67], v[2:3], off offset:-4
	global_load_b64 v[68:69], v[4:5], off
	s_wait_alu 0xfffe
	s_or_b32 s75, s75, exec_lo
.LBB0_123:                              ;   in Loop: Header=BB0_113 Depth=2
	v_dual_mov_b32 v70, 0 :: v_dual_mov_b32 v71, 0
	s_wait_alu 0xfffe
	s_delay_alu instid0(VALU_DEP_2)
	s_and_saveexec_b32 s76, s75
	s_cbranch_execz .LBB0_125
; %bb.124:                              ;   in Loop: Header=BB0_113 Depth=2
	v_add_co_u32 v0, vcc_lo, v187, v99
	s_wait_alu 0xfffd
	v_add_co_ci_u32_e64 v1, null, 0, v188, vcc_lo
	global_load_b64 v[70:71], v[0:1], off offset:-4
.LBB0_125:                              ;   in Loop: Header=BB0_113 Depth=2
	s_wait_alu 0xfffe
	s_or_b32 exec_lo, exec_lo, s76
	ds_load_b64 v[4:5], v100
	ds_load_b128 v[0:3], v114
	v_cndmask_b32_e64 v40, 0, 1, s22
	s_wait_loadcnt_dscnt 0x1
	v_dual_mul_f32 v8, v65, v5 :: v_dual_mul_f32 v7, v67, v4
	v_mul_f32_e32 v6, v65, v4
	v_dual_mul_f32 v10, v67, v5 :: v_dual_mul_f32 v13, v69, v4
	v_dual_mul_f32 v12, v69, v5 :: v_dual_mul_f32 v15, v71, v4
	v_mul_f32_e32 v14, v71, v5
	v_fmac_f32_e32 v8, v64, v4
	v_fma_f32 v9, v64, v5, -v6
	v_fmac_f32_e32 v10, v66, v4
	v_fma_f32 v11, v66, v5, -v7
	;; [unrolled: 2-line block ×4, first 2 shown]
	ds_load_b128 v[4:7], v114 offset:16
	ds_store_2addr_b64 v115, v[8:9], v[10:11] offset1:67
	ds_store_2addr_b64 v115, v[12:13], v[14:15] offset0:134 offset1:201
	s_wait_dscnt 0x0
	s_barrier_signal -1
	s_barrier_wait -1
	global_inv scope:SCOPE_SE
	ds_load_2addr_b64 v[16:19], v116 offset1:1
	ds_load_2addr_b64 v[8:11], v116 offset0:2 offset1:3
	v_add_co_u32 v12, vcc_lo, v191, v99
	s_wait_alu 0xfffd
	v_add_co_ci_u32_e64 v13, null, 0, v192, vcc_lo
	s_and_not1_b32 vcc_lo, exec_lo, s22
	s_wait_loadcnt_dscnt 0x0
	s_barrier_signal -1
	s_barrier_wait -1
	global_inv scope:SCOPE_SE
	s_wait_alu 0xfffe
	s_cbranch_vccnz .LBB0_133
; %bb.126:                              ;   in Loop: Header=BB0_113 Depth=2
	v_dual_mov_b32 v72, 0 :: v_dual_mov_b32 v75, 0
	v_mov_b32_e32 v74, 0
	s_mov_b32 s22, exec_lo
	v_cmpx_gt_i32_e64 s74, v122
	s_cbranch_execz .LBB0_128
; %bb.127:                              ;   in Loop: Header=BB0_113 Depth=2
	global_load_b64 v[74:75], v[12:13], off offset:-4
.LBB0_128:                              ;   in Loop: Header=BB0_113 Depth=2
	s_wait_alu 0xfffe
	s_or_b32 exec_lo, exec_lo, s22
	v_mov_b32_e32 v73, 0
	s_mov_b32 s22, exec_lo
	v_cmpx_gt_i32_e64 s74, v123
	s_cbranch_execz .LBB0_130
; %bb.129:                              ;   in Loop: Header=BB0_113 Depth=2
	v_add_co_u32 v14, vcc_lo, v195, v99
	s_wait_alu 0xfffd
	v_add_co_ci_u32_e64 v15, null, 0, v196, vcc_lo
	global_load_b64 v[72:73], v[14:15], off offset:-4
.LBB0_130:                              ;   in Loop: Header=BB0_113 Depth=2
	s_wait_alu 0xfffe
	s_or_b32 exec_lo, exec_lo, s22
	v_dual_mov_b32 v76, 0 :: v_dual_mov_b32 v77, 0
	s_mov_b32 s22, exec_lo
	v_cmpx_gt_i32_e64 s74, v124
	s_cbranch_execz .LBB0_132
; %bb.131:                              ;   in Loop: Header=BB0_113 Depth=2
	v_add_co_u32 v14, vcc_lo, v199, v99
	s_wait_alu 0xfffd
	v_add_co_ci_u32_e64 v15, null, 0, v200, vcc_lo
	global_load_b64 v[76:77], v[14:15], off offset:-4
.LBB0_132:                              ;   in Loop: Header=BB0_113 Depth=2
	s_wait_alu 0xfffe
	s_or_b32 exec_lo, exec_lo, s22
	v_cmp_gt_i32_e64 s22, s74, v125
	s_branch .LBB0_135
.LBB0_133:                              ;   in Loop: Header=BB0_113 Depth=2
	s_mov_b32 s22, 0
                                        ; implicit-def: $vgpr75
                                        ; implicit-def: $vgpr73
                                        ; implicit-def: $vgpr77
	s_cbranch_execz .LBB0_135
; %bb.134:                              ;   in Loop: Header=BB0_113 Depth=2
	v_add_co_u32 v14, vcc_lo, v195, v99
	s_wait_alu 0xfffd
	v_add_co_ci_u32_e64 v15, null, 0, v196, vcc_lo
	v_add_co_u32 v20, vcc_lo, v199, v99
	s_wait_alu 0xfffd
	v_add_co_ci_u32_e64 v21, null, 0, v200, vcc_lo
	s_wait_loadcnt 0x0
	global_load_b64 v[74:75], v[12:13], off offset:-4
	global_load_b64 v[72:73], v[14:15], off offset:-4
	;; [unrolled: 1-line block ×3, first 2 shown]
	s_wait_alu 0xfffe
	s_or_b32 s22, s22, exec_lo
.LBB0_135:                              ;   in Loop: Header=BB0_113 Depth=2
	v_dual_mov_b32 v78, 0 :: v_dual_mov_b32 v79, 0
	s_wait_alu 0xfffe
	s_delay_alu instid0(VALU_DEP_2)
	s_and_saveexec_b32 s75, s22
	s_cbranch_execz .LBB0_137
; %bb.136:                              ;   in Loop: Header=BB0_113 Depth=2
	v_add_co_u32 v12, vcc_lo, v203, v99
	s_wait_alu 0xfffd
	v_add_co_ci_u32_e64 v13, null, 0, v204, vcc_lo
	global_load_b64 v[78:79], v[12:13], off offset:-4
.LBB0_137:                              ;   in Loop: Header=BB0_113 Depth=2
	s_wait_alu 0xfffe
	s_or_b32 exec_lo, exec_lo, s75
	ds_load_b64 v[20:21], v100
	ds_load_b128 v[12:15], v114 offset:128
	v_cmp_ne_u32_e32 vcc_lo, 1, v40
	s_and_b32 vcc_lo, exec_lo, vcc_lo
	s_wait_loadcnt_dscnt 0x1
	v_dual_mul_f32 v24, v75, v21 :: v_dual_mul_f32 v23, v73, v20
	v_mul_f32_e32 v22, v75, v20
	v_dual_mul_f32 v26, v73, v21 :: v_dual_mul_f32 v31, v79, v20
	v_mul_f32_e32 v28, v77, v21
	v_dual_mul_f32 v29, v77, v20 :: v_dual_mul_f32 v30, v79, v21
	v_fmac_f32_e32 v24, v74, v20
	v_fma_f32 v25, v74, v21, -v22
	v_fmac_f32_e32 v26, v72, v20
	v_fma_f32 v27, v72, v21, -v23
	;; [unrolled: 2-line block ×4, first 2 shown]
	ds_load_b128 v[20:23], v114 offset:144
	ds_store_2addr_b64 v115, v[24:25], v[26:27] offset1:67
	ds_store_2addr_b64 v115, v[28:29], v[30:31] offset0:134 offset1:201
	s_wait_dscnt 0x0
	s_barrier_signal -1
	s_barrier_wait -1
	global_inv scope:SCOPE_SE
	ds_load_2addr_b64 v[36:39], v116 offset1:1
	ds_load_2addr_b64 v[32:35], v116 offset0:2 offset1:3
	v_add_co_u32 v24, s22, v205, v99
	s_wait_alu 0xf1ff
	v_add_co_ci_u32_e64 v25, null, 0, v206, s22
	s_wait_loadcnt_dscnt 0x0
	s_barrier_signal -1
	s_barrier_wait -1
	global_inv scope:SCOPE_SE
	s_wait_alu 0xfffe
	s_cbranch_vccnz .LBB0_145
; %bb.138:                              ;   in Loop: Header=BB0_113 Depth=2
	v_dual_mov_b32 v80, 0 :: v_dual_mov_b32 v83, 0
	v_mov_b32_e32 v82, 0
	s_mov_b32 s22, exec_lo
	v_cmpx_gt_i32_e64 s74, v126
	s_cbranch_execz .LBB0_140
; %bb.139:                              ;   in Loop: Header=BB0_113 Depth=2
	global_load_b64 v[82:83], v[24:25], off offset:-4
.LBB0_140:                              ;   in Loop: Header=BB0_113 Depth=2
	s_wait_alu 0xfffe
	s_or_b32 exec_lo, exec_lo, s22
	v_mov_b32_e32 v81, 0
	s_mov_b32 s22, exec_lo
	v_cmpx_gt_i32_e64 s74, v127
	s_cbranch_execz .LBB0_142
; %bb.141:                              ;   in Loop: Header=BB0_113 Depth=2
	v_add_co_u32 v26, vcc_lo, v201, v99
	s_wait_alu 0xfffd
	v_add_co_ci_u32_e64 v27, null, 0, v202, vcc_lo
	global_load_b64 v[80:81], v[26:27], off
.LBB0_142:                              ;   in Loop: Header=BB0_113 Depth=2
	s_wait_alu 0xfffe
	s_or_b32 exec_lo, exec_lo, s22
	v_dual_mov_b32 v84, 0 :: v_dual_mov_b32 v85, 0
	s_mov_b32 s22, exec_lo
	v_cmpx_gt_i32_e64 s74, v128
	s_cbranch_execz .LBB0_144
; %bb.143:                              ;   in Loop: Header=BB0_113 Depth=2
	v_add_co_u32 v26, vcc_lo, v197, v99
	s_wait_alu 0xfffd
	v_add_co_ci_u32_e64 v27, null, 0, v198, vcc_lo
	global_load_b64 v[84:85], v[26:27], off
.LBB0_144:                              ;   in Loop: Header=BB0_113 Depth=2
	s_wait_alu 0xfffe
	s_or_b32 exec_lo, exec_lo, s22
	v_cmp_gt_i32_e64 s22, s74, v129
	s_branch .LBB0_147
.LBB0_145:                              ;   in Loop: Header=BB0_113 Depth=2
	s_mov_b32 s22, 0
                                        ; implicit-def: $vgpr83
                                        ; implicit-def: $vgpr81
                                        ; implicit-def: $vgpr85
	s_cbranch_execz .LBB0_147
; %bb.146:                              ;   in Loop: Header=BB0_113 Depth=2
	v_add_co_u32 v26, vcc_lo, v201, v99
	s_wait_alu 0xfffd
	v_add_co_ci_u32_e64 v27, null, 0, v202, vcc_lo
	v_add_co_u32 v28, vcc_lo, v197, v99
	s_wait_alu 0xfffd
	v_add_co_ci_u32_e64 v29, null, 0, v198, vcc_lo
	s_wait_loadcnt 0x0
	global_load_b64 v[82:83], v[24:25], off offset:-4
	global_load_b64 v[80:81], v[26:27], off
	global_load_b64 v[84:85], v[28:29], off
	s_wait_alu 0xfffe
	s_or_b32 s22, s22, exec_lo
.LBB0_147:                              ;   in Loop: Header=BB0_113 Depth=2
	v_dual_mov_b32 v86, 0 :: v_dual_mov_b32 v87, 0
	s_wait_alu 0xfffe
	s_delay_alu instid0(VALU_DEP_2)
	s_and_saveexec_b32 s75, s22
	s_cbranch_execz .LBB0_149
; %bb.148:                              ;   in Loop: Header=BB0_113 Depth=2
	v_add_co_u32 v24, vcc_lo, v193, v99
	s_wait_alu 0xfffd
	v_add_co_ci_u32_e64 v25, null, 0, v194, vcc_lo
	global_load_b64 v[86:87], v[24:25], off
.LBB0_149:                              ;   in Loop: Header=BB0_113 Depth=2
	s_wait_alu 0xfffe
	s_or_b32 exec_lo, exec_lo, s75
	ds_load_b64 v[28:29], v100
	ds_load_b128 v[24:27], v114 offset:256
	v_cmp_ne_u32_e32 vcc_lo, 1, v40
	v_add_co_u32 v40, s22, v189, v99
	s_and_b32 vcc_lo, exec_lo, vcc_lo
	s_wait_loadcnt_dscnt 0x1
	v_dual_mul_f32 v41, v83, v29 :: v_dual_mul_f32 v46, v85, v28
	v_dual_mul_f32 v30, v83, v28 :: v_dual_mul_f32 v43, v81, v29
	v_mul_f32_e32 v31, v81, v28
	v_dual_mul_f32 v45, v85, v29 :: v_dual_mul_f32 v48, v87, v28
	v_mul_f32_e32 v47, v87, v29
	v_fmac_f32_e32 v41, v82, v28
	v_fma_f32 v42, v82, v29, -v30
	v_fmac_f32_e32 v43, v80, v28
	v_fma_f32 v44, v80, v29, -v31
	;; [unrolled: 2-line block ×4, first 2 shown]
	ds_load_b128 v[28:31], v114 offset:272
	ds_store_2addr_b64 v115, v[41:42], v[43:44] offset1:67
	ds_store_2addr_b64 v115, v[45:46], v[47:48] offset0:134 offset1:201
	s_wait_dscnt 0x0
	s_barrier_signal -1
	s_barrier_wait -1
	global_inv scope:SCOPE_SE
	ds_load_2addr_b64 v[52:55], v116 offset1:1
	ds_load_2addr_b64 v[48:51], v116 offset0:2 offset1:3
	s_wait_alu 0xf1ff
	v_add_co_ci_u32_e64 v41, null, 0, v190, s22
	s_wait_loadcnt_dscnt 0x0
	s_barrier_signal -1
	s_barrier_wait -1
	global_inv scope:SCOPE_SE
	s_wait_alu 0xfffe
	s_cbranch_vccnz .LBB0_157
; %bb.150:                              ;   in Loop: Header=BB0_113 Depth=2
	v_dual_mov_b32 v90, 0 :: v_dual_mov_b32 v89, 0
	v_mov_b32_e32 v88, 0
	s_mov_b32 s22, exec_lo
	v_cmpx_gt_i32_e64 s74, v130
	s_cbranch_execz .LBB0_152
; %bb.151:                              ;   in Loop: Header=BB0_113 Depth=2
	global_load_b64 v[88:89], v[40:41], off
.LBB0_152:                              ;   in Loop: Header=BB0_113 Depth=2
	s_wait_alu 0xfffe
	s_or_b32 exec_lo, exec_lo, s22
	v_mov_b32_e32 v91, 0
	s_mov_b32 s22, exec_lo
	v_cmpx_gt_i32_e64 s74, v131
	s_cbranch_execz .LBB0_154
; %bb.153:                              ;   in Loop: Header=BB0_113 Depth=2
	v_add_co_u32 v42, vcc_lo, v185, v99
	s_wait_alu 0xfffd
	v_add_co_ci_u32_e64 v43, null, 0, v186, vcc_lo
	global_load_b64 v[90:91], v[42:43], off
.LBB0_154:                              ;   in Loop: Header=BB0_113 Depth=2
	s_wait_alu 0xfffe
	s_or_b32 exec_lo, exec_lo, s22
	v_dual_mov_b32 v92, 0 :: v_dual_mov_b32 v93, 0
	s_mov_b32 s22, exec_lo
	v_cmpx_gt_i32_e64 s74, v132
	s_cbranch_execz .LBB0_156
; %bb.155:                              ;   in Loop: Header=BB0_113 Depth=2
	v_add_co_u32 v42, vcc_lo, v181, v99
	s_wait_alu 0xfffd
	v_add_co_ci_u32_e64 v43, null, 0, v182, vcc_lo
	global_load_b64 v[92:93], v[42:43], off
.LBB0_156:                              ;   in Loop: Header=BB0_113 Depth=2
	s_wait_alu 0xfffe
	s_or_b32 exec_lo, exec_lo, s22
	v_cmp_gt_i32_e64 s22, s74, v133
	s_branch .LBB0_159
.LBB0_157:                              ;   in Loop: Header=BB0_113 Depth=2
	s_mov_b32 s22, 0
                                        ; implicit-def: $vgpr89
                                        ; implicit-def: $vgpr91
                                        ; implicit-def: $vgpr93
	s_cbranch_execz .LBB0_159
; %bb.158:                              ;   in Loop: Header=BB0_113 Depth=2
	v_add_co_u32 v42, vcc_lo, v185, v99
	s_wait_alu 0xfffd
	v_add_co_ci_u32_e64 v43, null, 0, v186, vcc_lo
	v_add_co_u32 v44, vcc_lo, v181, v99
	s_wait_alu 0xfffd
	v_add_co_ci_u32_e64 v45, null, 0, v182, vcc_lo
	s_wait_loadcnt 0x0
	global_load_b64 v[88:89], v[40:41], off
	global_load_b64 v[90:91], v[42:43], off
	;; [unrolled: 1-line block ×3, first 2 shown]
	s_wait_alu 0xfffe
	s_or_b32 s22, s22, exec_lo
.LBB0_159:                              ;   in Loop: Header=BB0_113 Depth=2
	v_dual_mov_b32 v94, 0 :: v_dual_mov_b32 v95, 0
	s_wait_alu 0xfffe
	s_delay_alu instid0(VALU_DEP_2)
	s_and_saveexec_b32 s75, s22
	s_cbranch_execz .LBB0_161
; %bb.160:                              ;   in Loop: Header=BB0_113 Depth=2
	v_add_co_u32 v40, vcc_lo, v177, v99
	s_wait_alu 0xfffd
	v_add_co_ci_u32_e64 v41, null, 0, v178, vcc_lo
	global_load_b64 v[94:95], v[40:41], off
.LBB0_161:                              ;   in Loop: Header=BB0_113 Depth=2
	s_wait_alu 0xfffe
	s_or_b32 exec_lo, exec_lo, s75
	ds_load_b64 v[44:45], v100
	ds_load_b128 v[40:43], v114 offset:384
	v_dual_add_f32 v53, 0, v53 :: v_dual_add_f32 v16, 0, v16
	v_cmp_gt_i32_e32 vcc_lo, s74, v96
	v_add_f32_e32 v52, 0, v52
	v_add_f32_e32 v36, 0, v36
	s_delay_alu instid0(VALU_DEP_4)
	v_add_f32_e32 v16, v16, v18
	s_or_b32 s22, s67, vcc_lo
	s_wait_alu 0xfffe
	s_and_b32 s67, s21, s22
	v_dual_add_f32 v36, v36, v38 :: v_dual_add_f32 v17, 0, v17
	v_add_f32_e32 v38, v16, v8
	s_delay_alu instid0(VALU_DEP_2) | instskip(SKIP_1) | instid1(VALU_DEP_2)
	v_dual_add_f32 v32, v36, v32 :: v_dual_add_f32 v17, v17, v19
	s_wait_loadcnt_dscnt 0x1
	v_dual_add_f32 v10, v38, v10 :: v_dual_mul_f32 v211, v93, v45
	v_mul_f32_e32 v57, v93, v44
	v_dual_mul_f32 v207, v89, v45 :: v_dual_mul_f32 v214, v95, v44
	v_dual_mul_f32 v46, v89, v44 :: v_dual_mul_f32 v209, v91, v45
	v_mul_f32_e32 v47, v91, v44
	v_mul_f32_e32 v213, v95, v45
	v_fma_f32 v212, v92, v45, -v57
	v_add_f32_e32 v57, v52, v54
	v_fma_f32 v208, v88, v45, -v46
	v_fmac_f32_e32 v209, v90, v44
	v_fma_f32 v210, v90, v45, -v47
	s_delay_alu instid0(VALU_DEP_4)
	v_dual_add_f32 v37, 0, v37 :: v_dual_add_f32 v18, v57, v48
	v_fmac_f32_e32 v207, v88, v44
	v_fmac_f32_e32 v211, v92, v44
	;; [unrolled: 1-line block ×3, first 2 shown]
	v_fma_f32 v214, v94, v45, -v214
	ds_load_b128 v[44:47], v114 offset:400
	v_dual_add_f32 v37, v37, v39 :: v_dual_add_f32 v8, v18, v50
	ds_store_2addr_b64 v115, v[207:208], v[209:210] offset1:67
	ds_store_2addr_b64 v115, v[211:212], v[213:214] offset0:134 offset1:201
	s_wait_dscnt 0x0
	s_barrier_signal -1
	s_barrier_wait -1
	global_inv scope:SCOPE_SE
	ds_load_2addr_b64 v[207:210], v116 offset1:1
	v_dual_add_f32 v211, v53, v55 :: v_dual_add_f32 v16, v32, v34
	ds_load_2addr_b64 v[52:55], v116 offset0:2 offset1:3
	v_add_f32_e32 v33, v37, v33
	v_add_f32_e32 v39, v17, v9
	s_wait_loadcnt_dscnt 0x0
	s_barrier_signal -1
	s_barrier_wait -1
	v_add_f32_e32 v17, v33, v35
	v_add_f32_e32 v11, v39, v11
	global_inv scope:SCOPE_SE
	v_dual_add_f32 v36, 0, v207 :: v_dual_add_f32 v37, 0, v208
	s_delay_alu instid0(VALU_DEP_1) | instskip(NEXT) | instid1(VALU_DEP_2)
	v_add_f32_e32 v18, v36, v209
	v_add_f32_e32 v36, v37, v210
	s_delay_alu instid0(VALU_DEP_2) | instskip(NEXT) | instid1(VALU_DEP_1)
	v_dual_add_f32 v18, v18, v52 :: v_dual_add_f32 v19, v211, v49
	v_dual_add_f32 v18, v18, v54 :: v_dual_add_f32 v9, v19, v51
	s_delay_alu instid0(VALU_DEP_3) | instskip(NEXT) | instid1(VALU_DEP_1)
	v_add_f32_e32 v19, v36, v53
	v_add_f32_e32 v19, v19, v55
	ds_store_2addr_b64 v168, v[10:11], v[16:17] offset1:16
	ds_store_2addr_b64 v168, v[8:9], v[18:19] offset0:32 offset1:48
	s_wait_loadcnt_dscnt 0x0
	s_barrier_signal -1
	s_barrier_wait -1
	global_inv scope:SCOPE_SE
	s_wait_alu 0xfffe
	s_and_saveexec_b32 s22, s67
	s_cbranch_execz .LBB0_163
; %bb.162:                              ;   in Loop: Header=BB0_113 Depth=2
	ds_load_b64 v[36:37], v117
	ds_load_2addr_b64 v[8:11], v117 offset0:1 offset1:2
	ds_load_2addr_b64 v[16:19], v117 offset0:3 offset1:4
	ds_load_2addr_b64 v[32:35], v117 offset0:5 offset1:6
	s_wait_dscnt 0x2
	v_dual_add_f32 v8, v8, v36 :: v_dual_add_f32 v9, v9, v37
	s_delay_alu instid0(VALU_DEP_1) | instskip(SKIP_3) | instid1(VALU_DEP_1)
	v_dual_add_f32 v36, v10, v8 :: v_dual_add_f32 v37, v11, v9
	ds_load_2addr_b64 v[8:11], v117 offset0:7 offset1:8
	s_wait_dscnt 0x2
	v_dual_add_f32 v16, v36, v16 :: v_dual_add_f32 v17, v37, v17
	v_dual_add_f32 v36, v16, v18 :: v_dual_add_f32 v37, v17, v19
	ds_load_2addr_b64 v[16:19], v117 offset0:9 offset1:10
	s_wait_dscnt 0x2
	v_dual_add_f32 v32, v36, v32 :: v_dual_add_f32 v33, v37, v33
	s_delay_alu instid0(VALU_DEP_1) | instskip(SKIP_3) | instid1(VALU_DEP_1)
	v_dual_add_f32 v36, v32, v34 :: v_dual_add_f32 v37, v33, v35
	ds_load_2addr_b64 v[32:35], v117 offset0:11 offset1:12
	s_wait_dscnt 0x2
	v_dual_add_f32 v8, v36, v8 :: v_dual_add_f32 v9, v37, v9
	v_dual_add_f32 v36, v8, v10 :: v_dual_add_f32 v37, v9, v11
	ds_load_2addr_b64 v[8:11], v117 offset0:13 offset1:14
	s_wait_dscnt 0x2
	v_dual_add_f32 v16, v36, v16 :: v_dual_add_f32 v17, v37, v17
	s_delay_alu instid0(VALU_DEP_1) | instskip(SKIP_3) | instid1(VALU_DEP_1)
	v_dual_add_f32 v18, v16, v18 :: v_dual_add_f32 v19, v17, v19
	ds_load_b64 v[16:17], v118
	s_wait_dscnt 0x2
	v_dual_add_f32 v18, v18, v32 :: v_dual_add_f32 v19, v19, v33
	v_dual_add_f32 v32, v18, v34 :: v_dual_add_f32 v19, v19, v35
	s_wait_dscnt 0x1
	s_delay_alu instid0(VALU_DEP_1) | instskip(NEXT) | instid1(VALU_DEP_2)
	v_dual_add_f32 v9, v19, v9 :: v_dual_add_nc_u32 v18, s66, v96
	v_add_f32_e32 v8, v32, v8
	s_delay_alu instid0(VALU_DEP_2) | instskip(NEXT) | instid1(VALU_DEP_2)
	v_ashrrev_i32_e32 v19, 31, v18
	v_dual_add_f32 v11, v9, v11 :: v_dual_add_f32 v10, v8, v10
	s_delay_alu instid0(VALU_DEP_2) | instskip(SKIP_1) | instid1(VALU_DEP_2)
	v_lshlrev_b64_e32 v[8:9], 3, v[18:19]
	s_wait_dscnt 0x0
	v_dual_add_f32 v11, v11, v17 :: v_dual_add_f32 v10, v10, v16
	s_delay_alu instid0(VALU_DEP_2) | instskip(SKIP_1) | instid1(VALU_DEP_3)
	v_add_co_u32 v8, vcc_lo, s64, v8
	s_wait_alu 0xfffd
	v_add_co_ci_u32_e64 v9, null, s65, v9, vcc_lo
	global_store_b64 v[8:9], v[10:11], off
.LBB0_163:                              ;   in Loop: Header=BB0_113 Depth=2
	s_wait_alu 0xfffe
	s_or_b32 exec_lo, exec_lo, s22
	v_dual_mul_f32 v8, v65, v1 :: v_dual_mul_f32 v9, v67, v3
	v_dual_mul_f32 v3, v66, v3 :: v_dual_mul_f32 v10, v69, v5
	v_add_co_u32 v175, vcc_lo, v175, s44
	s_delay_alu instid0(VALU_DEP_3)
	v_fma_f32 v8, v64, v0, -v8
	v_mul_f32_e32 v1, v64, v1
	v_fma_f32 v9, v66, v2, -v9
	v_fmac_f32_e32 v3, v67, v2
	v_mul_f32_e32 v16, v75, v13
	v_dual_add_f32 v8, v62, v8 :: v_dual_mul_f32 v11, v71, v7
	v_fmac_f32_e32 v1, v65, v0
	v_fma_f32 v0, v68, v4, -v10
	s_delay_alu instid0(VALU_DEP_3)
	v_dual_mul_f32 v7, v70, v7 :: v_dual_add_f32 v8, v8, v9
	v_mul_f32_e32 v13, v74, v13
	v_fma_f32 v2, v70, v6, -v11
	s_wait_alu 0xfffd
	v_add_co_ci_u32_e64 v176, null, s45, v176, vcc_lo
	v_dual_add_f32 v0, v8, v0 :: v_dual_mul_f32 v9, v73, v15
	v_mul_f32_e32 v8, v72, v15
	v_mul_f32_e32 v5, v68, v5
	v_add_co_u32 v177, vcc_lo, v177, s44
	s_delay_alu instid0(VALU_DEP_4)
	v_dual_add_f32 v0, v0, v2 :: v_dual_add_f32 v1, v63, v1
	v_mul_f32_e32 v2, v77, v21
	v_fmac_f32_e32 v8, v73, v14
	v_fmac_f32_e32 v5, v69, v4
	v_fma_f32 v4, v72, v14, -v9
	v_add_f32_e32 v1, v1, v3
	v_fma_f32 v3, v74, v12, -v16
	v_fma_f32 v2, v76, v20, -v2
	s_wait_alu 0xfffd
	v_add_co_ci_u32_e64 v178, null, s45, v178, vcc_lo
	v_add_co_u32 v179, vcc_lo, v179, s44
	v_add_f32_e32 v0, v0, v3
	v_mul_f32_e32 v3, v79, v23
	s_wait_alu 0xfffd
	v_add_co_ci_u32_e64 v180, null, s45, v180, vcc_lo
	v_add_co_u32 v181, vcc_lo, v181, s44
	v_add_f32_e32 v0, v0, v4
	v_dual_mul_f32 v4, v76, v21 :: v_dual_fmac_f32 v7, v71, v6
	v_add_f32_e32 v1, v1, v5
	s_wait_alu 0xfffd
	v_add_co_ci_u32_e64 v182, null, s45, v182, vcc_lo
	v_dual_add_f32 v0, v0, v2 :: v_dual_fmac_f32 v13, v75, v12
	v_mul_f32_e32 v2, v83, v25
	v_fmac_f32_e32 v4, v77, v20
	v_add_f32_e32 v1, v1, v7
	v_add_co_u32 v183, vcc_lo, v183, s44
	s_delay_alu instid0(VALU_DEP_4)
	v_fma_f32 v2, v82, v24, -v2
	s_wait_alu 0xfffd
	v_add_co_ci_u32_e64 v184, null, s45, v184, vcc_lo
	v_add_f32_e32 v1, v1, v13
	v_add_co_u32 v185, vcc_lo, v185, s44
	s_wait_alu 0xfffd
	v_add_co_ci_u32_e64 v186, null, s45, v186, vcc_lo
	s_delay_alu instid0(VALU_DEP_3) | instskip(SKIP_3) | instid1(VALU_DEP_3)
	v_add_f32_e32 v1, v1, v8
	v_add_co_u32 v187, vcc_lo, v187, s44
	s_wait_alu 0xfffd
	v_add_co_ci_u32_e64 v188, null, s45, v188, vcc_lo
	v_dual_add_f32 v1, v1, v4 :: v_dual_mul_f32 v4, v82, v25
	v_mul_f32_e32 v5, v78, v23
	v_fma_f32 v3, v78, v22, -v3
	v_add_co_u32 v189, vcc_lo, v189, s44
	s_delay_alu instid0(VALU_DEP_4) | instskip(NEXT) | instid1(VALU_DEP_3)
	v_fmac_f32_e32 v4, v83, v24
	v_dual_fmac_f32 v5, v79, v22 :: v_dual_add_f32 v0, v0, v3
	v_mul_f32_e32 v3, v81, v27
	v_mul_f32_e32 v6, v94, v47
	s_wait_alu 0xfffd
	v_add_co_ci_u32_e64 v190, null, s45, v190, vcc_lo
	v_add_f32_e32 v1, v1, v5
	v_mul_f32_e32 v5, v80, v27
	v_add_f32_e32 v0, v0, v2
	v_fmac_f32_e32 v6, v95, v46
	v_add_co_u32 v191, vcc_lo, v191, s44
	v_add_f32_e32 v1, v1, v4
	v_dual_fmac_f32 v5, v81, v26 :: v_dual_mul_f32 v4, v84, v29
	v_fma_f32 v2, v80, v26, -v3
	v_mul_f32_e32 v3, v85, v29
	s_wait_alu 0xfffd
	v_add_co_ci_u32_e64 v192, null, s45, v192, vcc_lo
	v_add_f32_e32 v1, v1, v5
	v_dual_fmac_f32 v4, v85, v28 :: v_dual_mul_f32 v5, v86, v31
	v_add_f32_e32 v0, v0, v2
	v_fma_f32 v2, v84, v28, -v3
	v_mul_f32_e32 v3, v87, v31
	s_delay_alu instid0(VALU_DEP_4) | instskip(SKIP_1) | instid1(VALU_DEP_4)
	v_add_f32_e32 v1, v1, v4
	v_dual_fmac_f32 v5, v87, v30 :: v_dual_mul_f32 v4, v88, v41
	v_add_f32_e32 v0, v0, v2
	s_delay_alu instid0(VALU_DEP_4) | instskip(SKIP_1) | instid1(VALU_DEP_4)
	v_fma_f32 v2, v86, v30, -v3
	v_add_co_u32 v193, vcc_lo, v193, s44
	v_add_f32_e32 v1, v1, v5
	v_fmac_f32_e32 v4, v89, v40
	s_delay_alu instid0(VALU_DEP_4) | instskip(SKIP_2) | instid1(VALU_DEP_3)
	v_dual_mul_f32 v5, v93, v45 :: v_dual_add_f32 v0, v0, v2
	s_wait_alu 0xfffd
	v_add_co_ci_u32_e64 v194, null, s45, v194, vcc_lo
	v_add_f32_e32 v1, v1, v4
	s_delay_alu instid0(VALU_DEP_3)
	v_fma_f32 v4, v92, v44, -v5
	v_mul_f32_e32 v3, v89, v41
	v_add_co_u32 v195, vcc_lo, v195, s44
	v_mul_f32_e32 v5, v95, v47
	s_wait_alu 0xfffd
	v_add_co_ci_u32_e64 v196, null, s45, v196, vcc_lo
	v_fma_f32 v2, v88, v40, -v3
	v_mul_f32_e32 v3, v91, v43
	v_add_co_u32 v197, vcc_lo, v197, s44
	s_wait_alu 0xfffd
	v_add_co_ci_u32_e64 v198, null, s45, v198, vcc_lo
	v_add_f32_e32 v0, v0, v2
	v_fma_f32 v2, v90, v42, -v3
	v_mul_f32_e32 v3, v90, v43
	v_add_co_u32 v199, vcc_lo, v199, s44
	s_wait_alu 0xfffd
	v_add_co_ci_u32_e64 v200, null, s45, v200, vcc_lo
	v_add_f32_e32 v0, v0, v2
	v_dual_mul_f32 v2, v92, v45 :: v_dual_fmac_f32 v3, v91, v42
	v_add_co_u32 v201, vcc_lo, v201, s44
	s_delay_alu instid0(VALU_DEP_3) | instskip(NEXT) | instid1(VALU_DEP_3)
	v_add_f32_e32 v0, v0, v4
	v_fmac_f32_e32 v2, v93, v44
	s_delay_alu instid0(VALU_DEP_4)
	v_add_f32_e32 v1, v1, v3
	v_fma_f32 v3, v94, v46, -v5
	s_wait_alu 0xfffd
	v_add_co_ci_u32_e64 v202, null, s45, v202, vcc_lo
	v_add_co_u32 v203, vcc_lo, v203, s44
	v_add_f32_e32 v1, v1, v2
	s_wait_alu 0xfffd
	v_add_co_ci_u32_e64 v204, null, s45, v204, vcc_lo
	v_add_co_u32 v205, vcc_lo, v205, s44
	s_delay_alu instid0(VALU_DEP_3)
	v_dual_add_f32 v62, v0, v3 :: v_dual_add_f32 v63, v1, v6
	s_wait_alu 0xfffd
	v_add_co_ci_u32_e64 v206, null, s45, v206, vcc_lo
	s_add_co_i32 s22, s23, 1
	s_add_co_i32 s23, s23, 2
	;; [unrolled: 1-line block ×3, first 2 shown]
	s_wait_alu 0xfffe
	s_cmp_ge_u32 s23, s52
	s_wait_loadcnt 0x0
	s_wait_storecnt 0x0
	s_barrier_signal -1
	s_barrier_wait -1
	global_inv scope:SCOPE_SE
	s_cbranch_scc1 .LBB0_165
; %bb.164:                              ;   in Loop: Header=BB0_113 Depth=2
	s_mov_b32 s23, s22
	s_wait_alu 0xfffe
	s_cmp_eq_u32 s71, s23
	s_cselect_b32 s74, s68, 0
	s_and_saveexec_b32 s22, s0
	s_cbranch_execnz .LBB0_109
	s_branch .LBB0_113
.LBB0_165:                              ;   in Loop: Header=BB0_4 Depth=1
	ds_store_b64 v134, v[62:63]
	s_wait_loadcnt_dscnt 0x0
	s_barrier_signal -1
	s_barrier_wait -1
	global_inv scope:SCOPE_SE
	s_and_saveexec_b32 s22, s72
	s_cbranch_execz .LBB0_2
; %bb.166:                              ;   in Loop: Header=BB0_4 Depth=1
	ds_load_2addr_b64 v[0:3], v99 offset1:67
	ds_load_2addr_b64 v[4:7], v99 offset0:134 offset1:201
	s_wait_dscnt 0x1
	v_dual_add_f32 v0, v2, v0 :: v_dual_add_f32 v1, v3, v1
	s_wait_alu 0xfffe
	v_add_co_u32 v2, vcc_lo, s64, v58
	s_wait_alu 0xfffd
	v_add_co_ci_u32_e64 v3, null, s65, v59, vcc_lo
	s_wait_dscnt 0x0
	v_dual_add_f32 v0, v4, v0 :: v_dual_add_f32 v1, v5, v1
	s_delay_alu instid0(VALU_DEP_1)
	v_dual_add_f32 v0, v0, v6 :: v_dual_add_f32 v1, v1, v7
	global_store_b64 v[2:3], v[0:1], off
	s_branch .LBB0_2
.LBB0_167:                              ;   in Loop: Header=BB0_4 Depth=1
	ds_load_b64 v[3:4], v172
	s_mov_b32 s22, exec_lo
	s_wait_dscnt 0x0
	v_xor_b32_e32 v2, 0x80000000, v4
	ds_store_b32 v105, v3
	s_wait_alu 0xfffe
	s_or_saveexec_b32 s23, s23
	v_mov_b32_e32 v3, v105
	s_wait_alu 0xfffe
	s_xor_b32 exec_lo, exec_lo, s23
	s_cbranch_execz .LBB0_35
.LBB0_168:                              ;   in Loop: Header=BB0_4 Depth=1
	v_dual_mov_b32 v2, 0 :: v_dual_mov_b32 v3, v103
	s_and_not1_b32 s22, s22, exec_lo
	s_and_b32 s64, s9, exec_lo
	s_wait_alu 0xfffe
	s_or_b32 s22, s22, s64
	s_or_b32 exec_lo, exec_lo, s23
	s_wait_alu 0xfffe
	s_and_saveexec_b32 s23, s22
	s_cbranch_execnz .LBB0_36
	s_branch .LBB0_37
.LBB0_169:                              ;   in Loop: Header=BB0_4 Depth=1
	ds_load_b64 v[3:4], v172
	s_mov_b32 s22, exec_lo
	s_wait_dscnt 0x0
	v_xor_b32_e32 v2, 0x80000000, v4
	ds_store_b32 v105, v3
	s_wait_alu 0xfffe
	s_or_saveexec_b32 s23, s23
	v_mov_b32_e32 v3, v105
	s_wait_alu 0xfffe
	s_xor_b32 exec_lo, exec_lo, s23
	s_cbranch_execz .LBB0_73
.LBB0_170:                              ;   in Loop: Header=BB0_4 Depth=1
	v_dual_mov_b32 v2, 0 :: v_dual_mov_b32 v3, v103
	s_and_not1_b32 s22, s22, exec_lo
	s_and_b32 s64, s9, exec_lo
	s_wait_alu 0xfffe
	s_or_b32 s22, s22, s64
	s_or_b32 exec_lo, exec_lo, s23
	s_wait_alu 0xfffe
	s_and_saveexec_b32 s23, s22
	s_cbranch_execnz .LBB0_74
	s_branch .LBB0_75
.LBB0_171:                              ;   in Loop: Header=BB0_4 Depth=1
	global_load_b64 v[4:5], v[0:1], off
	s_wait_loadcnt 0x0
	ds_store_b64 v169, v[4:5]
	s_or_b32 exec_lo, exec_lo, s22
	s_and_saveexec_b32 s22, s3
	s_wait_alu 0xfffe
	s_xor_b32 s22, exec_lo, s22
	s_cbranch_execz .LBB0_18
.LBB0_172:                              ;   in Loop: Header=BB0_4 Depth=1
	v_mov_b32_e32 v57, v56
	ds_store_b64 v169, v[56:57] offset:2112
	s_wait_alu 0xfffe
	s_and_not1_saveexec_b32 s22, s22
	s_cbranch_execz .LBB0_19
.LBB0_173:                              ;   in Loop: Header=BB0_4 Depth=1
	v_add_co_u32 v4, vcc_lo, v0, s50
	s_wait_alu 0xfffd
	v_add_co_ci_u32_e64 v5, null, s51, v1, vcc_lo
	global_load_b64 v[4:5], v[4:5], off
	s_wait_loadcnt 0x0
	ds_store_b64 v169, v[4:5] offset:2112
	s_wait_alu 0xfffe
	s_or_b32 exec_lo, exec_lo, s22
	s_and_saveexec_b32 s22, s4
	s_wait_alu 0xfffe
	s_xor_b32 s22, exec_lo, s22
	s_cbranch_execz .LBB0_20
.LBB0_174:                              ;   in Loop: Header=BB0_4 Depth=1
	v_mov_b32_e32 v57, v56
	ds_store_b64 v169, v[56:57] offset:4224
	s_wait_alu 0xfffe
	s_and_not1_saveexec_b32 s22, s22
	s_cbranch_execz .LBB0_21
.LBB0_175:                              ;   in Loop: Header=BB0_4 Depth=1
	v_add_co_u32 v4, vcc_lo, v0, s54
	s_wait_alu 0xfffd
	v_add_co_ci_u32_e64 v5, null, s55, v1, vcc_lo
	global_load_b64 v[4:5], v[4:5], off
	s_wait_loadcnt 0x0
	ds_store_b64 v169, v[4:5] offset:4224
	s_wait_alu 0xfffe
	s_or_b32 exec_lo, exec_lo, s22
	s_and_saveexec_b32 s22, s5
	s_wait_alu 0xfffe
	s_xor_b32 s22, exec_lo, s22
	s_cbranch_execz .LBB0_22
.LBB0_176:                              ;   in Loop: Header=BB0_4 Depth=1
	v_mov_b32_e32 v57, v56
	ds_store_b64 v169, v[56:57] offset:6336
	s_wait_alu 0xfffe
	s_and_not1_saveexec_b32 s22, s22
	s_cbranch_execnz .LBB0_23
	s_branch .LBB0_24
.LBB0_177:                              ;   in Loop: Header=BB0_4 Depth=1
	global_load_b64 v[6:7], v[0:1], off
	s_wait_loadcnt 0x0
	ds_store_b64 v169, v[6:7]
	s_or_b32 exec_lo, exec_lo, s22
	s_and_saveexec_b32 s22, s17
	s_wait_alu 0xfffe
	s_xor_b32 s22, exec_lo, s22
	s_cbranch_execz .LBB0_56
.LBB0_178:                              ;   in Loop: Header=BB0_4 Depth=1
	v_mov_b32_e32 v57, v56
	ds_store_b64 v169, v[56:57] offset:2112
	s_wait_alu 0xfffe
	s_and_not1_saveexec_b32 s22, s22
	s_cbranch_execz .LBB0_57
.LBB0_179:                              ;   in Loop: Header=BB0_4 Depth=1
	v_add_co_u32 v6, vcc_lo, v0, s50
	s_wait_alu 0xfffd
	v_add_co_ci_u32_e64 v7, null, s51, v1, vcc_lo
	global_load_b64 v[6:7], v[6:7], off
	s_wait_loadcnt 0x0
	ds_store_b64 v169, v[6:7] offset:2112
	s_wait_alu 0xfffe
	s_or_b32 exec_lo, exec_lo, s22
	s_and_saveexec_b32 s22, s18
	s_wait_alu 0xfffe
	s_xor_b32 s22, exec_lo, s22
	s_cbranch_execz .LBB0_58
.LBB0_180:                              ;   in Loop: Header=BB0_4 Depth=1
	v_mov_b32_e32 v57, v56
	ds_store_b64 v169, v[56:57] offset:4224
	s_wait_alu 0xfffe
	s_and_not1_saveexec_b32 s22, s22
	s_cbranch_execz .LBB0_59
.LBB0_181:                              ;   in Loop: Header=BB0_4 Depth=1
	v_add_co_u32 v6, vcc_lo, v0, s54
	s_wait_alu 0xfffd
	v_add_co_ci_u32_e64 v7, null, s55, v1, vcc_lo
	global_load_b64 v[6:7], v[6:7], off
	s_wait_loadcnt 0x0
	ds_store_b64 v169, v[6:7] offset:4224
	s_wait_alu 0xfffe
	s_or_b32 exec_lo, exec_lo, s22
	s_and_saveexec_b32 s22, s19
	s_wait_alu 0xfffe
	s_xor_b32 s22, exec_lo, s22
	s_cbranch_execz .LBB0_60
.LBB0_182:                              ;   in Loop: Header=BB0_4 Depth=1
	v_mov_b32_e32 v57, v56
	ds_store_b64 v169, v[56:57] offset:6336
	s_wait_alu 0xfffe
	s_and_not1_saveexec_b32 s22, s22
	s_cbranch_execnz .LBB0_61
	s_branch .LBB0_62
.LBB0_183:                              ;   in Loop: Header=BB0_4 Depth=1
	global_load_b64 v[6:7], v[4:5], off
	s_wait_loadcnt 0x0
	ds_store_b64 v169, v[6:7]
	s_or_b32 exec_lo, exec_lo, s22
	s_and_saveexec_b32 s22, s17
	s_wait_alu 0xfffe
	s_xor_b32 s22, exec_lo, s22
	s_cbranch_execz .LBB0_94
.LBB0_184:                              ;   in Loop: Header=BB0_4 Depth=1
	v_mov_b32_e32 v57, v56
	ds_store_b64 v169, v[56:57] offset:2112
	s_wait_alu 0xfffe
	s_and_not1_saveexec_b32 s22, s22
	s_cbranch_execz .LBB0_95
.LBB0_185:                              ;   in Loop: Header=BB0_4 Depth=1
	v_add_co_u32 v6, vcc_lo, v4, s50
	s_wait_alu 0xfffd
	v_add_co_ci_u32_e64 v7, null, s51, v5, vcc_lo
	global_load_b64 v[6:7], v[6:7], off
	s_wait_loadcnt 0x0
	ds_store_b64 v169, v[6:7] offset:2112
	s_wait_alu 0xfffe
	s_or_b32 exec_lo, exec_lo, s22
	s_and_saveexec_b32 s22, s18
	s_wait_alu 0xfffe
	s_xor_b32 s22, exec_lo, s22
	s_cbranch_execz .LBB0_96
.LBB0_186:                              ;   in Loop: Header=BB0_4 Depth=1
	v_mov_b32_e32 v57, v56
	ds_store_b64 v169, v[56:57] offset:4224
	s_wait_alu 0xfffe
	s_and_not1_saveexec_b32 s22, s22
	s_cbranch_execz .LBB0_97
.LBB0_187:                              ;   in Loop: Header=BB0_4 Depth=1
	v_add_co_u32 v6, vcc_lo, v4, s54
	s_wait_alu 0xfffd
	v_add_co_ci_u32_e64 v7, null, s55, v5, vcc_lo
	global_load_b64 v[6:7], v[6:7], off
	s_wait_loadcnt 0x0
	ds_store_b64 v169, v[6:7] offset:4224
	s_wait_alu 0xfffe
	s_or_b32 exec_lo, exec_lo, s22
	s_and_saveexec_b32 s22, s19
	s_wait_alu 0xfffe
	s_xor_b32 s22, exec_lo, s22
	s_cbranch_execz .LBB0_98
.LBB0_188:                              ;   in Loop: Header=BB0_4 Depth=1
	v_mov_b32_e32 v57, v56
	ds_store_b64 v169, v[56:57] offset:6336
	s_wait_alu 0xfffe
	s_and_not1_saveexec_b32 s22, s22
	s_cbranch_execnz .LBB0_99
	s_branch .LBB0_100
.LBB0_189:
	s_nop 0
	s_sendmsg sendmsg(MSG_DEALLOC_VGPRS)
	s_endpgm
	.section	.rodata,"a",@progbits
	.p2align	6, 0x0
	.amdhsa_kernel _ZL26rocblas_hemvn_kernel_upperILb1ELi64ELi4ELi33ELi32ELi16ElPK19rocblas_complex_numIfES3_PS1_EviT6_lT7_lT5_lS6_lS7_lS5_lT8_i
		.amdhsa_group_segment_fixed_size 9600
		.amdhsa_private_segment_fixed_size 0
		.amdhsa_kernarg_size 376
		.amdhsa_user_sgpr_count 2
		.amdhsa_user_sgpr_dispatch_ptr 0
		.amdhsa_user_sgpr_queue_ptr 0
		.amdhsa_user_sgpr_kernarg_segment_ptr 1
		.amdhsa_user_sgpr_dispatch_id 0
		.amdhsa_user_sgpr_private_segment_size 0
		.amdhsa_wavefront_size32 1
		.amdhsa_uses_dynamic_stack 0
		.amdhsa_enable_private_segment 0
		.amdhsa_system_sgpr_workgroup_id_x 1
		.amdhsa_system_sgpr_workgroup_id_y 0
		.amdhsa_system_sgpr_workgroup_id_z 1
		.amdhsa_system_sgpr_workgroup_info 0
		.amdhsa_system_vgpr_workitem_id 1
		.amdhsa_next_free_vgpr 215
		.amdhsa_next_free_sgpr 78
		.amdhsa_reserve_vcc 1
		.amdhsa_float_round_mode_32 0
		.amdhsa_float_round_mode_16_64 0
		.amdhsa_float_denorm_mode_32 3
		.amdhsa_float_denorm_mode_16_64 3
		.amdhsa_fp16_overflow 0
		.amdhsa_workgroup_processor_mode 1
		.amdhsa_memory_ordered 1
		.amdhsa_forward_progress 1
		.amdhsa_inst_pref_size 94
		.amdhsa_round_robin_scheduling 0
		.amdhsa_exception_fp_ieee_invalid_op 0
		.amdhsa_exception_fp_denorm_src 0
		.amdhsa_exception_fp_ieee_div_zero 0
		.amdhsa_exception_fp_ieee_overflow 0
		.amdhsa_exception_fp_ieee_underflow 0
		.amdhsa_exception_fp_ieee_inexact 0
		.amdhsa_exception_int_div_zero 0
	.end_amdhsa_kernel
	.section	.text._ZL26rocblas_hemvn_kernel_upperILb1ELi64ELi4ELi33ELi32ELi16ElPK19rocblas_complex_numIfES3_PS1_EviT6_lT7_lT5_lS6_lS7_lS5_lT8_i,"axG",@progbits,_ZL26rocblas_hemvn_kernel_upperILb1ELi64ELi4ELi33ELi32ELi16ElPK19rocblas_complex_numIfES3_PS1_EviT6_lT7_lT5_lS6_lS7_lS5_lT8_i,comdat
.Lfunc_end0:
	.size	_ZL26rocblas_hemvn_kernel_upperILb1ELi64ELi4ELi33ELi32ELi16ElPK19rocblas_complex_numIfES3_PS1_EviT6_lT7_lT5_lS6_lS7_lS5_lT8_i, .Lfunc_end0-_ZL26rocblas_hemvn_kernel_upperILb1ELi64ELi4ELi33ELi32ELi16ElPK19rocblas_complex_numIfES3_PS1_EviT6_lT7_lT5_lS6_lS7_lS5_lT8_i
                                        ; -- End function
	.set _ZL26rocblas_hemvn_kernel_upperILb1ELi64ELi4ELi33ELi32ELi16ElPK19rocblas_complex_numIfES3_PS1_EviT6_lT7_lT5_lS6_lS7_lS5_lT8_i.num_vgpr, 215
	.set _ZL26rocblas_hemvn_kernel_upperILb1ELi64ELi4ELi33ELi32ELi16ElPK19rocblas_complex_numIfES3_PS1_EviT6_lT7_lT5_lS6_lS7_lS5_lT8_i.num_agpr, 0
	.set _ZL26rocblas_hemvn_kernel_upperILb1ELi64ELi4ELi33ELi32ELi16ElPK19rocblas_complex_numIfES3_PS1_EviT6_lT7_lT5_lS6_lS7_lS5_lT8_i.numbered_sgpr, 78
	.set _ZL26rocblas_hemvn_kernel_upperILb1ELi64ELi4ELi33ELi32ELi16ElPK19rocblas_complex_numIfES3_PS1_EviT6_lT7_lT5_lS6_lS7_lS5_lT8_i.num_named_barrier, 0
	.set _ZL26rocblas_hemvn_kernel_upperILb1ELi64ELi4ELi33ELi32ELi16ElPK19rocblas_complex_numIfES3_PS1_EviT6_lT7_lT5_lS6_lS7_lS5_lT8_i.private_seg_size, 0
	.set _ZL26rocblas_hemvn_kernel_upperILb1ELi64ELi4ELi33ELi32ELi16ElPK19rocblas_complex_numIfES3_PS1_EviT6_lT7_lT5_lS6_lS7_lS5_lT8_i.uses_vcc, 1
	.set _ZL26rocblas_hemvn_kernel_upperILb1ELi64ELi4ELi33ELi32ELi16ElPK19rocblas_complex_numIfES3_PS1_EviT6_lT7_lT5_lS6_lS7_lS5_lT8_i.uses_flat_scratch, 0
	.set _ZL26rocblas_hemvn_kernel_upperILb1ELi64ELi4ELi33ELi32ELi16ElPK19rocblas_complex_numIfES3_PS1_EviT6_lT7_lT5_lS6_lS7_lS5_lT8_i.has_dyn_sized_stack, 0
	.set _ZL26rocblas_hemvn_kernel_upperILb1ELi64ELi4ELi33ELi32ELi16ElPK19rocblas_complex_numIfES3_PS1_EviT6_lT7_lT5_lS6_lS7_lS5_lT8_i.has_recursion, 0
	.set _ZL26rocblas_hemvn_kernel_upperILb1ELi64ELi4ELi33ELi32ELi16ElPK19rocblas_complex_numIfES3_PS1_EviT6_lT7_lT5_lS6_lS7_lS5_lT8_i.has_indirect_call, 0
	.section	.AMDGPU.csdata,"",@progbits
; Kernel info:
; codeLenInByte = 11984
; TotalNumSgprs: 80
; NumVgprs: 215
; ScratchSize: 0
; MemoryBound: 1
; FloatMode: 240
; IeeeMode: 1
; LDSByteSize: 9600 bytes/workgroup (compile time only)
; SGPRBlocks: 0
; VGPRBlocks: 26
; NumSGPRsForWavesPerEU: 80
; NumVGPRsForWavesPerEU: 215
; Occupancy: 7
; WaveLimiterHint : 0
; COMPUTE_PGM_RSRC2:SCRATCH_EN: 0
; COMPUTE_PGM_RSRC2:USER_SGPR: 2
; COMPUTE_PGM_RSRC2:TRAP_HANDLER: 0
; COMPUTE_PGM_RSRC2:TGID_X_EN: 1
; COMPUTE_PGM_RSRC2:TGID_Y_EN: 0
; COMPUTE_PGM_RSRC2:TGID_Z_EN: 1
; COMPUTE_PGM_RSRC2:TIDIG_COMP_CNT: 1
	.section	.text._ZL36rocblas_hemvn_kernel_upper_block_sumILi64ElPK19rocblas_complex_numIfEPS1_S1_EviT1_lS5_lT2_lT0_lPT3_i,"axG",@progbits,_ZL36rocblas_hemvn_kernel_upper_block_sumILi64ElPK19rocblas_complex_numIfEPS1_S1_EviT1_lS5_lT2_lT0_lPT3_i,comdat
	.globl	_ZL36rocblas_hemvn_kernel_upper_block_sumILi64ElPK19rocblas_complex_numIfEPS1_S1_EviT1_lS5_lT2_lT0_lPT3_i ; -- Begin function _ZL36rocblas_hemvn_kernel_upper_block_sumILi64ElPK19rocblas_complex_numIfEPS1_S1_EviT1_lS5_lT2_lT0_lPT3_i
	.p2align	8
	.type	_ZL36rocblas_hemvn_kernel_upper_block_sumILi64ElPK19rocblas_complex_numIfEPS1_S1_EviT1_lS5_lT2_lT0_lPT3_i,@function
_ZL36rocblas_hemvn_kernel_upper_block_sumILi64ElPK19rocblas_complex_numIfEPS1_S1_EviT1_lS5_lT2_lT0_lPT3_i: ; @_ZL36rocblas_hemvn_kernel_upper_block_sumILi64ElPK19rocblas_complex_numIfEPS1_S1_EviT1_lS5_lT2_lT0_lPT3_i
; %bb.0:
	s_load_b32 s26, s[0:1], 0x50
	s_lshr_b32 s2, ttmp7, 16
	s_wait_kmcnt 0x0
	s_cmp_ge_u32 s2, s26
	s_cbranch_scc1 .LBB1_23
; %bb.1:
	s_clause 0x1
	s_load_b256 s[4:11], s[0:1], 0x30
	s_load_b32 s22, s[0:1], 0x0
	v_lshl_or_b32 v0, ttmp9, 6, v0
	s_clause 0x1
	s_load_b64 s[24:25], s[0:1], 0x28
	s_load_b256 s[12:19], s[0:1], 0x8
	s_add_nc_u64 s[20:21], s[0:1], 0x58
	s_mov_b32 s3, 0
	v_ashrrev_i32_e32 v1, 31, v0
	s_delay_alu instid0(VALU_DEP_1)
	v_lshlrev_b64_e32 v[2:3], 3, v[0:1]
	s_wait_kmcnt 0x0
	v_mul_lo_u32 v1, s6, v1
	v_mul_lo_u32 v6, s7, v0
	v_mad_co_u64_u32 v[4:5], null, s6, v0, 0
	v_cmp_gt_i32_e64 s0, s22, v0
	v_add_co_u32 v0, vcc_lo, s10, v2
	s_delay_alu instid0(VALU_DEP_1)
	v_add_co_ci_u32_e64 v2, null, s11, v3, vcc_lo
	s_lshl_b64 s[4:5], s[4:5], 3
	v_add3_u32 v5, v5, v1, v6
	v_add_co_u32 v0, vcc_lo, v0, 4
	s_wait_alu 0xfffd
	v_add_co_ci_u32_e64 v1, null, 0, v2, vcc_lo
	s_delay_alu instid0(VALU_DEP_3)
	v_lshlrev_b64_e32 v[2:3], 3, v[4:5]
	s_ashr_i32 s23, s22, 31
	s_cmp_gt_i32 ttmp9, -1
	s_add_nc_u64 s[4:5], s[24:25], s[4:5]
	s_cselect_b32 s1, -1, 0
	s_add_co_i32 s27, ttmp9, 1
	s_wait_alu 0xfffe
	s_lshl_b64 s[6:7], s[22:23], 3
	s_branch .LBB1_5
.LBB1_2:                                ;   in Loop: Header=BB1_5 Depth=1
	v_add_co_u32 v6, vcc_lo, s22, v2
	s_wait_alu 0xfffd
	v_add_co_ci_u32_e64 v7, null, s23, v3, vcc_lo
	global_store_b64 v[6:7], v[4:5], off
.LBB1_3:                                ;   in Loop: Header=BB1_5 Depth=1
	s_or_b32 exec_lo, exec_lo, s28
.LBB1_4:                                ;   in Loop: Header=BB1_5 Depth=1
	s_add_co_i32 s2, s2, 0x10000
	s_wait_alu 0xfffe
	s_cmp_lt_u32 s2, s26
	s_cbranch_scc0 .LBB1_23
.LBB1_5:                                ; =>This Loop Header: Depth=1
                                        ;     Child Loop BB1_18 Depth 2
	s_mul_u64 s[10:11], s[14:15], s[2:3]
	s_wait_alu 0xfffe
	s_lshl_b64 s[10:11], s[10:11], 3
	s_wait_alu 0xfffe
	s_add_nc_u64 s[10:11], s[12:13], s[10:11]
	s_load_b64 s[24:25], s[10:11], 0x0
	s_mul_u64 s[10:11], s[18:19], s[2:3]
	s_wait_alu 0xfffe
	s_lshl_b64 s[10:11], s[10:11], 3
	s_wait_alu 0xfffe
	s_add_nc_u64 s[10:11], s[16:17], s[10:11]
	s_load_b64 s[10:11], s[10:11], 0x0
	s_wait_kmcnt 0x0
	s_or_b32 s22, s24, s25
	s_wait_alu 0xfffe
	s_bitset0_b32 s22, 31
	s_wait_alu 0xfffe
	s_cmp_eq_u32 s22, 0
	s_cselect_b32 s28, -1, 0
	s_cmp_lg_u32 s22, 0
	s_mov_b32 s22, -1
	s_cbranch_scc1 .LBB1_7
; %bb.6:                                ;   in Loop: Header=BB1_5 Depth=1
	s_cmp_neq_f32 s10, 1.0
	s_cselect_b32 s22, -1, 0
	s_cmp_neq_f32 s11, 0
	s_cselect_b32 s23, -1, 0
	s_wait_alu 0xfffe
	s_or_b32 s22, s22, s23
.LBB1_7:                                ;   in Loop: Header=BB1_5 Depth=1
	s_wait_alu 0xfffe
	s_and_not1_b32 vcc_lo, exec_lo, s22
	s_wait_alu 0xfffe
	s_cbranch_vccnz .LBB1_4
; %bb.8:                                ;   in Loop: Header=BB1_5 Depth=1
	s_mul_u64 s[22:23], s[8:9], s[2:3]
	s_and_not1_b32 vcc_lo, exec_lo, s28
	s_wait_alu 0xfffe
	s_lshl_b64 s[22:23], s[22:23], 3
	s_mov_b32 s28, -1
	s_wait_alu 0xfffe
	s_add_nc_u64 s[22:23], s[4:5], s[22:23]
	s_cbranch_vccnz .LBB1_14
; %bb.9:                                ;   in Loop: Header=BB1_5 Depth=1
	s_and_saveexec_b32 s28, s0
	s_cbranch_execz .LBB1_13
; %bb.10:                               ;   in Loop: Header=BB1_5 Depth=1
	s_cmp_neq_f32 s10, 0
	v_dual_mov_b32 v4, 0 :: v_dual_mov_b32 v5, 0
	s_cselect_b32 s29, -1, 0
	s_cmp_neq_f32 s11, 0
	s_cselect_b32 s30, -1, 0
	s_wait_alu 0xfffe
	s_or_b32 s29, s29, s30
	s_delay_alu instid0(SALU_CYCLE_1)
	s_and_not1_b32 vcc_lo, exec_lo, s29
	s_wait_alu 0xfffe
	s_cbranch_vccnz .LBB1_12
; %bb.11:                               ;   in Loop: Header=BB1_5 Depth=1
	v_add_co_u32 v4, vcc_lo, s22, v2
	s_wait_alu 0xfffd
	v_add_co_ci_u32_e64 v5, null, s23, v3, vcc_lo
	global_load_b64 v[6:7], v[4:5], off
	s_wait_loadcnt 0x0
	v_mul_f32_e32 v5, s10, v7
	s_delay_alu instid0(VALU_DEP_1) | instskip(NEXT) | instid1(VALU_DEP_1)
	v_dual_mul_f32 v4, s11, v7 :: v_dual_fmac_f32 v5, s11, v6
	v_fma_f32 v4, v6, s10, -v4
.LBB1_12:                               ;   in Loop: Header=BB1_5 Depth=1
	v_add_co_u32 v6, vcc_lo, s22, v2
	s_wait_alu 0xfffd
	v_add_co_ci_u32_e64 v7, null, s23, v3, vcc_lo
	global_store_b64 v[6:7], v[4:5], off
.LBB1_13:                               ;   in Loop: Header=BB1_5 Depth=1
	s_or_b32 exec_lo, exec_lo, s28
	s_mov_b32 s28, 0
.LBB1_14:                               ;   in Loop: Header=BB1_5 Depth=1
	s_delay_alu instid0(SALU_CYCLE_1)
	s_and_not1_b32 vcc_lo, exec_lo, s28
	s_wait_alu 0xfffe
	s_cbranch_vccnz .LBB1_4
; %bb.15:                               ;   in Loop: Header=BB1_5 Depth=1
	s_and_saveexec_b32 s28, s0
	s_cbranch_execz .LBB1_3
; %bb.16:                               ;   in Loop: Header=BB1_5 Depth=1
	v_dual_mov_b32 v6, 0 :: v_dual_mov_b32 v7, 0
	s_and_not1_b32 vcc_lo, exec_lo, s1
	s_wait_alu 0xfffe
	s_cbranch_vccnz .LBB1_19
; %bb.17:                               ;   in Loop: Header=BB1_5 Depth=1
	s_load_b32 s30, s[20:21], 0x0
	s_mov_b32 s31, s3
	s_mov_b32 s29, s27
	v_mov_b32_e32 v7, 0
	s_wait_kmcnt 0x0
	s_wait_alu 0xfffe
	s_mul_u64 s[30:31], s[6:7], s[30:31]
	s_wait_alu 0xfffe
	v_mad_co_u64_u32 v[4:5], null, s30, s2, v[0:1]
	s_delay_alu instid0(VALU_DEP_1)
	v_mad_co_u64_u32 v[5:6], null, s31, s2, v[5:6]
	v_mov_b32_e32 v6, 0
.LBB1_18:                               ;   Parent Loop BB1_5 Depth=1
                                        ; =>  This Inner Loop Header: Depth=2
	global_load_b64 v[8:9], v[4:5], off offset:-4
	v_add_co_u32 v4, vcc_lo, v4, s6
	s_wait_alu 0xfffd
	v_add_co_ci_u32_e64 v5, null, s7, v5, vcc_lo
	s_add_co_i32 s29, s29, -1
	s_delay_alu instid0(SALU_CYCLE_1)
	s_cmp_eq_u32 s29, 0
	s_wait_loadcnt 0x0
	v_dual_add_f32 v7, v7, v8 :: v_dual_add_f32 v6, v6, v9
	s_cbranch_scc0 .LBB1_18
.LBB1_19:                               ;   in Loop: Header=BB1_5 Depth=1
	s_cmp_neq_f32 s10, 0
	s_delay_alu instid0(VALU_DEP_1) | instskip(SKIP_3) | instid1(VALU_DEP_2)
	v_mul_f32_e32 v5, s24, v6
	v_mul_f32_e32 v4, s25, v6
	s_cselect_b32 s29, -1, 0
	s_cmp_neq_f32 s11, 0
	v_fmac_f32_e32 v5, s25, v7
	s_delay_alu instid0(VALU_DEP_2) | instskip(SKIP_4) | instid1(SALU_CYCLE_1)
	v_fma_f32 v4, v7, s24, -v4
	s_mov_b32 s24, -1
	s_cselect_b32 s30, -1, 0
	s_wait_alu 0xfffe
	s_or_b32 s29, s29, s30
	s_and_not1_b32 vcc_lo, exec_lo, s29
	s_wait_alu 0xfffe
	s_cbranch_vccz .LBB1_21
; %bb.20:                               ;   in Loop: Header=BB1_5 Depth=1
	s_mov_b32 s24, 0
.LBB1_21:                               ;   in Loop: Header=BB1_5 Depth=1
	s_wait_alu 0xfffe
	s_and_not1_b32 vcc_lo, exec_lo, s24
	s_wait_alu 0xfffe
	s_cbranch_vccnz .LBB1_2
; %bb.22:                               ;   in Loop: Header=BB1_5 Depth=1
	v_add_co_u32 v6, vcc_lo, s22, v2
	s_wait_alu 0xfffd
	v_add_co_ci_u32_e64 v7, null, s23, v3, vcc_lo
	global_load_b64 v[6:7], v[6:7], off
	s_wait_loadcnt 0x0
	v_mul_f32_e32 v8, s11, v7
	v_mul_f32_e32 v7, s10, v7
	s_delay_alu instid0(VALU_DEP_1) | instskip(NEXT) | instid1(VALU_DEP_3)
	v_fmac_f32_e32 v7, s11, v6
	v_fma_f32 v8, v6, s10, -v8
	s_delay_alu instid0(VALU_DEP_1)
	v_dual_add_f32 v5, v5, v7 :: v_dual_add_f32 v4, v4, v8
	s_branch .LBB1_2
.LBB1_23:
	s_endpgm
	.section	.rodata,"a",@progbits
	.p2align	6, 0x0
	.amdhsa_kernel _ZL36rocblas_hemvn_kernel_upper_block_sumILi64ElPK19rocblas_complex_numIfEPS1_S1_EviT1_lS5_lT2_lT0_lPT3_i
		.amdhsa_group_segment_fixed_size 0
		.amdhsa_private_segment_fixed_size 0
		.amdhsa_kernarg_size 344
		.amdhsa_user_sgpr_count 2
		.amdhsa_user_sgpr_dispatch_ptr 0
		.amdhsa_user_sgpr_queue_ptr 0
		.amdhsa_user_sgpr_kernarg_segment_ptr 1
		.amdhsa_user_sgpr_dispatch_id 0
		.amdhsa_user_sgpr_private_segment_size 0
		.amdhsa_wavefront_size32 1
		.amdhsa_uses_dynamic_stack 0
		.amdhsa_enable_private_segment 0
		.amdhsa_system_sgpr_workgroup_id_x 1
		.amdhsa_system_sgpr_workgroup_id_y 0
		.amdhsa_system_sgpr_workgroup_id_z 1
		.amdhsa_system_sgpr_workgroup_info 0
		.amdhsa_system_vgpr_workitem_id 0
		.amdhsa_next_free_vgpr 10
		.amdhsa_next_free_sgpr 32
		.amdhsa_reserve_vcc 1
		.amdhsa_float_round_mode_32 0
		.amdhsa_float_round_mode_16_64 0
		.amdhsa_float_denorm_mode_32 3
		.amdhsa_float_denorm_mode_16_64 3
		.amdhsa_fp16_overflow 0
		.amdhsa_workgroup_processor_mode 1
		.amdhsa_memory_ordered 1
		.amdhsa_forward_progress 1
		.amdhsa_inst_pref_size 8
		.amdhsa_round_robin_scheduling 0
		.amdhsa_exception_fp_ieee_invalid_op 0
		.amdhsa_exception_fp_denorm_src 0
		.amdhsa_exception_fp_ieee_div_zero 0
		.amdhsa_exception_fp_ieee_overflow 0
		.amdhsa_exception_fp_ieee_underflow 0
		.amdhsa_exception_fp_ieee_inexact 0
		.amdhsa_exception_int_div_zero 0
	.end_amdhsa_kernel
	.section	.text._ZL36rocblas_hemvn_kernel_upper_block_sumILi64ElPK19rocblas_complex_numIfEPS1_S1_EviT1_lS5_lT2_lT0_lPT3_i,"axG",@progbits,_ZL36rocblas_hemvn_kernel_upper_block_sumILi64ElPK19rocblas_complex_numIfEPS1_S1_EviT1_lS5_lT2_lT0_lPT3_i,comdat
.Lfunc_end1:
	.size	_ZL36rocblas_hemvn_kernel_upper_block_sumILi64ElPK19rocblas_complex_numIfEPS1_S1_EviT1_lS5_lT2_lT0_lPT3_i, .Lfunc_end1-_ZL36rocblas_hemvn_kernel_upper_block_sumILi64ElPK19rocblas_complex_numIfEPS1_S1_EviT1_lS5_lT2_lT0_lPT3_i
                                        ; -- End function
	.set _ZL36rocblas_hemvn_kernel_upper_block_sumILi64ElPK19rocblas_complex_numIfEPS1_S1_EviT1_lS5_lT2_lT0_lPT3_i.num_vgpr, 10
	.set _ZL36rocblas_hemvn_kernel_upper_block_sumILi64ElPK19rocblas_complex_numIfEPS1_S1_EviT1_lS5_lT2_lT0_lPT3_i.num_agpr, 0
	.set _ZL36rocblas_hemvn_kernel_upper_block_sumILi64ElPK19rocblas_complex_numIfEPS1_S1_EviT1_lS5_lT2_lT0_lPT3_i.numbered_sgpr, 32
	.set _ZL36rocblas_hemvn_kernel_upper_block_sumILi64ElPK19rocblas_complex_numIfEPS1_S1_EviT1_lS5_lT2_lT0_lPT3_i.num_named_barrier, 0
	.set _ZL36rocblas_hemvn_kernel_upper_block_sumILi64ElPK19rocblas_complex_numIfEPS1_S1_EviT1_lS5_lT2_lT0_lPT3_i.private_seg_size, 0
	.set _ZL36rocblas_hemvn_kernel_upper_block_sumILi64ElPK19rocblas_complex_numIfEPS1_S1_EviT1_lS5_lT2_lT0_lPT3_i.uses_vcc, 1
	.set _ZL36rocblas_hemvn_kernel_upper_block_sumILi64ElPK19rocblas_complex_numIfEPS1_S1_EviT1_lS5_lT2_lT0_lPT3_i.uses_flat_scratch, 0
	.set _ZL36rocblas_hemvn_kernel_upper_block_sumILi64ElPK19rocblas_complex_numIfEPS1_S1_EviT1_lS5_lT2_lT0_lPT3_i.has_dyn_sized_stack, 0
	.set _ZL36rocblas_hemvn_kernel_upper_block_sumILi64ElPK19rocblas_complex_numIfEPS1_S1_EviT1_lS5_lT2_lT0_lPT3_i.has_recursion, 0
	.set _ZL36rocblas_hemvn_kernel_upper_block_sumILi64ElPK19rocblas_complex_numIfEPS1_S1_EviT1_lS5_lT2_lT0_lPT3_i.has_indirect_call, 0
	.section	.AMDGPU.csdata,"",@progbits
; Kernel info:
; codeLenInByte = 936
; TotalNumSgprs: 34
; NumVgprs: 10
; ScratchSize: 0
; MemoryBound: 0
; FloatMode: 240
; IeeeMode: 1
; LDSByteSize: 0 bytes/workgroup (compile time only)
; SGPRBlocks: 0
; VGPRBlocks: 1
; NumSGPRsForWavesPerEU: 34
; NumVGPRsForWavesPerEU: 10
; Occupancy: 16
; WaveLimiterHint : 0
; COMPUTE_PGM_RSRC2:SCRATCH_EN: 0
; COMPUTE_PGM_RSRC2:USER_SGPR: 2
; COMPUTE_PGM_RSRC2:TRAP_HANDLER: 0
; COMPUTE_PGM_RSRC2:TGID_X_EN: 1
; COMPUTE_PGM_RSRC2:TGID_Y_EN: 0
; COMPUTE_PGM_RSRC2:TGID_Z_EN: 1
; COMPUTE_PGM_RSRC2:TIDIG_COMP_CNT: 0
	.section	.text._ZL26rocblas_hemvn_kernel_upperILb1ELi64ELi4ELi33ELi32ELi16EiPK19rocblas_complex_numIfES3_PS1_EviT6_lT7_lT5_lS6_lS7_lS5_lT8_i,"axG",@progbits,_ZL26rocblas_hemvn_kernel_upperILb1ELi64ELi4ELi33ELi32ELi16EiPK19rocblas_complex_numIfES3_PS1_EviT6_lT7_lT5_lS6_lS7_lS5_lT8_i,comdat
	.globl	_ZL26rocblas_hemvn_kernel_upperILb1ELi64ELi4ELi33ELi32ELi16EiPK19rocblas_complex_numIfES3_PS1_EviT6_lT7_lT5_lS6_lS7_lS5_lT8_i ; -- Begin function _ZL26rocblas_hemvn_kernel_upperILb1ELi64ELi4ELi33ELi32ELi16EiPK19rocblas_complex_numIfES3_PS1_EviT6_lT7_lT5_lS6_lS7_lS5_lT8_i
	.p2align	8
	.type	_ZL26rocblas_hemvn_kernel_upperILb1ELi64ELi4ELi33ELi32ELi16EiPK19rocblas_complex_numIfES3_PS1_EviT6_lT7_lT5_lS6_lS7_lS5_lT8_i,@function
_ZL26rocblas_hemvn_kernel_upperILb1ELi64ELi4ELi33ELi32ELi16EiPK19rocblas_complex_numIfES3_PS1_EviT6_lT7_lT5_lS6_lS7_lS5_lT8_i: ; @_ZL26rocblas_hemvn_kernel_upperILb1ELi64ELi4ELi33ELi32ELi16EiPK19rocblas_complex_numIfES3_PS1_EviT6_lT7_lT5_lS6_lS7_lS5_lT8_i
; %bb.0:
	s_clause 0x1
	s_load_b64 s[2:3], s[0:1], 0x84
	s_load_b32 s33, s[0:1], 0x70
	s_lshr_b32 s34, ttmp7, 16
	s_wait_kmcnt 0x0
	s_lshr_b32 s4, s2, 16
	s_and_b32 s2, s2, 0xffff
	s_and_b32 s3, s3, 0xffff
	s_mul_i32 s2, s4, s2
	s_delay_alu instid0(SALU_CYCLE_1) | instskip(NEXT) | instid1(SALU_CYCLE_1)
	s_mul_i32 s2, s2, s3
	s_cmp_lg_u32 s2, 0x100
	s_cselect_b32 s2, -1, 0
	s_cmp_ge_u32 s34, s33
	s_cselect_b32 s3, -1, 0
	s_delay_alu instid0(SALU_CYCLE_1) | instskip(NEXT) | instid1(SALU_CYCLE_1)
	s_or_b32 s2, s2, s3
	s_and_b32 vcc_lo, exec_lo, s2
	s_cbranch_vccnz .LBB2_189
; %bb.1:
	s_clause 0x2
	s_load_b32 s2, s[0:1], 0x0
	s_load_b96 s[20:22], s[0:1], 0x40
	s_load_b32 s58, s[0:1], 0x28
	v_dual_mov_b32 v63, 0 :: v_dual_and_b32 v56, 0x3ff, v0
	s_lshl_b32 s52, ttmp9, 6
	s_load_b128 s[44:47], s[0:1], 0x30
	s_add_nc_u64 s[6:7], s[0:1], 0x78
	s_delay_alu instid0(VALU_DEP_1)
	v_add_nc_u32_e32 v1, s52, v56
	s_load_b256 s[24:31], s[0:1], 0x8
	s_load_b32 s48, s[6:7], 0x0
	v_bfe_u32 v2, v0, 10, 10
	s_load_b256 s[36:43], s[0:1], 0x50
	v_and_b32_e32 v3, 31, v0
	s_mov_b32 s35, 0
	s_mov_b32 s4, ttmp9
	v_lshl_add_u32 v10, v2, 6, v56
	s_mov_b32 s49, s35
	v_lshlrev_b32_e32 v12, 3, v3
	v_lshlrev_b32_e32 v115, 2, v2
	;; [unrolled: 1-line block ×3, first 2 shown]
	v_lshrrev_b32_e32 v8, 5, v10
	s_wait_kmcnt 0x0
	v_mul_lo_u32 v4, s22, v1
	s_lshl_b64 s[0:1], s[20:21], 3
	s_ashr_i32 s3, s2, 31
	s_ashr_i32 s59, s58, 31
	s_lshr_b32 s5, s3, 26
	s_add_nc_u64 s[0:1], s[46:47], s[0:1]
	s_add_co_i32 s5, s2, s5
	s_lshl_b64 s[6:7], s[30:31], 3
	v_ashrrev_i32_e32 v5, 31, v4
	s_and_not1_b32 s5, s5, 63
	s_add_co_i32 s8, s48, -1
	s_sub_co_i32 s68, s2, s5
	s_cmp_eq_u32 ttmp9, s8
	v_lshlrev_b64_e32 v[4:5], 3, v[4:5]
	s_cselect_b32 s30, s68, 0
	s_add_nc_u64 s[6:7], s[28:29], s[6:7]
	s_cmp_lg_u32 s30, 0
	s_mul_u64 s[28:29], s[48:49], s[2:3]
	s_cselect_b32 s69, -1, 0
	v_add_co_u32 v101, vcc_lo, s0, v4
	s_delay_alu instid0(VALU_DEP_1)
	v_add_co_ci_u32_e64 v102, null, s1, v5, vcc_lo
	v_mad_co_u64_u32 v[4:5], null, s58, v8, v[3:4]
	s_cmp_eq_u32 s30, 0
	v_cmp_gt_i32_e32 vcc_lo, s30, v56
	s_cselect_b32 s1, -1, 0
	s_ashr_i32 s5, ttmp9, 31
	s_ashr_i32 s53, s52, 31
	s_mul_u64 s[4:5], s[2:3], s[4:5]
	v_ashrrev_i32_e32 v5, 31, v4
	s_wait_alu 0xfffe
	s_lshl_b64 s[2:3], s[52:53], 3
	s_lshl_b64 s[4:5], s[4:5], 3
	v_lshlrev_b32_e32 v15, 2, v8
	s_add_nc_u64 s[2:3], s[6:7], s[2:3]
	v_lshlrev_b64_e32 v[4:5], 3, v[4:5]
	s_add_nc_u64 s[42:43], s[42:43], s[4:5]
	s_mul_i32 s4, s58, s52
	s_or_b32 s23, s1, vcc_lo
	s_ashr_i32 s5, s4, 31
	v_add_nc_u32_e32 v9, 8, v8
	v_add_co_u32 v6, vcc_lo, s2, v4
	s_wait_alu 0xfffd
	v_add_co_ci_u32_e64 v7, null, s3, v5, vcc_lo
	v_lshl_or_b32 v16, v3, 8, v12
	v_and_b32_e32 v17, 0x7fe0, v10
	v_or_b32_e32 v19, 2, v15
	s_lshl_b64 s[2:3], s[4:5], 3
	v_add_nc_u32_e32 v11, 16, v8
	s_wait_alu 0xfffe
	v_add_co_u32 v105, vcc_lo, v6, s2
	v_sub_co_u32 v6, s2, 0, v3
	v_cmp_le_u32_e64 s6, v15, v3
	v_cmp_eq_u32_e64 s7, v15, v3
	v_or_b32_e32 v18, 1, v15
	v_cmp_ge_u32_e64 s8, v15, v3
	v_or_b32_e32 v15, 3, v15
	s_sub_co_i32 s19, s30, 32
	s_wait_alu 0xfffd
	v_add_co_ci_u32_e64 v106, null, s3, v7, vcc_lo
	v_sub_co_ci_u32_e64 v7, null, 0, 0, s2
	v_cmp_le_i32_e64 s2, s30, v8
	v_mul_u32_u24_e32 v13, 0x108, v8
	v_cmp_le_i32_e64 s3, s30, v9
	v_add_nc_u32_e32 v14, 24, v8
	v_add_nc_u32_e32 v108, v16, v17
	v_mul_u32_u24_e32 v16, 0x420, v8
	v_cmp_le_u32_e64 s10, v19, v3
	v_cmp_eq_u32_e64 s11, v19, v3
	v_lshlrev_b32_e32 v19, 3, v8
	v_cmp_le_i32_e64 s16, s19, v8
	v_cmp_le_i32_e64 s17, s19, v9
	v_cmp_eq_u32_e64 s20, 1, v8
	v_mul_i32_i24_e32 v116, 0xffffffe8, v8
	v_mad_co_u64_u32 v[8:9], null, s58, v115, v[56:57]
	v_cmp_le_i32_e64 s4, s30, v11
	v_cmp_le_u32_e64 s12, v15, v3
	v_cmp_eq_u32_e64 s13, v15, v3
	v_or_b32_e32 v15, 32, v3
	v_cmp_le_i32_e64 s18, s19, v11
	v_lshrrev_b32_e32 v11, 4, v10
	v_cmp_le_i32_e64 s5, s30, v14
	v_cmp_le_i32_e64 s19, s19, v14
	v_cmp_gt_i32_e64 s15, s30, v15
	v_and_b32_e32 v14, 15, v0
	v_ashrrev_i32_e32 v9, 31, v8
	v_lshlrev_b32_e32 v15, 5, v11
	s_lshl_b32 s56, s58, 5
	v_cmp_gt_u32_e64 s14, 32, v10
	s_ashr_i32 s57, s56, 31
	v_cmp_gt_u32_e64 s21, 64, v10
	v_add_co_u32 v10, vcc_lo, s56, v8
	v_mad_u32_u24 v120, 0x218, v14, v15
	v_mul_i32_i24_e32 v15, 0xffffffe8, v11
	s_wait_alu 0xfffd
	v_add_co_ci_u32_e64 v11, null, s57, v9, vcc_lo
	v_and_b32_e32 v0, 48, v0
	s_lshl_b32 s60, s58, 4
	s_lshl_b32 s46, s58, 3
	s_delay_alu instid0(VALU_DEP_2)
	v_lshlrev_b64_e32 v[10:11], 3, v[10:11]
	s_mul_i32 s50, s58, 24
	s_mul_i32 s52, s22, s52
	s_add_co_i32 s74, ttmp9, 1
	v_lshlrev_b64_e32 v[8:9], 3, v[8:9]
	v_cmp_eq_u32_e64 s0, 0, v2
	v_mad_co_i64_i32 v[57:58], null, s60, 24, v[10:11]
	s_xor_b32 s70, s23, -1
	s_ashr_i32 s31, s30, 31
	s_ashr_i32 s47, s46, 31
	;; [unrolled: 1-line block ×4, first 2 shown]
	s_wait_alu 0xfffe
	s_ashr_i32 s53, s52, 31
	v_lshlrev_b32_e32 v0, 3, v0
	s_cmp_lt_u32 s74, s48
	s_mul_i32 s66, s58, 3
	s_cselect_b32 s49, -1, 0
	s_ashr_i32 s67, s66, 31
	v_sub_co_u32 v141, vcc_lo, 0, v4
	s_lshl_b64 s[56:57], s[56:57], 3
	s_lshl_b32 s72, s22, 6
	v_mad_u32_u24 v121, 0x218, v14, v0
	s_lshl_b32 s64, s58, 1
	s_and_b32 s73, s0, s23
	s_lshl_b64 s[54:55], s[58:59], 6
	s_mul_i32 s86, s22, s74
	s_lshl_b64 s[22:23], s[58:59], 3
	s_wait_alu 0xfffd
	v_sub_co_ci_u32_e64 v142, null, 0, v5, vcc_lo
	s_wait_alu 0xfffe
	v_add_co_u32 v0, vcc_lo, s56, v8
	s_lshl_b64 s[66:67], s[66:67], 3
	s_lshl_b64 s[58:59], s[58:59], 4
	s_wait_alu 0xfffd
	v_add_co_ci_u32_e64 v143, null, s57, v9, vcc_lo
	s_mul_u64 s[74:75], s[60:61], 24
	v_add_co_u32 v145, vcc_lo, v57, s66
	s_wait_alu 0xfffe
	s_add_nc_u64 s[76:77], s[58:59], s[56:57]
	s_wait_alu 0xfffd
	v_add_co_ci_u32_e64 v146, null, s67, v58, vcc_lo
	v_add_co_u32 v147, vcc_lo, s76, v8
	s_add_nc_u64 s[58:59], s[74:75], s[58:59]
	s_ashr_i32 s65, s64, 31
	v_or_b32_e32 v144, 4, v0
	s_wait_alu 0xfffd
	v_add_co_ci_u32_e64 v148, null, s77, v9, vcc_lo
	s_wait_alu 0xfffe
	v_add_co_u32 v0, vcc_lo, s58, v10
	s_add_nc_u64 s[74:75], s[22:23], s[56:57]
	s_lshl_b64 s[64:65], s[64:65], 3
	s_wait_alu 0xfffd
	v_add_co_ci_u32_e64 v149, null, s59, v11, vcc_lo
	v_add_co_u32 v4, vcc_lo, s74, v8
	s_add_nc_u64 s[58:59], s[56:57], s[64:65]
	v_or_b32_e32 v150, 4, v0
	s_wait_alu 0xfffd
	v_add_co_ci_u32_e64 v151, null, s75, v9, vcc_lo
	s_wait_alu 0xfffe
	v_add_co_u32 v0, vcc_lo, s58, v8
	s_wait_alu 0xfffd
	v_add_co_ci_u32_e64 v153, null, s59, v9, vcc_lo
	s_add_nc_u64 s[58:59], s[56:57], s[66:67]
	v_or_b32_e32 v152, 4, v4
	s_wait_alu 0xfffe
	v_add_co_u32 v4, vcc_lo, s58, v8
	s_wait_alu 0xfffd
	v_add_co_ci_u32_e64 v154, null, s59, v9, vcc_lo
	s_lshl_b64 s[58:59], s[60:61], 3
	s_lshl_b64 s[78:79], s[60:61], 4
	s_wait_alu 0xfffe
	s_add_nc_u64 s[80:81], s[56:57], s[58:59]
	s_add_nc_u64 s[82:83], s[78:79], s[56:57]
	v_add_co_u32 v5, vcc_lo, s80, v8
	s_add_nc_u64 s[84:85], s[82:83], s[66:67]
	s_wait_alu 0xfffd
	v_add_co_ci_u32_e64 v155, null, s81, v9, vcc_lo
	v_add_co_u32 v156, vcc_lo, s84, v8
	s_add_nc_u64 s[74:75], s[74:75], s[58:59]
	s_wait_alu 0xfffd
	v_add_co_ci_u32_e64 v157, null, s85, v9, vcc_lo
	s_wait_alu 0xfffe
	v_add_co_u32 v10, vcc_lo, s74, v8
	s_wait_alu 0xfffd
	v_add_co_ci_u32_e64 v158, null, s75, v9, vcc_lo
	s_add_nc_u64 s[74:75], s[76:77], s[78:79]
	v_add_nc_u32_e32 v113, 0x2380, v17
	v_or_b32_e32 v17, 0x78, v103
	s_wait_alu 0xfffe
	v_add_co_u32 v11, vcc_lo, s74, v8
	s_wait_alu 0xfffd
	v_add_co_ci_u32_e64 v159, null, s75, v9, vcc_lo
	s_add_nc_u64 s[74:75], s[80:81], s[64:65]
	v_mad_u32_u24 v122, 0x218, v14, v17
	s_wait_alu 0xfffe
	v_add_co_u32 v14, vcc_lo, s74, v8
	s_wait_alu 0xfffd
	v_add_co_ci_u32_e64 v160, null, s75, v9, vcc_lo
	s_add_nc_u64 s[74:75], s[82:83], s[64:65]
	v_mul_u32_u24_e32 v20, 0x108, v18
	s_wait_alu 0xfffe
	v_add_co_u32 v161, vcc_lo, s74, v8
	s_wait_alu 0xfffd
	v_add_co_ci_u32_e64 v162, null, s75, v9, vcc_lo
	s_add_nc_u64 s[74:75], s[76:77], s[58:59]
	v_cmp_eq_u32_e64 s9, v18, v3
	s_wait_alu 0xfffe
	v_add_co_u32 v163, vcc_lo, s74, v8
	s_wait_alu 0xfffd
	v_add_co_ci_u32_e64 v164, null, s75, v9, vcc_lo
	s_add_nc_u64 s[74:75], s[82:83], s[22:23]
	v_mul_u32_u24_e32 v18, 33, v3
	s_wait_alu 0xfffe
	v_add_co_u32 v165, vcc_lo, s74, v8
	s_add_nc_u64 s[66:67], s[80:81], s[66:67]
	s_wait_alu 0xfffd
	v_add_co_ci_u32_e64 v166, null, s75, v9, vcc_lo
	s_wait_alu 0xfffe
	v_add_co_u32 v17, vcc_lo, s66, v8
	v_lshl_add_u32 v118, v2, 5, 0x2180
	v_mad_u32_u24 v119, 0x860, v2, v103
	v_mad_u32_u24 v138, 0x218, v2, v103
	v_ashrrev_i32_e32 v2, 31, v1
	s_wait_alu 0xfffd
	v_add_co_ci_u32_e64 v167, null, s67, v9, vcc_lo
	v_add_co_u32 v8, vcc_lo, s82, v8
	v_lshlrev_b32_e32 v111, 3, v18
	s_wait_alu 0xfffd
	v_add_co_ci_u32_e64 v168, null, s83, v9, vcc_lo
	v_add_co_u32 v170, vcc_lo, v57, s64
	s_wait_alu 0xfffd
	v_add_co_ci_u32_e64 v171, null, s65, v58, vcc_lo
	v_add_co_u32 v184, vcc_lo, v57, s22
	v_lshlrev_b64_e32 v[59:60], 3, v[6:7]
	v_lshlrev_b64_e32 v[61:62], 3, v[1:2]
	v_add_nc_u32_e32 v104, 0x2380, v103
	v_cmp_gt_i32_e64 s1, s30, v3
	v_mad_u32_u24 v107, 0x108, v3, v12
	v_add_nc_u32_e32 v109, 8, v108
	v_add_nc_u32_e32 v110, 16, v108
	;; [unrolled: 1-line block ×5, first 2 shown]
	v_or_b32_e32 v123, 1, v115
	v_or_b32_e32 v124, 2, v115
	v_or_b32_e32 v125, 3, v115
	v_add_nc_u32_e32 v126, 16, v115
	v_add_nc_u32_e32 v127, 17, v115
	;; [unrolled: 1-line block ×14, first 2 shown]
	v_lshlrev_b32_e32 v169, 3, v3
	v_or_b32_e32 v172, 4, v0
	v_or_b32_e32 v173, 4, v4
	;; [unrolled: 1-line block ×8, first 2 shown]
	v_add_nc_u32_e32 v180, v12, v13
	v_add_nc_u32_e32 v181, v12, v16
	;; [unrolled: 1-line block ×4, first 2 shown]
	s_wait_alu 0xfffd
	v_add_co_ci_u32_e64 v185, null, s23, v58, vcc_lo
	s_sub_nc_u64 s[62:63], 0, s[52:53]
	s_add_co_i32 s71, s48, -2
	s_sub_nc_u64 s[52:53], 0, s[30:31]
	s_lshl_b32 s74, s86, 6
	s_lshl_b64 s[60:61], s[60:61], 5
	s_lshl_b64 s[62:63], s[62:63], 3
	s_branch .LBB2_4
.LBB2_2:                                ;   in Loop: Header=BB2_4 Depth=1
	s_wait_alu 0xfffe
	s_or_b32 exec_lo, exec_lo, s22
.LBB2_3:                                ;   in Loop: Header=BB2_4 Depth=1
	s_add_co_i32 s34, s34, 0x10000
	s_delay_alu instid0(SALU_CYCLE_1)
	s_cmp_lt_u32 s34, s33
	s_cbranch_scc0 .LBB2_189
.LBB2_4:                                ; =>This Loop Header: Depth=1
                                        ;     Child Loop BB2_113 Depth 2
	s_mul_u64 s[22:23], s[26:27], s[34:35]
	s_wait_alu 0xfffe
	s_lshl_b64 s[22:23], s[22:23], 3
	s_wait_alu 0xfffe
	s_add_nc_u64 s[22:23], s[24:25], s[22:23]
	global_load_b64 v[0:1], v63, s[22:23]
	s_mov_b32 s23, -1
	s_wait_loadcnt 0x0
	v_or_b32_e32 v0, v0, v1
	s_delay_alu instid0(VALU_DEP_1) | instskip(NEXT) | instid1(VALU_DEP_1)
	v_and_b32_e32 v0, 0x7fffffff, v0
	v_cmp_ne_u32_e64 s22, 0, v0
	s_wait_alu 0xfffe
	s_and_b32 vcc_lo, exec_lo, s22
	s_wait_alu 0xfffe
	s_cbranch_vccnz .LBB2_6
; %bb.5:                                ;   in Loop: Header=BB2_4 Depth=1
	s_mul_u64 s[64:65], s[40:41], s[34:35]
	s_wait_alu 0xfffe
	s_lshl_b64 s[64:65], s[64:65], 3
	s_wait_alu 0xfffe
	s_add_nc_u64 s[64:65], s[38:39], s[64:65]
	global_load_b64 v[0:1], v63, s[64:65]
	s_wait_loadcnt 0x0
	v_cmp_neq_f32_e32 vcc_lo, 1.0, v0
	v_cmp_neq_f32_e64 s23, 0, v1
	s_or_b32 s23, vcc_lo, s23
.LBB2_6:                                ;   in Loop: Header=BB2_4 Depth=1
	s_wait_alu 0xfffe
	s_and_not1_b32 vcc_lo, exec_lo, s23
	s_wait_alu 0xfffe
	s_cbranch_vccnz .LBB2_3
; %bb.7:                                ;   in Loop: Header=BB2_4 Depth=1
	s_and_not1_b32 vcc_lo, exec_lo, s22
	s_wait_alu 0xfffe
	s_cbranch_vccnz .LBB2_3
; %bb.8:                                ;   in Loop: Header=BB2_4 Depth=1
	s_mul_u64 s[22:23], s[36:37], s[34:35]
	s_wait_alu 0xfffe
	s_lshl_b64 s[22:23], s[22:23], 3
	s_wait_alu 0xfffe
	v_add_co_u32 v12, vcc_lo, v101, s22
	s_wait_alu 0xfffd
	v_add_co_ci_u32_e64 v13, null, s23, v102, vcc_lo
	s_and_saveexec_b32 s22, s0
	s_cbranch_execz .LBB2_13
; %bb.9:                                ;   in Loop: Header=BB2_4 Depth=1
	s_and_saveexec_b32 s23, s70
	s_wait_alu 0xfffe
	s_xor_b32 s23, exec_lo, s23
; %bb.10:                               ;   in Loop: Header=BB2_4 Depth=1
	v_mov_b32_e32 v64, v63
	ds_store_b64 v104, v[63:64]
; %bb.11:                               ;   in Loop: Header=BB2_4 Depth=1
	s_wait_alu 0xfffe
	s_and_not1_saveexec_b32 s23, s23
	s_cbranch_execz .LBB2_13
; %bb.12:                               ;   in Loop: Header=BB2_4 Depth=1
	global_load_b64 v[0:1], v[12:13], off
	s_wait_loadcnt 0x0
	ds_store_b64 v104, v[0:1]
.LBB2_13:                               ;   in Loop: Header=BB2_4 Depth=1
	s_wait_alu 0xfffe
	s_or_b32 exec_lo, exec_lo, s22
	s_mul_u64 s[22:23], s[44:45], s[34:35]
                                        ; implicit-def: $vgpr0_vgpr1
	s_wait_alu 0xfffe
	s_lshl_b64 s[22:23], s[22:23], 3
	s_wait_alu 0xfffe
	v_add_co_u32 v2, vcc_lo, v105, s22
	s_wait_alu 0xfffd
	v_add_co_ci_u32_e64 v3, null, s23, v106, vcc_lo
	s_and_b32 vcc_lo, exec_lo, s69
	s_mov_b32 s22, -1
	s_wait_alu 0xfffe
	s_cbranch_vccz .LBB2_25
; %bb.14:                               ;   in Loop: Header=BB2_4 Depth=1
	s_and_saveexec_b32 s22, s2
	s_wait_alu 0xfffe
	s_xor_b32 s22, exec_lo, s22
; %bb.15:                               ;   in Loop: Header=BB2_4 Depth=1
	v_mov_b32_e32 v64, v63
	ds_store_b64 v180, v[63:64]
; %bb.16:                               ;   in Loop: Header=BB2_4 Depth=1
	s_wait_alu 0xfffe
	s_or_saveexec_b32 s22, s22
	v_add_co_u32 v0, vcc_lo, v2, v59
	s_wait_alu 0xfffd
	v_add_co_ci_u32_e64 v1, null, v3, v60, vcc_lo
	s_lshl_b64 s[64:65], s[30:31], 3
	s_wait_alu 0xfffe
	v_add_co_u32 v0, vcc_lo, v0, s64
	s_wait_alu 0xfffd
	v_add_co_ci_u32_e64 v1, null, s65, v1, vcc_lo
	s_delay_alu instid0(VALU_DEP_2) | instskip(SKIP_1) | instid1(VALU_DEP_2)
	v_add_co_u32 v0, vcc_lo, v0, -8
	s_wait_alu 0xfffd
	v_add_co_ci_u32_e64 v1, null, -1, v1, vcc_lo
	s_delay_alu instid0(VALU_DEP_2) | instskip(NEXT) | instid1(VALU_DEP_2)
	v_cndmask_b32_e64 v0, v0, v2, s1
	v_cndmask_b32_e64 v1, v1, v3, s1
	s_xor_b32 exec_lo, exec_lo, s22
	s_cbranch_execnz .LBB2_171
; %bb.17:                               ;   in Loop: Header=BB2_4 Depth=1
	s_or_b32 exec_lo, exec_lo, s22
	s_and_saveexec_b32 s22, s3
	s_wait_alu 0xfffe
	s_xor_b32 s22, exec_lo, s22
	s_cbranch_execnz .LBB2_172
.LBB2_18:                               ;   in Loop: Header=BB2_4 Depth=1
	s_wait_alu 0xfffe
	s_and_not1_saveexec_b32 s22, s22
	s_cbranch_execnz .LBB2_173
.LBB2_19:                               ;   in Loop: Header=BB2_4 Depth=1
	s_wait_alu 0xfffe
	s_or_b32 exec_lo, exec_lo, s22
	s_and_saveexec_b32 s22, s4
	s_wait_alu 0xfffe
	s_xor_b32 s22, exec_lo, s22
	s_cbranch_execnz .LBB2_174
.LBB2_20:                               ;   in Loop: Header=BB2_4 Depth=1
	s_wait_alu 0xfffe
	s_and_not1_saveexec_b32 s22, s22
	s_cbranch_execnz .LBB2_175
.LBB2_21:                               ;   in Loop: Header=BB2_4 Depth=1
	s_wait_alu 0xfffe
	s_or_b32 exec_lo, exec_lo, s22
	s_and_saveexec_b32 s22, s5
	s_wait_alu 0xfffe
	s_xor_b32 s22, exec_lo, s22
	s_cbranch_execnz .LBB2_176
.LBB2_22:                               ;   in Loop: Header=BB2_4 Depth=1
	s_wait_alu 0xfffe
	s_and_not1_saveexec_b32 s22, s22
	s_cbranch_execz .LBB2_24
.LBB2_23:                               ;   in Loop: Header=BB2_4 Depth=1
	s_lshl_b64 s[64:65], s[50:51], 3
	s_wait_alu 0xfffe
	v_add_co_u32 v4, vcc_lo, v0, s64
	s_wait_alu 0xfffd
	v_add_co_ci_u32_e64 v5, null, s65, v1, vcc_lo
	global_load_b64 v[4:5], v[4:5], off
	s_wait_loadcnt 0x0
	ds_store_b64 v180, v[4:5] offset:6336
.LBB2_24:                               ;   in Loop: Header=BB2_4 Depth=1
	s_wait_alu 0xfffe
	s_or_b32 exec_lo, exec_lo, s22
	v_add_co_u32 v0, vcc_lo, v0, v169
	s_wait_alu 0xfffd
	v_add_co_ci_u32_e64 v1, null, 0, v1, vcc_lo
	s_lshl_b64 s[22:23], s[52:53], 3
	s_wait_alu 0xfffe
	v_add_co_u32 v0, vcc_lo, v0, s22
	s_wait_alu 0xfffd
	v_add_co_ci_u32_e64 v1, null, s23, v1, vcc_lo
	s_mov_b32 s22, 0
	v_add_co_u32 v0, vcc_lo, v0, 8
	s_wait_alu 0xfffd
	v_add_co_ci_u32_e64 v1, null, 0, v1, vcc_lo
	s_delay_alu instid0(VALU_DEP_2) | instskip(NEXT) | instid1(VALU_DEP_2)
	v_cndmask_b32_e64 v0, v0, v2, s1
	v_cndmask_b32_e64 v1, v1, v3, s1
.LBB2_25:                               ;   in Loop: Header=BB2_4 Depth=1
	s_wait_alu 0xfffe
	s_and_b32 vcc_lo, exec_lo, s22
	s_wait_alu 0xfffe
	s_cbranch_vccz .LBB2_27
; %bb.26:                               ;   in Loop: Header=BB2_4 Depth=1
	s_lshl_b64 s[22:23], s[46:47], 3
	s_wait_alu 0xfffe
	v_add_co_u32 v0, vcc_lo, v2, s22
	s_wait_alu 0xfffd
	v_add_co_ci_u32_e64 v1, null, s23, v3, vcc_lo
	s_delay_alu instid0(VALU_DEP_2) | instskip(SKIP_1) | instid1(VALU_DEP_2)
	v_add_co_u32 v4, vcc_lo, v0, s54
	s_wait_alu 0xfffd
	v_add_co_ci_u32_e64 v5, null, s55, v1, vcc_lo
	s_delay_alu instid0(VALU_DEP_2) | instskip(SKIP_1) | instid1(VALU_DEP_2)
	v_add_co_u32 v6, vcc_lo, v4, s54
	s_wait_alu 0xfffd
	v_add_co_ci_u32_e64 v7, null, s55, v5, vcc_lo
	s_clause 0x3
	global_load_b64 v[8:9], v[2:3], off
	global_load_b64 v[10:11], v[0:1], off
	;; [unrolled: 1-line block ×4, first 2 shown]
	v_dual_mov_b32 v0, v2 :: v_dual_mov_b32 v1, v3
	s_wait_loadcnt 0x3
	ds_store_b64 v180, v[8:9]
	s_wait_loadcnt 0x2
	ds_store_b64 v180, v[10:11] offset:2112
	s_wait_loadcnt 0x1
	ds_store_b64 v180, v[4:5] offset:4224
	;; [unrolled: 2-line block ×3, first 2 shown]
.LBB2_27:                               ;   in Loop: Header=BB2_4 Depth=1
	s_mov_b32 s22, 0
	s_wait_dscnt 0x0
	s_barrier_signal -1
	s_barrier_wait -1
	global_inv scope:SCOPE_SE
	s_and_saveexec_b32 s23, s6
	s_wait_alu 0xfffe
	s_xor_b32 s23, exec_lo, s23
; %bb.28:                               ;   in Loop: Header=BB2_4 Depth=1
	s_and_b32 s22, s7, exec_lo
; %bb.29:                               ;   in Loop: Header=BB2_4 Depth=1
	s_wait_alu 0xfffe
	s_or_saveexec_b32 s23, s23
	v_dual_mov_b32 v2, 0 :: v_dual_mov_b32 v3, v107
	s_wait_alu 0xfffe
	s_xor_b32 exec_lo, exec_lo, s23
	s_cbranch_execz .LBB2_31
; %bb.30:                               ;   in Loop: Header=BB2_4 Depth=1
	ds_load_b64 v[4:5], v181
	v_mov_b32_e32 v3, v108
	s_or_b32 s22, s22, exec_lo
	s_wait_dscnt 0x0
	v_xor_b32_e32 v2, 0x80000000, v5
	ds_store_b32 v108, v4
.LBB2_31:                               ;   in Loop: Header=BB2_4 Depth=1
	s_or_b32 exec_lo, exec_lo, s23
	s_wait_alu 0xfffe
	s_and_saveexec_b32 s23, s22
; %bb.32:                               ;   in Loop: Header=BB2_4 Depth=1
	ds_store_b32 v3, v2 offset:4
; %bb.33:                               ;   in Loop: Header=BB2_4 Depth=1
	s_wait_alu 0xfffe
	s_or_b32 exec_lo, exec_lo, s23
	s_mov_b32 s22, 0
                                        ; implicit-def: $vgpr2
	s_and_saveexec_b32 s23, s8
	s_wait_alu 0xfffe
	s_xor_b32 s23, exec_lo, s23
	s_cbranch_execnz .LBB2_167
; %bb.34:                               ;   in Loop: Header=BB2_4 Depth=1
	s_wait_alu 0xfffe
	s_or_saveexec_b32 s23, s23
	v_mov_b32_e32 v3, v109
	s_wait_alu 0xfffe
	s_xor_b32 exec_lo, exec_lo, s23
	s_cbranch_execnz .LBB2_168
.LBB2_35:                               ;   in Loop: Header=BB2_4 Depth=1
	s_or_b32 exec_lo, exec_lo, s23
	s_and_saveexec_b32 s23, s22
.LBB2_36:                               ;   in Loop: Header=BB2_4 Depth=1
	ds_store_b32 v3, v2 offset:4
.LBB2_37:                               ;   in Loop: Header=BB2_4 Depth=1
	s_wait_alu 0xfffe
	s_or_b32 exec_lo, exec_lo, s23
	s_mov_b32 s22, 0
	s_and_saveexec_b32 s23, s10
	s_wait_alu 0xfffe
	s_xor_b32 s23, exec_lo, s23
; %bb.38:                               ;   in Loop: Header=BB2_4 Depth=1
	s_and_b32 s22, s11, exec_lo
; %bb.39:                               ;   in Loop: Header=BB2_4 Depth=1
	s_wait_alu 0xfffe
	s_or_saveexec_b32 s23, s23
	v_dual_mov_b32 v2, 0 :: v_dual_mov_b32 v3, v107
	s_wait_alu 0xfffe
	s_xor_b32 exec_lo, exec_lo, s23
	s_cbranch_execz .LBB2_41
; %bb.40:                               ;   in Loop: Header=BB2_4 Depth=1
	ds_load_b64 v[4:5], v183 offset:264
	v_mov_b32_e32 v3, v110
	s_or_b32 s22, s22, exec_lo
	s_wait_dscnt 0x0
	v_xor_b32_e32 v2, 0x80000000, v5
	ds_store_b32 v110, v4
.LBB2_41:                               ;   in Loop: Header=BB2_4 Depth=1
	s_or_b32 exec_lo, exec_lo, s23
	s_wait_alu 0xfffe
	s_and_saveexec_b32 s23, s22
; %bb.42:                               ;   in Loop: Header=BB2_4 Depth=1
	ds_store_b32 v3, v2 offset:4
; %bb.43:                               ;   in Loop: Header=BB2_4 Depth=1
	s_wait_alu 0xfffe
	s_or_b32 exec_lo, exec_lo, s23
	s_mov_b32 s22, 0
	s_and_saveexec_b32 s23, s12
	s_wait_alu 0xfffe
	s_xor_b32 s23, exec_lo, s23
; %bb.44:                               ;   in Loop: Header=BB2_4 Depth=1
	s_and_b32 s22, s13, exec_lo
; %bb.45:                               ;   in Loop: Header=BB2_4 Depth=1
	s_wait_alu 0xfffe
	s_or_saveexec_b32 s23, s23
	v_dual_mov_b32 v2, 0 :: v_dual_mov_b32 v3, v107
	s_wait_alu 0xfffe
	s_xor_b32 exec_lo, exec_lo, s23
	s_cbranch_execz .LBB2_47
; %bb.46:                               ;   in Loop: Header=BB2_4 Depth=1
	ds_load_b64 v[4:5], v183 offset:528
	v_mov_b32_e32 v3, v112
	s_or_b32 s22, s22, exec_lo
	s_wait_dscnt 0x0
	v_xor_b32_e32 v2, 0x80000000, v5
	ds_store_b32 v112, v4
.LBB2_47:                               ;   in Loop: Header=BB2_4 Depth=1
	s_or_b32 exec_lo, exec_lo, s23
	s_wait_alu 0xfffe
	s_and_saveexec_b32 s23, s22
; %bb.48:                               ;   in Loop: Header=BB2_4 Depth=1
	ds_store_b32 v3, v2 offset:4
; %bb.49:                               ;   in Loop: Header=BB2_4 Depth=1
	s_wait_alu 0xfffe
	s_or_b32 exec_lo, exec_lo, s23
	s_wait_loadcnt_dscnt 0x0
	s_barrier_signal -1
	s_barrier_wait -1
	global_inv scope:SCOPE_SE
	ds_load_b64 v[10:11], v181
	ds_load_b128 v[2:5], v113
	ds_load_2addr_b64 v[6:9], v183 offset1:33
	ds_load_b128 v[14:17], v113 offset:16
	ds_load_b64 v[18:19], v183 offset:528
	s_wait_loadcnt_dscnt 0x0
	s_barrier_signal -1
	s_barrier_wait -1
	global_inv scope:SCOPE_SE
	v_mov_b32_e32 v66, 0
	v_mul_f32_e32 v20, v3, v11
	v_dual_mul_f32 v11, v2, v11 :: v_dual_mul_f32 v22, v15, v9
	v_mul_f32_e32 v9, v14, v9
	s_delay_alu instid0(VALU_DEP_3) | instskip(SKIP_1) | instid1(VALU_DEP_4)
	v_fma_f32 v2, v2, v10, -v20
	v_mul_f32_e32 v21, v5, v7
	v_fmac_f32_e32 v11, v3, v10
	s_delay_alu instid0(VALU_DEP_4) | instskip(SKIP_3) | instid1(VALU_DEP_1)
	v_fmac_f32_e32 v9, v15, v8
	v_fma_f32 v10, v14, v8, -v22
	v_dual_add_f32 v2, 0, v2 :: v_dual_mul_f32 v7, v4, v7
	v_fma_f32 v4, v4, v6, -v21
	v_dual_add_f32 v2, v2, v4 :: v_dual_fmac_f32 v7, v5, v6
	v_mul_f32_e32 v6, v16, v19
	v_add_f32_e32 v5, 0, v11
	s_delay_alu instid0(VALU_DEP_3) | instskip(NEXT) | instid1(VALU_DEP_3)
	v_dual_mul_f32 v3, v17, v19 :: v_dual_add_f32 v2, v2, v10
	v_fmac_f32_e32 v6, v17, v18
	s_delay_alu instid0(VALU_DEP_3) | instskip(NEXT) | instid1(VALU_DEP_3)
	v_add_f32_e32 v4, v5, v7
	v_fma_f32 v3, v16, v18, -v3
	s_delay_alu instid0(VALU_DEP_2) | instskip(NEXT) | instid1(VALU_DEP_1)
	v_dual_mov_b32 v65, 0 :: v_dual_add_f32 v4, v4, v9
	v_dual_add_f32 v2, v2, v3 :: v_dual_add_f32 v3, v4, v6
	ds_store_b64 v114, v[2:3]
	s_wait_loadcnt_dscnt 0x0
	s_barrier_signal -1
	s_barrier_wait -1
	global_inv scope:SCOPE_SE
	s_and_saveexec_b32 s22, s14
	s_cbranch_execz .LBB2_51
; %bb.50:                               ;   in Loop: Header=BB2_4 Depth=1
	ds_load_2addr_b64 v[2:5], v111 offset1:7
	ds_load_2addr_b64 v[6:9], v111 offset0:1 offset1:2
	ds_load_2addr_b64 v[14:17], v111 offset0:3 offset1:4
	ds_load_2addr_b64 v[18:21], v111 offset0:5 offset1:6
	s_wait_dscnt 0x2
	v_dual_add_f32 v2, v6, v2 :: v_dual_add_f32 v3, v7, v3
	s_delay_alu instid0(VALU_DEP_1) | instskip(SKIP_1) | instid1(VALU_DEP_1)
	v_dual_add_f32 v2, v8, v2 :: v_dual_add_f32 v3, v9, v3
	s_wait_dscnt 0x1
	v_dual_add_f32 v2, v2, v14 :: v_dual_add_f32 v3, v3, v15
	s_delay_alu instid0(VALU_DEP_1) | instskip(SKIP_1) | instid1(VALU_DEP_1)
	v_dual_add_f32 v2, v2, v16 :: v_dual_add_f32 v3, v3, v17
	s_wait_dscnt 0x0
	v_dual_add_f32 v2, v2, v18 :: v_dual_add_f32 v3, v3, v19
	s_delay_alu instid0(VALU_DEP_1) | instskip(NEXT) | instid1(VALU_DEP_1)
	v_dual_add_f32 v2, v2, v20 :: v_dual_add_f32 v3, v3, v21
	v_dual_add_f32 v65, v2, v4 :: v_dual_add_f32 v66, v3, v5
.LBB2_51:                               ;   in Loop: Header=BB2_4 Depth=1
	s_wait_alu 0xfffe
	s_or_b32 exec_lo, exec_lo, s22
	v_add_co_u32 v4, vcc_lo, v0, s56
	s_wait_alu 0xfffd
	v_add_co_ci_u32_e64 v5, null, s57, v1, vcc_lo
	s_mov_b32 s22, -1
	v_add_co_u32 v2, vcc_lo, 0x100, v4
	s_wait_alu 0xfffd
	v_add_co_ci_u32_e64 v3, null, 0, v5, vcc_lo
	s_and_b32 vcc_lo, exec_lo, s69
	s_wait_loadcnt 0x0
	s_barrier_signal -1
	s_barrier_wait -1
	global_inv scope:SCOPE_SE
                                        ; implicit-def: $vgpr0_vgpr1
	s_wait_alu 0xfffe
	s_cbranch_vccz .LBB2_63
; %bb.52:                               ;   in Loop: Header=BB2_4 Depth=1
	s_and_saveexec_b32 s22, s16
	s_wait_alu 0xfffe
	s_xor_b32 s22, exec_lo, s22
; %bb.53:                               ;   in Loop: Header=BB2_4 Depth=1
	v_mov_b32_e32 v64, v63
	ds_store_b64 v180, v[63:64]
; %bb.54:                               ;   in Loop: Header=BB2_4 Depth=1
	s_wait_alu 0xfffe
	s_or_saveexec_b32 s22, s22
	v_add_co_u32 v0, vcc_lo, v4, v59
	s_wait_alu 0xfffd
	v_add_co_ci_u32_e64 v1, null, v5, v60, vcc_lo
	s_lshl_b64 s[64:65], s[30:31], 3
	s_wait_alu 0xfffe
	v_add_co_u32 v0, vcc_lo, v0, s64
	s_wait_alu 0xfffd
	v_add_co_ci_u32_e64 v1, null, s65, v1, vcc_lo
	s_delay_alu instid0(VALU_DEP_2) | instskip(SKIP_1) | instid1(VALU_DEP_2)
	v_add_co_u32 v0, vcc_lo, v0, -8
	s_wait_alu 0xfffd
	v_add_co_ci_u32_e64 v1, null, -1, v1, vcc_lo
	s_delay_alu instid0(VALU_DEP_2) | instskip(NEXT) | instid1(VALU_DEP_2)
	v_cndmask_b32_e64 v0, v0, v2, s15
	v_cndmask_b32_e64 v1, v1, v3, s15
	s_xor_b32 exec_lo, exec_lo, s22
	s_cbranch_execnz .LBB2_177
; %bb.55:                               ;   in Loop: Header=BB2_4 Depth=1
	s_or_b32 exec_lo, exec_lo, s22
	s_and_saveexec_b32 s22, s17
	s_wait_alu 0xfffe
	s_xor_b32 s22, exec_lo, s22
	s_cbranch_execnz .LBB2_178
.LBB2_56:                               ;   in Loop: Header=BB2_4 Depth=1
	s_wait_alu 0xfffe
	s_and_not1_saveexec_b32 s22, s22
	s_cbranch_execnz .LBB2_179
.LBB2_57:                               ;   in Loop: Header=BB2_4 Depth=1
	s_wait_alu 0xfffe
	s_or_b32 exec_lo, exec_lo, s22
	s_and_saveexec_b32 s22, s18
	s_wait_alu 0xfffe
	s_xor_b32 s22, exec_lo, s22
	s_cbranch_execnz .LBB2_180
.LBB2_58:                               ;   in Loop: Header=BB2_4 Depth=1
	s_wait_alu 0xfffe
	s_and_not1_saveexec_b32 s22, s22
	s_cbranch_execnz .LBB2_181
.LBB2_59:                               ;   in Loop: Header=BB2_4 Depth=1
	s_wait_alu 0xfffe
	s_or_b32 exec_lo, exec_lo, s22
	s_and_saveexec_b32 s22, s19
	s_wait_alu 0xfffe
	s_xor_b32 s22, exec_lo, s22
	s_cbranch_execnz .LBB2_182
.LBB2_60:                               ;   in Loop: Header=BB2_4 Depth=1
	s_wait_alu 0xfffe
	s_and_not1_saveexec_b32 s22, s22
	s_cbranch_execz .LBB2_62
.LBB2_61:                               ;   in Loop: Header=BB2_4 Depth=1
	s_lshl_b64 s[64:65], s[50:51], 3
	s_wait_alu 0xfffe
	v_add_co_u32 v6, vcc_lo, v0, s64
	s_wait_alu 0xfffd
	v_add_co_ci_u32_e64 v7, null, s65, v1, vcc_lo
	global_load_b64 v[6:7], v[6:7], off
	s_wait_loadcnt 0x0
	ds_store_b64 v180, v[6:7] offset:6336
.LBB2_62:                               ;   in Loop: Header=BB2_4 Depth=1
	s_wait_alu 0xfffe
	s_or_b32 exec_lo, exec_lo, s22
	v_add_co_u32 v0, vcc_lo, v0, v169
	s_wait_alu 0xfffd
	v_add_co_ci_u32_e64 v1, null, 0, v1, vcc_lo
	s_lshl_b64 s[22:23], s[52:53], 3
	s_wait_alu 0xfffe
	v_add_co_u32 v0, vcc_lo, v0, s22
	s_wait_alu 0xfffd
	v_add_co_ci_u32_e64 v1, null, s23, v1, vcc_lo
	s_mov_b32 s22, 0
	v_add_co_u32 v0, vcc_lo, 0x108, v0
	s_wait_alu 0xfffd
	v_add_co_ci_u32_e64 v1, null, 0, v1, vcc_lo
	s_delay_alu instid0(VALU_DEP_2) | instskip(NEXT) | instid1(VALU_DEP_2)
	v_cndmask_b32_e64 v0, v0, v2, s15
	v_cndmask_b32_e64 v1, v1, v3, s15
.LBB2_63:                               ;   in Loop: Header=BB2_4 Depth=1
	s_wait_alu 0xfffe
	s_and_b32 vcc_lo, exec_lo, s22
	s_wait_alu 0xfffe
	s_cbranch_vccz .LBB2_65
; %bb.64:                               ;   in Loop: Header=BB2_4 Depth=1
	s_lshl_b64 s[22:23], s[46:47], 3
	s_wait_alu 0xfffe
	v_add_co_u32 v0, vcc_lo, v4, s22
	s_wait_alu 0xfffd
	v_add_co_ci_u32_e64 v1, null, s23, v5, vcc_lo
	s_delay_alu instid0(VALU_DEP_2) | instskip(SKIP_1) | instid1(VALU_DEP_2)
	v_add_co_u32 v6, vcc_lo, v0, s54
	s_wait_alu 0xfffd
	v_add_co_ci_u32_e64 v7, null, s55, v1, vcc_lo
	s_delay_alu instid0(VALU_DEP_2) | instskip(SKIP_1) | instid1(VALU_DEP_2)
	v_add_co_u32 v8, vcc_lo, v6, s54
	s_wait_alu 0xfffd
	v_add_co_ci_u32_e64 v9, null, s55, v7, vcc_lo
	s_clause 0x3
	global_load_b64 v[4:5], v[4:5], off offset:256
	global_load_b64 v[10:11], v[0:1], off offset:256
	;; [unrolled: 1-line block ×4, first 2 shown]
	v_dual_mov_b32 v0, v2 :: v_dual_mov_b32 v1, v3
	s_wait_loadcnt 0x3
	ds_store_b64 v180, v[4:5]
	s_wait_loadcnt 0x2
	ds_store_b64 v180, v[10:11] offset:2112
	s_wait_loadcnt 0x1
	ds_store_b64 v180, v[6:7] offset:4224
	;; [unrolled: 2-line block ×3, first 2 shown]
.LBB2_65:                               ;   in Loop: Header=BB2_4 Depth=1
	s_mov_b32 s22, 0
	s_wait_loadcnt_dscnt 0x0
	s_barrier_signal -1
	s_barrier_wait -1
	global_inv scope:SCOPE_SE
	s_and_saveexec_b32 s23, s6
	s_wait_alu 0xfffe
	s_xor_b32 s23, exec_lo, s23
; %bb.66:                               ;   in Loop: Header=BB2_4 Depth=1
	s_and_b32 s22, s7, exec_lo
; %bb.67:                               ;   in Loop: Header=BB2_4 Depth=1
	s_wait_alu 0xfffe
	s_or_saveexec_b32 s23, s23
	v_dual_mov_b32 v2, 0 :: v_dual_mov_b32 v3, v107
	s_wait_alu 0xfffe
	s_xor_b32 exec_lo, exec_lo, s23
	s_cbranch_execz .LBB2_69
; %bb.68:                               ;   in Loop: Header=BB2_4 Depth=1
	ds_load_b64 v[4:5], v181
	v_mov_b32_e32 v3, v108
	s_or_b32 s22, s22, exec_lo
	s_wait_dscnt 0x0
	v_xor_b32_e32 v2, 0x80000000, v5
	ds_store_b32 v108, v4
.LBB2_69:                               ;   in Loop: Header=BB2_4 Depth=1
	s_or_b32 exec_lo, exec_lo, s23
	s_wait_alu 0xfffe
	s_and_saveexec_b32 s23, s22
; %bb.70:                               ;   in Loop: Header=BB2_4 Depth=1
	ds_store_b32 v3, v2 offset:4
; %bb.71:                               ;   in Loop: Header=BB2_4 Depth=1
	s_wait_alu 0xfffe
	s_or_b32 exec_lo, exec_lo, s23
	s_mov_b32 s22, 0
                                        ; implicit-def: $vgpr2
	s_and_saveexec_b32 s23, s8
	s_wait_alu 0xfffe
	s_xor_b32 s23, exec_lo, s23
	s_cbranch_execnz .LBB2_169
; %bb.72:                               ;   in Loop: Header=BB2_4 Depth=1
	s_wait_alu 0xfffe
	s_or_saveexec_b32 s23, s23
	v_mov_b32_e32 v3, v109
	s_wait_alu 0xfffe
	s_xor_b32 exec_lo, exec_lo, s23
	s_cbranch_execnz .LBB2_170
.LBB2_73:                               ;   in Loop: Header=BB2_4 Depth=1
	s_or_b32 exec_lo, exec_lo, s23
	s_and_saveexec_b32 s23, s22
.LBB2_74:                               ;   in Loop: Header=BB2_4 Depth=1
	ds_store_b32 v3, v2 offset:4
.LBB2_75:                               ;   in Loop: Header=BB2_4 Depth=1
	s_wait_alu 0xfffe
	s_or_b32 exec_lo, exec_lo, s23
	s_mov_b32 s22, 0
	s_and_saveexec_b32 s23, s10
	s_wait_alu 0xfffe
	s_xor_b32 s23, exec_lo, s23
; %bb.76:                               ;   in Loop: Header=BB2_4 Depth=1
	s_and_b32 s22, s11, exec_lo
; %bb.77:                               ;   in Loop: Header=BB2_4 Depth=1
	s_wait_alu 0xfffe
	s_or_saveexec_b32 s23, s23
	v_dual_mov_b32 v2, 0 :: v_dual_mov_b32 v3, v107
	s_wait_alu 0xfffe
	s_xor_b32 exec_lo, exec_lo, s23
	s_cbranch_execz .LBB2_79
; %bb.78:                               ;   in Loop: Header=BB2_4 Depth=1
	ds_load_b64 v[4:5], v183 offset:264
	v_mov_b32_e32 v3, v110
	s_or_b32 s22, s22, exec_lo
	s_wait_dscnt 0x0
	v_xor_b32_e32 v2, 0x80000000, v5
	ds_store_b32 v110, v4
.LBB2_79:                               ;   in Loop: Header=BB2_4 Depth=1
	s_or_b32 exec_lo, exec_lo, s23
	s_wait_alu 0xfffe
	s_and_saveexec_b32 s23, s22
; %bb.80:                               ;   in Loop: Header=BB2_4 Depth=1
	ds_store_b32 v3, v2 offset:4
; %bb.81:                               ;   in Loop: Header=BB2_4 Depth=1
	s_wait_alu 0xfffe
	s_or_b32 exec_lo, exec_lo, s23
	s_mov_b32 s22, 0
	s_and_saveexec_b32 s23, s12
	s_wait_alu 0xfffe
	s_xor_b32 s23, exec_lo, s23
; %bb.82:                               ;   in Loop: Header=BB2_4 Depth=1
	s_and_b32 s22, s13, exec_lo
; %bb.83:                               ;   in Loop: Header=BB2_4 Depth=1
	s_wait_alu 0xfffe
	s_or_saveexec_b32 s23, s23
	v_dual_mov_b32 v2, 0 :: v_dual_mov_b32 v3, v107
	s_wait_alu 0xfffe
	s_xor_b32 exec_lo, exec_lo, s23
	s_cbranch_execz .LBB2_85
; %bb.84:                               ;   in Loop: Header=BB2_4 Depth=1
	ds_load_b64 v[4:5], v183 offset:528
	v_mov_b32_e32 v3, v112
	s_or_b32 s22, s22, exec_lo
	s_wait_dscnt 0x0
	v_xor_b32_e32 v2, 0x80000000, v5
	ds_store_b32 v112, v4
.LBB2_85:                               ;   in Loop: Header=BB2_4 Depth=1
	s_or_b32 exec_lo, exec_lo, s23
	s_wait_alu 0xfffe
	s_and_saveexec_b32 s23, s22
; %bb.86:                               ;   in Loop: Header=BB2_4 Depth=1
	ds_store_b32 v3, v2 offset:4
; %bb.87:                               ;   in Loop: Header=BB2_4 Depth=1
	s_wait_alu 0xfffe
	s_or_b32 exec_lo, exec_lo, s23
	s_wait_loadcnt_dscnt 0x0
	s_barrier_signal -1
	s_barrier_wait -1
	global_inv scope:SCOPE_SE
	ds_load_b64 v[10:11], v181
	ds_load_b128 v[2:5], v113 offset:256
	ds_load_2addr_b64 v[6:9], v183 offset1:33
	ds_load_b128 v[14:17], v113 offset:272
	ds_load_b64 v[18:19], v183 offset:528
	s_wait_loadcnt_dscnt 0x0
	s_barrier_signal -1
	s_barrier_wait -1
	global_inv scope:SCOPE_SE
	v_mul_f32_e32 v20, v3, v11
	v_dual_mul_f32 v11, v2, v11 :: v_dual_mul_f32 v22, v15, v9
	v_mul_f32_e32 v9, v14, v9
	s_delay_alu instid0(VALU_DEP_3) | instskip(SKIP_1) | instid1(VALU_DEP_4)
	v_fma_f32 v2, v2, v10, -v20
	v_mul_f32_e32 v21, v5, v7
	v_fmac_f32_e32 v11, v3, v10
	s_delay_alu instid0(VALU_DEP_4) | instskip(SKIP_3) | instid1(VALU_DEP_1)
	v_fmac_f32_e32 v9, v15, v8
	v_fma_f32 v10, v14, v8, -v22
	v_dual_add_f32 v2, 0, v2 :: v_dual_mul_f32 v7, v4, v7
	v_fma_f32 v4, v4, v6, -v21
	v_dual_add_f32 v2, v2, v4 :: v_dual_fmac_f32 v7, v5, v6
	v_mul_f32_e32 v6, v16, v19
	v_add_f32_e32 v5, 0, v11
	s_delay_alu instid0(VALU_DEP_3) | instskip(NEXT) | instid1(VALU_DEP_3)
	v_dual_mul_f32 v3, v17, v19 :: v_dual_add_f32 v2, v2, v10
	v_fmac_f32_e32 v6, v17, v18
	s_delay_alu instid0(VALU_DEP_3) | instskip(NEXT) | instid1(VALU_DEP_3)
	v_add_f32_e32 v4, v5, v7
	v_fma_f32 v3, v16, v18, -v3
	s_delay_alu instid0(VALU_DEP_2) | instskip(NEXT) | instid1(VALU_DEP_1)
	v_add_f32_e32 v4, v4, v9
	v_dual_add_f32 v2, v2, v3 :: v_dual_add_f32 v3, v4, v6
	ds_store_b64 v114, v[2:3]
	s_wait_loadcnt_dscnt 0x0
	s_barrier_signal -1
	s_barrier_wait -1
	global_inv scope:SCOPE_SE
	s_and_saveexec_b32 s22, s20
	s_cbranch_execz .LBB2_89
; %bb.88:                               ;   in Loop: Header=BB2_4 Depth=1
	ds_load_2addr_b64 v[2:5], v111 offset1:7
	ds_load_2addr_b64 v[6:9], v111 offset0:1 offset1:2
	ds_load_2addr_b64 v[14:17], v111 offset0:3 offset1:4
	;; [unrolled: 1-line block ×3, first 2 shown]
	s_wait_dscnt 0x2
	v_dual_add_f32 v2, v6, v2 :: v_dual_add_f32 v3, v7, v3
	s_delay_alu instid0(VALU_DEP_1) | instskip(SKIP_1) | instid1(VALU_DEP_1)
	v_dual_add_f32 v2, v8, v2 :: v_dual_add_f32 v3, v9, v3
	s_wait_dscnt 0x1
	v_dual_add_f32 v2, v2, v14 :: v_dual_add_f32 v3, v3, v15
	s_delay_alu instid0(VALU_DEP_1) | instskip(SKIP_1) | instid1(VALU_DEP_1)
	v_dual_add_f32 v2, v2, v16 :: v_dual_add_f32 v3, v3, v17
	s_wait_dscnt 0x0
	v_dual_add_f32 v2, v2, v18 :: v_dual_add_f32 v3, v3, v19
	s_delay_alu instid0(VALU_DEP_1) | instskip(NEXT) | instid1(VALU_DEP_1)
	v_dual_add_f32 v2, v2, v20 :: v_dual_add_f32 v3, v3, v21
	v_dual_add_f32 v65, v2, v4 :: v_dual_add_f32 v66, v3, v5
.LBB2_89:                               ;   in Loop: Header=BB2_4 Depth=1
	s_wait_alu 0xfffe
	s_or_b32 exec_lo, exec_lo, s22
	v_add_co_u32 v2, vcc_lo, 0xffffff00, v0
	s_wait_alu 0xfffd
	v_add_co_ci_u32_e64 v3, null, -1, v1, vcc_lo
	s_and_b32 vcc_lo, exec_lo, s69
	s_mov_b32 s22, -1
	s_wait_loadcnt 0x0
	s_barrier_signal -1
	s_barrier_wait -1
	global_inv scope:SCOPE_SE
                                        ; implicit-def: $vgpr14_vgpr15
	s_wait_alu 0xfffe
	s_cbranch_vccz .LBB2_101
; %bb.90:                               ;   in Loop: Header=BB2_4 Depth=1
	s_and_saveexec_b32 s22, s16
	s_wait_alu 0xfffe
	s_xor_b32 s22, exec_lo, s22
; %bb.91:                               ;   in Loop: Header=BB2_4 Depth=1
	v_mov_b32_e32 v64, v63
	ds_store_b64 v180, v[63:64]
; %bb.92:                               ;   in Loop: Header=BB2_4 Depth=1
	s_wait_alu 0xfffe
	s_or_saveexec_b32 s22, s22
	v_add_co_u32 v4, vcc_lo, v0, v59
	s_wait_alu 0xfffd
	v_add_co_ci_u32_e64 v5, null, v1, v60, vcc_lo
	s_lshl_b64 s[64:65], s[30:31], 3
	s_wait_alu 0xfffe
	v_add_co_u32 v4, vcc_lo, v4, s64
	s_wait_alu 0xfffd
	v_add_co_ci_u32_e64 v5, null, s65, v5, vcc_lo
	s_delay_alu instid0(VALU_DEP_2) | instskip(SKIP_1) | instid1(VALU_DEP_2)
	v_add_co_u32 v4, vcc_lo, 0xfffffef8, v4
	s_wait_alu 0xfffd
	v_add_co_ci_u32_e64 v5, null, -1, v5, vcc_lo
	s_delay_alu instid0(VALU_DEP_2) | instskip(NEXT) | instid1(VALU_DEP_2)
	v_cndmask_b32_e64 v4, v4, v2, s1
	v_cndmask_b32_e64 v5, v5, v3, s1
	s_xor_b32 exec_lo, exec_lo, s22
	s_cbranch_execnz .LBB2_183
; %bb.93:                               ;   in Loop: Header=BB2_4 Depth=1
	s_or_b32 exec_lo, exec_lo, s22
	s_and_saveexec_b32 s22, s17
	s_wait_alu 0xfffe
	s_xor_b32 s22, exec_lo, s22
	s_cbranch_execnz .LBB2_184
.LBB2_94:                               ;   in Loop: Header=BB2_4 Depth=1
	s_wait_alu 0xfffe
	s_and_not1_saveexec_b32 s22, s22
	s_cbranch_execnz .LBB2_185
.LBB2_95:                               ;   in Loop: Header=BB2_4 Depth=1
	s_wait_alu 0xfffe
	s_or_b32 exec_lo, exec_lo, s22
	s_and_saveexec_b32 s22, s18
	s_wait_alu 0xfffe
	s_xor_b32 s22, exec_lo, s22
	s_cbranch_execnz .LBB2_186
.LBB2_96:                               ;   in Loop: Header=BB2_4 Depth=1
	s_wait_alu 0xfffe
	s_and_not1_saveexec_b32 s22, s22
	s_cbranch_execnz .LBB2_187
.LBB2_97:                               ;   in Loop: Header=BB2_4 Depth=1
	s_wait_alu 0xfffe
	s_or_b32 exec_lo, exec_lo, s22
	s_and_saveexec_b32 s22, s19
	s_wait_alu 0xfffe
	s_xor_b32 s22, exec_lo, s22
	s_cbranch_execnz .LBB2_188
.LBB2_98:                               ;   in Loop: Header=BB2_4 Depth=1
	s_wait_alu 0xfffe
	s_and_not1_saveexec_b32 s22, s22
	s_cbranch_execz .LBB2_100
.LBB2_99:                               ;   in Loop: Header=BB2_4 Depth=1
	s_lshl_b64 s[64:65], s[50:51], 3
	s_wait_alu 0xfffe
	v_add_co_u32 v6, vcc_lo, v4, s64
	s_wait_alu 0xfffd
	v_add_co_ci_u32_e64 v7, null, s65, v5, vcc_lo
	global_load_b64 v[6:7], v[6:7], off
	s_wait_loadcnt 0x0
	ds_store_b64 v180, v[6:7] offset:6336
.LBB2_100:                              ;   in Loop: Header=BB2_4 Depth=1
	s_wait_alu 0xfffe
	s_or_b32 exec_lo, exec_lo, s22
	v_add_co_u32 v4, vcc_lo, v4, v169
	s_wait_alu 0xfffd
	v_add_co_ci_u32_e64 v5, null, 0, v5, vcc_lo
	s_lshl_b64 s[22:23], s[52:53], 3
	s_wait_alu 0xfffe
	v_add_co_u32 v4, vcc_lo, v4, s22
	s_wait_alu 0xfffd
	v_add_co_ci_u32_e64 v5, null, s23, v5, vcc_lo
	s_mov_b32 s22, 0
	v_add_co_u32 v4, vcc_lo, v4, 8
	s_wait_alu 0xfffd
	v_add_co_ci_u32_e64 v5, null, 0, v5, vcc_lo
	s_delay_alu instid0(VALU_DEP_2) | instskip(NEXT) | instid1(VALU_DEP_2)
	v_cndmask_b32_e64 v14, v4, v2, s1
	v_cndmask_b32_e64 v15, v5, v3, s1
.LBB2_101:                              ;   in Loop: Header=BB2_4 Depth=1
	s_wait_alu 0xfffe
	s_and_b32 vcc_lo, exec_lo, s22
	s_wait_alu 0xfffe
	s_cbranch_vccz .LBB2_103
; %bb.102:                              ;   in Loop: Header=BB2_4 Depth=1
	s_lshl_b64 s[22:23], s[46:47], 3
	v_dual_mov_b32 v15, v3 :: v_dual_mov_b32 v14, v2
	s_wait_alu 0xfffe
	v_add_co_u32 v4, vcc_lo, v0, s22
	s_wait_alu 0xfffd
	v_add_co_ci_u32_e64 v5, null, s23, v1, vcc_lo
	s_delay_alu instid0(VALU_DEP_2) | instskip(SKIP_1) | instid1(VALU_DEP_2)
	v_add_co_u32 v6, vcc_lo, v4, s54
	s_wait_alu 0xfffd
	v_add_co_ci_u32_e64 v7, null, s55, v5, vcc_lo
	s_delay_alu instid0(VALU_DEP_2) | instskip(SKIP_1) | instid1(VALU_DEP_2)
	v_add_co_u32 v8, vcc_lo, v6, s54
	s_wait_alu 0xfffd
	v_add_co_ci_u32_e64 v9, null, s55, v7, vcc_lo
	s_clause 0x3
	global_load_b64 v[0:1], v[0:1], off offset:-256
	global_load_b64 v[4:5], v[4:5], off offset:-256
	;; [unrolled: 1-line block ×4, first 2 shown]
	s_wait_loadcnt 0x3
	ds_store_b64 v180, v[0:1]
	s_wait_loadcnt 0x2
	ds_store_b64 v180, v[4:5] offset:2112
	s_wait_loadcnt 0x1
	ds_store_b64 v180, v[6:7] offset:4224
	;; [unrolled: 2-line block ×3, first 2 shown]
.LBB2_103:                              ;   in Loop: Header=BB2_4 Depth=1
	v_add_nc_u32_e32 v0, v113, v116
	v_add_nc_u32_e32 v1, v108, v116
	s_wait_loadcnt_dscnt 0x0
	s_barrier_signal -1
	s_barrier_wait -1
	global_inv scope:SCOPE_SE
	ds_load_b64 v[28:29], v0
	ds_load_2addr_b64 v[20:23], v114 offset0:8 offset1:16
	ds_load_2addr_b64 v[24:27], v139 offset0:8 offset1:16
	ds_load_b64 v[30:31], v1
	ds_load_b64 v[32:33], v114 offset:192
	ds_load_b64 v[34:35], v139 offset:192
	ds_load_b128 v[8:11], v113 offset:256
	ds_load_b128 v[0:3], v113 offset:272
	ds_load_2addr_b64 v[4:7], v183 offset1:33
	ds_load_b64 v[18:19], v181
	ds_load_b64 v[16:17], v183 offset:528
	s_wait_loadcnt_dscnt 0x0
	s_barrier_signal -1
	s_barrier_wait -1
	global_inv scope:SCOPE_SE
	v_mul_f32_e32 v36, v21, v25
	v_mul_f32_e32 v37, v31, v29
	v_dual_mul_f32 v21, v21, v24 :: v_dual_mul_f32 v38, v23, v27
	v_mul_f32_e32 v31, v31, v28
	s_delay_alu instid0(VALU_DEP_4) | instskip(NEXT) | instid1(VALU_DEP_3)
	v_dual_mul_f32 v23, v23, v26 :: v_dual_fmac_f32 v36, v20, v24
	v_fma_f32 v20, v20, v25, -v21
	s_delay_alu instid0(VALU_DEP_4) | instskip(NEXT) | instid1(VALU_DEP_3)
	v_fmac_f32_e32 v38, v22, v26
	v_fma_f32 v22, v22, v27, -v23
	v_fmac_f32_e32 v37, v30, v28
	v_fma_f32 v28, v30, v29, -v31
	s_delay_alu instid0(VALU_DEP_1) | instskip(SKIP_1) | instid1(VALU_DEP_2)
	v_dual_mul_f32 v29, v33, v35 :: v_dual_add_f32 v24, 0, v28
	v_mul_f32_e32 v25, v33, v34
	v_fmac_f32_e32 v29, v32, v34
	s_delay_alu instid0(VALU_DEP_3) | instskip(NEXT) | instid1(VALU_DEP_3)
	v_add_f32_e32 v20, v24, v20
	v_fma_f32 v23, v32, v35, -v25
	s_delay_alu instid0(VALU_DEP_2) | instskip(NEXT) | instid1(VALU_DEP_1)
	v_dual_add_f32 v22, v20, v22 :: v_dual_add_f32 v21, 0, v37
	v_add_f32_e32 v21, v21, v36
	s_delay_alu instid0(VALU_DEP_1) | instskip(NEXT) | instid1(VALU_DEP_1)
	v_add_f32_e32 v21, v21, v38
	v_dual_add_f32 v20, v21, v29 :: v_dual_add_f32 v21, v22, v23
	ds_store_b64 v114, v[20:21]
	s_wait_loadcnt_dscnt 0x0
	s_barrier_signal -1
	s_barrier_wait -1
	global_inv scope:SCOPE_SE
	s_and_saveexec_b32 s22, s20
	s_cbranch_execz .LBB2_105
; %bb.104:                              ;   in Loop: Header=BB2_4 Depth=1
	ds_load_2addr_b64 v[20:23], v111 offset1:1
	ds_load_2addr_b64 v[24:27], v111 offset0:2 offset1:3
	ds_load_2addr_b64 v[28:31], v111 offset0:4 offset1:5
	s_wait_dscnt 0x2
	v_dual_add_f32 v20, v65, v20 :: v_dual_add_f32 v21, v66, v21
	s_delay_alu instid0(VALU_DEP_1) | instskip(SKIP_3) | instid1(VALU_DEP_1)
	v_dual_add_f32 v32, v20, v22 :: v_dual_add_f32 v33, v21, v23
	ds_load_2addr_b64 v[20:23], v111 offset0:6 offset1:7
	s_wait_dscnt 0x2
	v_dual_add_f32 v24, v32, v24 :: v_dual_add_f32 v25, v33, v25
	v_dual_add_f32 v24, v24, v26 :: v_dual_add_f32 v25, v25, v27
	s_wait_dscnt 0x1
	s_delay_alu instid0(VALU_DEP_1) | instskip(NEXT) | instid1(VALU_DEP_1)
	v_dual_add_f32 v24, v24, v28 :: v_dual_add_f32 v25, v25, v29
	v_dual_add_f32 v24, v24, v30 :: v_dual_add_f32 v25, v25, v31
	s_wait_dscnt 0x0
	s_delay_alu instid0(VALU_DEP_1) | instskip(NEXT) | instid1(VALU_DEP_1)
	v_dual_add_f32 v20, v24, v20 :: v_dual_add_f32 v21, v25, v21
	v_dual_add_f32 v65, v20, v22 :: v_dual_add_f32 v66, v21, v23
.LBB2_105:                              ;   in Loop: Header=BB2_4 Depth=1
	s_wait_alu 0xfffe
	s_or_b32 exec_lo, exec_lo, s22
	v_dual_mul_f32 v20, v9, v19 :: v_dual_mul_f32 v21, v11, v5
	v_mul_f32_e32 v19, v8, v19
	v_dual_mul_f32 v5, v10, v5 :: v_dual_mul_f32 v22, v1, v7
	s_delay_alu instid0(VALU_DEP_3) | instskip(NEXT) | instid1(VALU_DEP_4)
	v_fma_f32 v8, v8, v18, -v20
	v_fma_f32 v10, v10, v4, -v21
	v_mul_f32_e32 v7, v0, v7
	s_wait_loadcnt 0x0
	v_fma_f32 v0, v0, v6, -v22
	v_add_f32_e32 v8, 0, v8
	v_fmac_f32_e32 v5, v11, v4
	v_fmac_f32_e32 v7, v1, v6
	s_barrier_signal -1
	s_barrier_wait -1
	v_add_f32_e32 v8, v8, v10
	v_fmac_f32_e32 v19, v9, v18
	global_inv scope:SCOPE_SE
	v_dual_add_f32 v0, v8, v0 :: v_dual_mul_f32 v9, v3, v17
	v_dual_add_f32 v4, 0, v19 :: v_dual_mul_f32 v11, v2, v17
	s_delay_alu instid0(VALU_DEP_2) | instskip(NEXT) | instid1(VALU_DEP_2)
	v_fma_f32 v2, v2, v16, -v9
	v_add_f32_e32 v1, v4, v5
	s_delay_alu instid0(VALU_DEP_2) | instskip(NEXT) | instid1(VALU_DEP_2)
	v_dual_add_f32 v0, v0, v2 :: v_dual_fmac_f32 v11, v3, v16
	v_add_f32_e32 v1, v1, v7
	s_delay_alu instid0(VALU_DEP_1)
	v_add_f32_e32 v1, v1, v11
	ds_store_b64 v114, v[0:1]
	s_wait_loadcnt_dscnt 0x0
	s_barrier_signal -1
	s_barrier_wait -1
	global_inv scope:SCOPE_SE
	s_and_saveexec_b32 s22, s14
	s_cbranch_execz .LBB2_107
; %bb.106:                              ;   in Loop: Header=BB2_4 Depth=1
	ds_load_2addr_b64 v[0:3], v111 offset1:1
	ds_load_2addr_b64 v[4:7], v111 offset0:2 offset1:3
	ds_load_2addr_b64 v[8:11], v111 offset0:4 offset1:5
	s_wait_dscnt 0x2
	v_dual_add_f32 v0, v65, v0 :: v_dual_add_f32 v1, v66, v1
	s_delay_alu instid0(VALU_DEP_1) | instskip(SKIP_3) | instid1(VALU_DEP_1)
	v_dual_add_f32 v16, v0, v2 :: v_dual_add_f32 v17, v1, v3
	ds_load_2addr_b64 v[0:3], v111 offset0:6 offset1:7
	s_wait_dscnt 0x2
	v_dual_add_f32 v4, v16, v4 :: v_dual_add_f32 v5, v17, v5
	v_dual_add_f32 v4, v4, v6 :: v_dual_add_f32 v5, v5, v7
	s_wait_dscnt 0x1
	s_delay_alu instid0(VALU_DEP_1) | instskip(NEXT) | instid1(VALU_DEP_1)
	v_dual_add_f32 v4, v4, v8 :: v_dual_add_f32 v5, v5, v9
	v_dual_add_f32 v4, v4, v10 :: v_dual_add_f32 v5, v5, v11
	s_wait_dscnt 0x0
	s_delay_alu instid0(VALU_DEP_1) | instskip(NEXT) | instid1(VALU_DEP_1)
	v_dual_add_f32 v0, v4, v0 :: v_dual_add_f32 v1, v5, v1
	v_dual_add_f32 v65, v0, v2 :: v_dual_add_f32 v66, v1, v3
.LBB2_107:                              ;   in Loop: Header=BB2_4 Depth=1
	s_wait_alu 0xfffe
	s_or_b32 exec_lo, exec_lo, s22
	s_mul_u64 s[22:23], s[28:29], s[34:35]
	s_and_not1_b32 vcc_lo, exec_lo, s49
	s_wait_alu 0xfffe
	s_lshl_b64 s[22:23], s[22:23], 3
	s_wait_loadcnt 0x0
	s_wait_alu 0xfffe
	s_add_nc_u64 s[64:65], s[42:43], s[22:23]
	s_barrier_signal -1
	s_barrier_wait -1
	global_inv scope:SCOPE_SE
	s_cbranch_vccnz .LBB2_165
; %bb.108:                              ;   in Loop: Header=BB2_4 Depth=1
	v_add_co_u32 v186, vcc_lo, v12, s62
	s_wait_alu 0xfffd
	v_add_co_ci_u32_e64 v187, null, s63, v13, vcc_lo
	v_add_co_u32 v188, vcc_lo, v14, v144
	s_wait_alu 0xfffd
	v_add_co_ci_u32_e64 v189, null, v15, v143, vcc_lo
	;; [unrolled: 3-line block ×21, first 2 shown]
	v_mov_b32_e32 v67, v140
	s_mov_b32 s23, ttmp9
	s_mov_b32 s66, s74
	s_wait_alu 0xfffe
	s_cmp_eq_u32 s71, s23
	s_cselect_b32 s75, s68, 0
	s_and_saveexec_b32 s22, s0
	s_cbranch_execz .LBB2_113
.LBB2_109:                              ;   in Loop: Header=BB2_4 Depth=1
	s_wait_alu 0xfffe
	v_cmp_le_i32_e32 vcc_lo, s75, v56
	s_cmp_lg_u32 s75, 0
	s_cselect_b32 s67, -1, 0
	s_wait_alu 0xfffe
	s_and_b32 s67, s67, vcc_lo
	s_wait_alu 0xfffe
	s_and_saveexec_b32 s76, s67
	s_wait_alu 0xfffe
	s_xor_b32 s67, exec_lo, s76
; %bb.110:                              ;   in Loop: Header=BB2_4 Depth=1
	v_mov_b32_e32 v64, v63
	ds_store_b64 v117, v[63:64]
; %bb.111:                              ;   in Loop: Header=BB2_4 Depth=1
	s_wait_alu 0xfffe
	s_and_not1_saveexec_b32 s67, s67
	s_cbranch_execz .LBB2_113
; %bb.112:                              ;   in Loop: Header=BB2_4 Depth=1
	s_ashr_i32 s67, s66, 31
	s_wait_alu 0xfffe
	s_lshl_b64 s[76:77], s[66:67], 3
	s_wait_alu 0xfffe
	v_add_co_u32 v0, vcc_lo, v186, s76
	s_wait_alu 0xfffd
	v_add_co_ci_u32_e64 v1, null, s77, v187, vcc_lo
	global_load_b64 v[0:1], v[0:1], off
	s_wait_loadcnt 0x0
	ds_store_b64 v117, v[0:1]
.LBB2_113:                              ;   Parent Loop BB2_4 Depth=1
                                        ; =>  This Inner Loop Header: Depth=2
	s_wait_alu 0xfffe
	s_or_b32 exec_lo, exec_lo, s22
	s_cmp_eq_u32 s75, 0
	v_add_co_u32 v0, vcc_lo, v188, v141
	s_cselect_b32 s67, -1, 0
	s_cmp_lg_u32 s75, 0
	s_wait_alu 0xfffd
	v_add_co_ci_u32_e64 v1, null, v189, v142, vcc_lo
	s_cselect_b32 s22, -1, 0
	s_wait_loadcnt_dscnt 0x0
	s_wait_alu 0xfffe
	s_and_b32 vcc_lo, exec_lo, s22
	s_barrier_signal -1
	s_barrier_wait -1
	global_inv scope:SCOPE_SE
	s_wait_alu 0xfffe
	s_cbranch_vccz .LBB2_121
; %bb.114:                              ;   in Loop: Header=BB2_113 Depth=2
	v_dual_mov_b32 v71, 0 :: v_dual_mov_b32 v70, 0
	v_mov_b32_e32 v69, 0
	s_mov_b32 s76, exec_lo
	v_cmpx_gt_i32_e64 s75, v115
	s_cbranch_execz .LBB2_116
; %bb.115:                              ;   in Loop: Header=BB2_113 Depth=2
	global_load_b64 v[69:70], v[0:1], off offset:-4
.LBB2_116:                              ;   in Loop: Header=BB2_113 Depth=2
	s_wait_alu 0xfffe
	s_or_b32 exec_lo, exec_lo, s76
	v_mov_b32_e32 v72, 0
	s_mov_b32 s76, exec_lo
	v_cmpx_gt_i32_e64 s75, v123
	s_cbranch_execz .LBB2_118
; %bb.117:                              ;   in Loop: Header=BB2_113 Depth=2
	v_add_co_u32 v2, vcc_lo, v196, v141
	s_wait_alu 0xfffd
	v_add_co_ci_u32_e64 v3, null, v197, v142, vcc_lo
	global_load_b64 v[71:72], v[2:3], off offset:-4
.LBB2_118:                              ;   in Loop: Header=BB2_113 Depth=2
	s_wait_alu 0xfffe
	s_or_b32 exec_lo, exec_lo, s76
	v_dual_mov_b32 v73, 0 :: v_dual_mov_b32 v74, 0
	s_mov_b32 s76, exec_lo
	v_cmpx_gt_i32_e64 s75, v124
	s_cbranch_execz .LBB2_120
; %bb.119:                              ;   in Loop: Header=BB2_113 Depth=2
	v_add_co_u32 v2, vcc_lo, v200, v141
	s_wait_alu 0xfffd
	v_add_co_ci_u32_e64 v3, null, v201, v142, vcc_lo
	global_load_b64 v[73:74], v[2:3], off offset:-4
.LBB2_120:                              ;   in Loop: Header=BB2_113 Depth=2
	s_wait_alu 0xfffe
	s_or_b32 exec_lo, exec_lo, s76
	v_cmp_gt_i32_e64 s76, s75, v125
	s_branch .LBB2_123
.LBB2_121:                              ;   in Loop: Header=BB2_113 Depth=2
	s_mov_b32 s76, 0
                                        ; implicit-def: $vgpr70
                                        ; implicit-def: $vgpr72
                                        ; implicit-def: $vgpr74
	s_cbranch_execz .LBB2_123
; %bb.122:                              ;   in Loop: Header=BB2_113 Depth=2
	v_add_co_u32 v2, vcc_lo, v196, v141
	s_wait_alu 0xfffd
	v_add_co_ci_u32_e64 v3, null, v197, v142, vcc_lo
	v_add_co_u32 v4, vcc_lo, v192, v141
	s_wait_alu 0xfffd
	v_add_co_ci_u32_e64 v5, null, v193, v142, vcc_lo
	s_wait_loadcnt 0x0
	global_load_b64 v[69:70], v[0:1], off offset:-4
	global_load_b64 v[71:72], v[2:3], off offset:-4
	global_load_b64 v[73:74], v[4:5], off
	s_wait_alu 0xfffe
	s_or_b32 s76, s76, exec_lo
.LBB2_123:                              ;   in Loop: Header=BB2_113 Depth=2
	v_dual_mov_b32 v75, 0 :: v_dual_mov_b32 v76, 0
	s_wait_alu 0xfffe
	s_delay_alu instid0(VALU_DEP_2)
	s_and_saveexec_b32 s77, s76
	s_cbranch_execz .LBB2_125
; %bb.124:                              ;   in Loop: Header=BB2_113 Depth=2
	v_add_co_u32 v0, vcc_lo, v204, v141
	s_wait_alu 0xfffd
	v_add_co_ci_u32_e64 v1, null, v205, v142, vcc_lo
	global_load_b64 v[75:76], v[0:1], off offset:-4
.LBB2_125:                              ;   in Loop: Header=BB2_113 Depth=2
	s_wait_alu 0xfffe
	s_or_b32 exec_lo, exec_lo, s77
	ds_load_b64 v[4:5], v104
	ds_load_b128 v[0:3], v118
	v_cndmask_b32_e64 v40, 0, 1, s22
	s_wait_loadcnt_dscnt 0x1
	v_dual_mul_f32 v8, v70, v5 :: v_dual_mul_f32 v7, v72, v4
	v_mul_f32_e32 v6, v70, v4
	v_dual_mul_f32 v10, v72, v5 :: v_dual_mul_f32 v13, v74, v4
	v_dual_mul_f32 v12, v74, v5 :: v_dual_mul_f32 v15, v76, v4
	v_mul_f32_e32 v14, v76, v5
	v_fmac_f32_e32 v8, v69, v4
	v_fma_f32 v9, v69, v5, -v6
	v_fmac_f32_e32 v10, v71, v4
	v_fma_f32 v11, v71, v5, -v7
	;; [unrolled: 2-line block ×4, first 2 shown]
	ds_load_b128 v[4:7], v118 offset:16
	ds_store_2addr_b64 v119, v[8:9], v[10:11] offset1:67
	ds_store_2addr_b64 v119, v[12:13], v[14:15] offset0:134 offset1:201
	s_wait_dscnt 0x0
	s_barrier_signal -1
	s_barrier_wait -1
	global_inv scope:SCOPE_SE
	ds_load_2addr_b64 v[16:19], v120 offset1:1
	ds_load_2addr_b64 v[8:11], v120 offset0:2 offset1:3
	v_add_co_u32 v12, vcc_lo, v208, v141
	s_wait_alu 0xfffd
	v_add_co_ci_u32_e64 v13, null, v209, v142, vcc_lo
	s_and_not1_b32 vcc_lo, exec_lo, s22
	s_wait_loadcnt_dscnt 0x0
	s_barrier_signal -1
	s_barrier_wait -1
	global_inv scope:SCOPE_SE
	s_wait_alu 0xfffe
	s_cbranch_vccnz .LBB2_133
; %bb.126:                              ;   in Loop: Header=BB2_113 Depth=2
	v_dual_mov_b32 v77, 0 :: v_dual_mov_b32 v80, 0
	v_mov_b32_e32 v79, 0
	s_mov_b32 s22, exec_lo
	v_cmpx_gt_i32_e64 s75, v126
	s_cbranch_execz .LBB2_128
; %bb.127:                              ;   in Loop: Header=BB2_113 Depth=2
	global_load_b64 v[79:80], v[12:13], off offset:-4
.LBB2_128:                              ;   in Loop: Header=BB2_113 Depth=2
	s_wait_alu 0xfffe
	s_or_b32 exec_lo, exec_lo, s22
	v_mov_b32_e32 v78, 0
	s_mov_b32 s22, exec_lo
	v_cmpx_gt_i32_e64 s75, v127
	s_cbranch_execz .LBB2_130
; %bb.129:                              ;   in Loop: Header=BB2_113 Depth=2
	v_add_co_u32 v14, vcc_lo, v212, v141
	s_wait_alu 0xfffd
	v_add_co_ci_u32_e64 v15, null, v213, v142, vcc_lo
	global_load_b64 v[77:78], v[14:15], off offset:-4
.LBB2_130:                              ;   in Loop: Header=BB2_113 Depth=2
	s_wait_alu 0xfffe
	s_or_b32 exec_lo, exec_lo, s22
	v_dual_mov_b32 v81, 0 :: v_dual_mov_b32 v82, 0
	s_mov_b32 s22, exec_lo
	v_cmpx_gt_i32_e64 s75, v128
	s_cbranch_execz .LBB2_132
; %bb.131:                              ;   in Loop: Header=BB2_113 Depth=2
	v_add_co_u32 v14, vcc_lo, v216, v141
	s_wait_alu 0xfffd
	v_add_co_ci_u32_e64 v15, null, v217, v142, vcc_lo
	global_load_b64 v[81:82], v[14:15], off offset:-4
.LBB2_132:                              ;   in Loop: Header=BB2_113 Depth=2
	s_wait_alu 0xfffe
	s_or_b32 exec_lo, exec_lo, s22
	v_cmp_gt_i32_e64 s22, s75, v129
	s_branch .LBB2_135
.LBB2_133:                              ;   in Loop: Header=BB2_113 Depth=2
	s_mov_b32 s22, 0
                                        ; implicit-def: $vgpr80
                                        ; implicit-def: $vgpr78
                                        ; implicit-def: $vgpr82
	s_cbranch_execz .LBB2_135
; %bb.134:                              ;   in Loop: Header=BB2_113 Depth=2
	v_add_co_u32 v14, vcc_lo, v212, v141
	s_wait_alu 0xfffd
	v_add_co_ci_u32_e64 v15, null, v213, v142, vcc_lo
	v_add_co_u32 v20, vcc_lo, v220, v141
	s_wait_alu 0xfffd
	v_add_co_ci_u32_e64 v21, null, v221, v142, vcc_lo
	s_wait_loadcnt 0x0
	global_load_b64 v[79:80], v[12:13], off offset:-4
	global_load_b64 v[77:78], v[14:15], off offset:-4
	global_load_b64 v[81:82], v[20:21], off
	s_wait_alu 0xfffe
	s_or_b32 s22, s22, exec_lo
.LBB2_135:                              ;   in Loop: Header=BB2_113 Depth=2
	v_dual_mov_b32 v83, 0 :: v_dual_mov_b32 v84, 0
	s_wait_alu 0xfffe
	s_delay_alu instid0(VALU_DEP_2)
	s_and_saveexec_b32 s76, s22
	s_cbranch_execz .LBB2_137
; %bb.136:                              ;   in Loop: Header=BB2_113 Depth=2
	v_add_co_u32 v12, vcc_lo, v224, v141
	s_wait_alu 0xfffd
	v_add_co_ci_u32_e64 v13, null, v225, v142, vcc_lo
	global_load_b64 v[83:84], v[12:13], off offset:-4
.LBB2_137:                              ;   in Loop: Header=BB2_113 Depth=2
	s_wait_alu 0xfffe
	s_or_b32 exec_lo, exec_lo, s76
	ds_load_b64 v[20:21], v104
	ds_load_b128 v[12:15], v118 offset:128
	v_cmp_ne_u32_e32 vcc_lo, 1, v40
	s_and_b32 vcc_lo, exec_lo, vcc_lo
	s_wait_loadcnt_dscnt 0x1
	v_dual_mul_f32 v24, v80, v21 :: v_dual_mul_f32 v23, v78, v20
	v_mul_f32_e32 v22, v80, v20
	v_dual_mul_f32 v26, v78, v21 :: v_dual_mul_f32 v31, v84, v20
	v_mul_f32_e32 v28, v82, v21
	v_dual_mul_f32 v29, v82, v20 :: v_dual_mul_f32 v30, v84, v21
	v_fmac_f32_e32 v24, v79, v20
	v_fma_f32 v25, v79, v21, -v22
	v_fmac_f32_e32 v26, v77, v20
	v_fma_f32 v27, v77, v21, -v23
	;; [unrolled: 2-line block ×4, first 2 shown]
	ds_load_b128 v[20:23], v118 offset:144
	ds_store_2addr_b64 v119, v[24:25], v[26:27] offset1:67
	ds_store_2addr_b64 v119, v[28:29], v[30:31] offset0:134 offset1:201
	s_wait_dscnt 0x0
	s_barrier_signal -1
	s_barrier_wait -1
	global_inv scope:SCOPE_SE
	ds_load_2addr_b64 v[36:39], v120 offset1:1
	ds_load_2addr_b64 v[32:35], v120 offset0:2 offset1:3
	v_add_co_u32 v24, s22, v226, v141
	s_wait_alu 0xf1ff
	v_add_co_ci_u32_e64 v25, null, v227, v142, s22
	s_wait_loadcnt_dscnt 0x0
	s_barrier_signal -1
	s_barrier_wait -1
	global_inv scope:SCOPE_SE
	s_wait_alu 0xfffe
	s_cbranch_vccnz .LBB2_145
; %bb.138:                              ;   in Loop: Header=BB2_113 Depth=2
	v_dual_mov_b32 v85, 0 :: v_dual_mov_b32 v88, 0
	v_mov_b32_e32 v87, 0
	s_mov_b32 s22, exec_lo
	v_cmpx_gt_i32_e64 s75, v130
	s_cbranch_execz .LBB2_140
; %bb.139:                              ;   in Loop: Header=BB2_113 Depth=2
	global_load_b64 v[87:88], v[24:25], off offset:-4
.LBB2_140:                              ;   in Loop: Header=BB2_113 Depth=2
	s_wait_alu 0xfffe
	s_or_b32 exec_lo, exec_lo, s22
	v_mov_b32_e32 v86, 0
	s_mov_b32 s22, exec_lo
	v_cmpx_gt_i32_e64 s75, v131
	s_cbranch_execz .LBB2_142
; %bb.141:                              ;   in Loop: Header=BB2_113 Depth=2
	v_add_co_u32 v26, vcc_lo, v222, v141
	s_wait_alu 0xfffd
	v_add_co_ci_u32_e64 v27, null, v223, v142, vcc_lo
	global_load_b64 v[85:86], v[26:27], off
.LBB2_142:                              ;   in Loop: Header=BB2_113 Depth=2
	s_wait_alu 0xfffe
	s_or_b32 exec_lo, exec_lo, s22
	v_dual_mov_b32 v89, 0 :: v_dual_mov_b32 v90, 0
	s_mov_b32 s22, exec_lo
	v_cmpx_gt_i32_e64 s75, v132
	s_cbranch_execz .LBB2_144
; %bb.143:                              ;   in Loop: Header=BB2_113 Depth=2
	v_add_co_u32 v26, vcc_lo, v218, v141
	s_wait_alu 0xfffd
	v_add_co_ci_u32_e64 v27, null, v219, v142, vcc_lo
	global_load_b64 v[89:90], v[26:27], off
.LBB2_144:                              ;   in Loop: Header=BB2_113 Depth=2
	s_wait_alu 0xfffe
	s_or_b32 exec_lo, exec_lo, s22
	v_cmp_gt_i32_e64 s22, s75, v133
	s_branch .LBB2_147
.LBB2_145:                              ;   in Loop: Header=BB2_113 Depth=2
	s_mov_b32 s22, 0
                                        ; implicit-def: $vgpr88
                                        ; implicit-def: $vgpr86
                                        ; implicit-def: $vgpr90
	s_cbranch_execz .LBB2_147
; %bb.146:                              ;   in Loop: Header=BB2_113 Depth=2
	v_add_co_u32 v26, vcc_lo, v222, v141
	s_wait_alu 0xfffd
	v_add_co_ci_u32_e64 v27, null, v223, v142, vcc_lo
	v_add_co_u32 v28, vcc_lo, v214, v141
	s_wait_alu 0xfffd
	v_add_co_ci_u32_e64 v29, null, v215, v142, vcc_lo
	s_wait_loadcnt 0x0
	global_load_b64 v[87:88], v[24:25], off offset:-4
	global_load_b64 v[85:86], v[26:27], off
	global_load_b64 v[89:90], v[28:29], off offset:-4
	s_wait_alu 0xfffe
	s_or_b32 s22, s22, exec_lo
.LBB2_147:                              ;   in Loop: Header=BB2_113 Depth=2
	v_dual_mov_b32 v91, 0 :: v_dual_mov_b32 v92, 0
	s_wait_alu 0xfffe
	s_delay_alu instid0(VALU_DEP_2)
	s_and_saveexec_b32 s76, s22
	s_cbranch_execz .LBB2_149
; %bb.148:                              ;   in Loop: Header=BB2_113 Depth=2
	v_add_co_u32 v24, vcc_lo, v210, v141
	s_wait_alu 0xfffd
	v_add_co_ci_u32_e64 v25, null, v211, v142, vcc_lo
	global_load_b64 v[91:92], v[24:25], off
.LBB2_149:                              ;   in Loop: Header=BB2_113 Depth=2
	s_wait_alu 0xfffe
	s_or_b32 exec_lo, exec_lo, s76
	ds_load_b64 v[28:29], v104
	ds_load_b128 v[24:27], v118 offset:256
	v_cmp_ne_u32_e32 vcc_lo, 1, v40
	v_add_co_u32 v40, s22, v206, v141
	s_and_b32 vcc_lo, exec_lo, vcc_lo
	s_wait_loadcnt_dscnt 0x1
	v_dual_mul_f32 v41, v88, v29 :: v_dual_mul_f32 v46, v90, v28
	v_dual_mul_f32 v30, v88, v28 :: v_dual_mul_f32 v43, v86, v29
	v_mul_f32_e32 v31, v86, v28
	v_dual_mul_f32 v45, v90, v29 :: v_dual_mul_f32 v48, v92, v28
	v_mul_f32_e32 v47, v92, v29
	v_fmac_f32_e32 v41, v87, v28
	v_fma_f32 v42, v87, v29, -v30
	v_fmac_f32_e32 v43, v85, v28
	v_fma_f32 v44, v85, v29, -v31
	;; [unrolled: 2-line block ×4, first 2 shown]
	ds_load_b128 v[28:31], v118 offset:272
	ds_store_2addr_b64 v119, v[41:42], v[43:44] offset1:67
	ds_store_2addr_b64 v119, v[45:46], v[47:48] offset0:134 offset1:201
	s_wait_dscnt 0x0
	s_barrier_signal -1
	s_barrier_wait -1
	global_inv scope:SCOPE_SE
	ds_load_2addr_b64 v[52:55], v120 offset1:1
	ds_load_2addr_b64 v[48:51], v120 offset0:2 offset1:3
	s_wait_alu 0xf1ff
	v_add_co_ci_u32_e64 v41, null, v207, v142, s22
	s_wait_loadcnt_dscnt 0x0
	s_barrier_signal -1
	s_barrier_wait -1
	global_inv scope:SCOPE_SE
	s_wait_alu 0xfffe
	s_cbranch_vccnz .LBB2_157
; %bb.150:                              ;   in Loop: Header=BB2_113 Depth=2
	v_dual_mov_b32 v95, 0 :: v_dual_mov_b32 v94, 0
	v_mov_b32_e32 v93, 0
	s_mov_b32 s22, exec_lo
	v_cmpx_gt_i32_e64 s75, v134
	s_cbranch_execz .LBB2_152
; %bb.151:                              ;   in Loop: Header=BB2_113 Depth=2
	global_load_b64 v[93:94], v[40:41], off
.LBB2_152:                              ;   in Loop: Header=BB2_113 Depth=2
	s_wait_alu 0xfffe
	s_or_b32 exec_lo, exec_lo, s22
	v_mov_b32_e32 v96, 0
	s_mov_b32 s22, exec_lo
	v_cmpx_gt_i32_e64 s75, v135
	s_cbranch_execz .LBB2_154
; %bb.153:                              ;   in Loop: Header=BB2_113 Depth=2
	v_add_co_u32 v42, vcc_lo, v202, v141
	s_wait_alu 0xfffd
	v_add_co_ci_u32_e64 v43, null, v203, v142, vcc_lo
	global_load_b64 v[95:96], v[42:43], off
.LBB2_154:                              ;   in Loop: Header=BB2_113 Depth=2
	s_wait_alu 0xfffe
	s_or_b32 exec_lo, exec_lo, s22
	v_dual_mov_b32 v97, 0 :: v_dual_mov_b32 v98, 0
	s_mov_b32 s22, exec_lo
	v_cmpx_gt_i32_e64 s75, v136
	s_cbranch_execz .LBB2_156
; %bb.155:                              ;   in Loop: Header=BB2_113 Depth=2
	v_add_co_u32 v42, vcc_lo, v198, v141
	s_wait_alu 0xfffd
	v_add_co_ci_u32_e64 v43, null, v199, v142, vcc_lo
	global_load_b64 v[97:98], v[42:43], off
.LBB2_156:                              ;   in Loop: Header=BB2_113 Depth=2
	s_wait_alu 0xfffe
	s_or_b32 exec_lo, exec_lo, s22
	v_cmp_gt_i32_e64 s22, s75, v137
	s_branch .LBB2_159
.LBB2_157:                              ;   in Loop: Header=BB2_113 Depth=2
	s_mov_b32 s22, 0
                                        ; implicit-def: $vgpr94
                                        ; implicit-def: $vgpr96
                                        ; implicit-def: $vgpr98
	s_cbranch_execz .LBB2_159
; %bb.158:                              ;   in Loop: Header=BB2_113 Depth=2
	v_add_co_u32 v42, vcc_lo, v202, v141
	s_wait_alu 0xfffd
	v_add_co_ci_u32_e64 v43, null, v203, v142, vcc_lo
	v_add_co_u32 v44, vcc_lo, v194, v141
	s_wait_alu 0xfffd
	v_add_co_ci_u32_e64 v45, null, v195, v142, vcc_lo
	s_wait_loadcnt 0x0
	global_load_b64 v[93:94], v[40:41], off
	global_load_b64 v[95:96], v[42:43], off
	global_load_b64 v[97:98], v[44:45], off offset:-4
	s_wait_alu 0xfffe
	s_or_b32 s22, s22, exec_lo
.LBB2_159:                              ;   in Loop: Header=BB2_113 Depth=2
	v_dual_mov_b32 v99, 0 :: v_dual_mov_b32 v100, 0
	s_wait_alu 0xfffe
	s_delay_alu instid0(VALU_DEP_2)
	s_and_saveexec_b32 s76, s22
	s_cbranch_execz .LBB2_161
; %bb.160:                              ;   in Loop: Header=BB2_113 Depth=2
	v_add_co_u32 v40, vcc_lo, v190, v141
	s_wait_alu 0xfffd
	v_add_co_ci_u32_e64 v41, null, v191, v142, vcc_lo
	global_load_b64 v[99:100], v[40:41], off
.LBB2_161:                              ;   in Loop: Header=BB2_113 Depth=2
	s_wait_alu 0xfffe
	s_or_b32 exec_lo, exec_lo, s76
	ds_load_b64 v[44:45], v104
	ds_load_b128 v[40:43], v118 offset:384
	v_cmp_gt_i32_e32 vcc_lo, s75, v56
	v_add_f32_e32 v53, 0, v53
	v_add_f32_e32 v37, 0, v37
	;; [unrolled: 1-line block ×3, first 2 shown]
	s_or_b32 s22, s67, vcc_lo
	s_wait_alu 0xfffe
	s_and_b32 s67, s21, s22
	v_add_f32_e32 v37, v37, v39
	v_dual_add_f32 v17, v17, v19 :: v_dual_add_f32 v52, 0, v52
	s_delay_alu instid0(VALU_DEP_2) | instskip(NEXT) | instid1(VALU_DEP_2)
	v_add_f32_e32 v33, v37, v33
	v_dual_add_f32 v39, v17, v9 :: v_dual_add_f32 v36, 0, v36
	s_wait_loadcnt_dscnt 0x1
	v_mul_f32_e32 v46, v94, v44
	v_mul_f32_e32 v68, v100, v44
	v_mul_f32_e32 v64, v98, v44
	v_dual_mul_f32 v228, v94, v45 :: v_dual_mul_f32 v47, v96, v44
	v_mul_f32_e32 v230, v96, v45
	s_delay_alu instid0(VALU_DEP_4) | instskip(SKIP_4) | instid1(VALU_DEP_4)
	v_fma_f32 v235, v99, v45, -v68
	v_add_f32_e32 v68, v53, v55
	v_mul_f32_e32 v232, v98, v45
	v_fmac_f32_e32 v228, v93, v44
	v_fma_f32 v229, v93, v45, -v46
	v_dual_fmac_f32 v230, v95, v44 :: v_dual_add_f32 v19, v68, v49
	v_mul_f32_e32 v234, v100, v45
	v_fma_f32 v231, v95, v45, -v47
	v_fmac_f32_e32 v232, v97, v44
	v_fma_f32 v233, v97, v45, -v64
	v_add_f32_e32 v9, v19, v51
	v_dual_fmac_f32 v234, v99, v44 :: v_dual_add_f32 v17, v33, v35
	ds_load_b128 v[44:47], v118 offset:400
	ds_store_2addr_b64 v119, v[228:229], v[230:231] offset1:67
	ds_store_2addr_b64 v119, v[232:233], v[234:235] offset0:134 offset1:201
	s_wait_dscnt 0x0
	s_barrier_signal -1
	s_barrier_wait -1
	global_inv scope:SCOPE_SE
	ds_load_2addr_b64 v[228:231], v120 offset1:1
	v_add_f32_e32 v64, v52, v54
	ds_load_2addr_b64 v[52:55], v120 offset0:2 offset1:3
	v_dual_add_f32 v16, 0, v16 :: v_dual_add_f32 v11, v39, v11
	v_add_f32_e32 v36, v36, v38
	s_wait_loadcnt_dscnt 0x0
	s_barrier_signal -1
	s_delay_alu instid0(VALU_DEP_2)
	v_add_f32_e32 v16, v16, v18
	v_add_f32_e32 v18, v64, v48
	;; [unrolled: 1-line block ×3, first 2 shown]
	s_barrier_wait -1
	global_inv scope:SCOPE_SE
	v_add_f32_e32 v38, v16, v8
	v_add_f32_e32 v8, v18, v50
	;; [unrolled: 1-line block ×3, first 2 shown]
	s_delay_alu instid0(VALU_DEP_3) | instskip(SKIP_1) | instid1(VALU_DEP_1)
	v_add_f32_e32 v10, v38, v10
	v_dual_add_f32 v36, 0, v228 :: v_dual_add_f32 v37, 0, v229
	v_add_f32_e32 v18, v36, v230
	s_delay_alu instid0(VALU_DEP_2) | instskip(NEXT) | instid1(VALU_DEP_1)
	v_add_f32_e32 v36, v37, v231
	v_dual_add_f32 v18, v18, v52 :: v_dual_add_f32 v19, v36, v53
	s_delay_alu instid0(VALU_DEP_1)
	v_dual_add_f32 v18, v18, v54 :: v_dual_add_f32 v19, v19, v55
	ds_store_2addr_b64 v182, v[10:11], v[16:17] offset1:16
	ds_store_2addr_b64 v182, v[8:9], v[18:19] offset0:32 offset1:48
	s_wait_loadcnt_dscnt 0x0
	s_barrier_signal -1
	s_barrier_wait -1
	global_inv scope:SCOPE_SE
	s_wait_alu 0xfffe
	s_and_saveexec_b32 s22, s67
	s_cbranch_execz .LBB2_163
; %bb.162:                              ;   in Loop: Header=BB2_113 Depth=2
	ds_load_b64 v[36:37], v121
	ds_load_2addr_b64 v[8:11], v121 offset0:1 offset1:2
	ds_load_2addr_b64 v[16:19], v121 offset0:3 offset1:4
	;; [unrolled: 1-line block ×3, first 2 shown]
	v_ashrrev_i32_e32 v68, 31, v67
	s_wait_dscnt 0x2
	v_dual_add_f32 v8, v8, v36 :: v_dual_add_f32 v9, v9, v37
	s_delay_alu instid0(VALU_DEP_1) | instskip(SKIP_3) | instid1(VALU_DEP_1)
	v_dual_add_f32 v36, v10, v8 :: v_dual_add_f32 v37, v11, v9
	ds_load_2addr_b64 v[8:11], v121 offset0:7 offset1:8
	s_wait_dscnt 0x2
	v_dual_add_f32 v16, v36, v16 :: v_dual_add_f32 v17, v37, v17
	v_dual_add_f32 v36, v16, v18 :: v_dual_add_f32 v37, v17, v19
	ds_load_2addr_b64 v[16:19], v121 offset0:9 offset1:10
	s_wait_dscnt 0x2
	v_dual_add_f32 v32, v36, v32 :: v_dual_add_f32 v33, v37, v33
	s_delay_alu instid0(VALU_DEP_1) | instskip(SKIP_3) | instid1(VALU_DEP_1)
	v_dual_add_f32 v36, v32, v34 :: v_dual_add_f32 v37, v33, v35
	ds_load_2addr_b64 v[32:35], v121 offset0:11 offset1:12
	s_wait_dscnt 0x2
	v_dual_add_f32 v8, v36, v8 :: v_dual_add_f32 v9, v37, v9
	v_dual_add_f32 v36, v8, v10 :: v_dual_add_f32 v37, v9, v11
	ds_load_2addr_b64 v[8:11], v121 offset0:13 offset1:14
	s_wait_dscnt 0x2
	v_dual_add_f32 v16, v36, v16 :: v_dual_add_f32 v17, v37, v17
	s_delay_alu instid0(VALU_DEP_1) | instskip(SKIP_3) | instid1(VALU_DEP_1)
	v_dual_add_f32 v18, v16, v18 :: v_dual_add_f32 v19, v17, v19
	ds_load_b64 v[16:17], v122
	s_wait_dscnt 0x2
	v_dual_add_f32 v18, v18, v32 :: v_dual_add_f32 v19, v19, v33
	v_dual_add_f32 v18, v18, v34 :: v_dual_add_f32 v19, v19, v35
	s_wait_dscnt 0x1
	s_delay_alu instid0(VALU_DEP_1) | instskip(NEXT) | instid1(VALU_DEP_1)
	v_dual_add_f32 v8, v18, v8 :: v_dual_add_f32 v9, v19, v9
	v_dual_add_f32 v10, v8, v10 :: v_dual_add_f32 v11, v9, v11
	v_lshlrev_b64_e32 v[8:9], 3, v[67:68]
	s_wait_dscnt 0x0
	s_delay_alu instid0(VALU_DEP_2) | instskip(NEXT) | instid1(VALU_DEP_2)
	v_dual_add_f32 v10, v10, v16 :: v_dual_add_f32 v11, v11, v17
	v_add_co_u32 v8, vcc_lo, s64, v8
	s_wait_alu 0xfffd
	s_delay_alu instid0(VALU_DEP_3)
	v_add_co_ci_u32_e64 v9, null, s65, v9, vcc_lo
	global_store_b64 v[8:9], v[10:11], off
.LBB2_163:                              ;   in Loop: Header=BB2_113 Depth=2
	s_wait_alu 0xfffe
	s_or_b32 exec_lo, exec_lo, s22
	v_dual_mul_f32 v8, v70, v1 :: v_dual_mul_f32 v9, v72, v3
	v_dual_mul_f32 v3, v71, v3 :: v_dual_mul_f32 v10, v74, v5
	v_add_co_u32 v188, vcc_lo, v188, s60
	s_delay_alu instid0(VALU_DEP_3)
	v_fma_f32 v8, v69, v0, -v8
	v_mul_f32_e32 v11, v76, v7
	v_fma_f32 v9, v71, v2, -v9
	v_fmac_f32_e32 v3, v72, v2
	v_dual_mul_f32 v7, v75, v7 :: v_dual_mul_f32 v16, v80, v13
	v_add_f32_e32 v8, v65, v8
	v_fma_f32 v2, v75, v6, -v11
	v_mul_f32_e32 v13, v79, v13
	s_wait_alu 0xfffd
	v_add_co_ci_u32_e64 v189, null, s61, v189, vcc_lo
	v_dual_add_f32 v8, v8, v9 :: v_dual_mul_f32 v9, v78, v15
	v_mul_f32_e32 v1, v69, v1
	v_add_co_u32 v190, vcc_lo, v190, s60
	s_wait_alu 0xfffd
	v_add_co_ci_u32_e64 v191, null, s61, v191, vcc_lo
	s_delay_alu instid0(VALU_DEP_3) | instskip(SKIP_4) | instid1(VALU_DEP_3)
	v_fmac_f32_e32 v1, v70, v0
	v_fma_f32 v0, v73, v4, -v10
	v_add_co_u32 v192, vcc_lo, v192, s60
	s_wait_alu 0xfffd
	v_add_co_ci_u32_e64 v193, null, s61, v193, vcc_lo
	v_dual_add_f32 v0, v8, v0 :: v_dual_mul_f32 v5, v73, v5
	v_dual_mul_f32 v8, v77, v15 :: v_dual_fmac_f32 v13, v80, v12
	v_add_co_u32 v194, vcc_lo, v194, s60
	s_delay_alu instid0(VALU_DEP_3)
	v_dual_add_f32 v0, v0, v2 :: v_dual_fmac_f32 v5, v74, v4
	v_fma_f32 v4, v77, v14, -v9
	v_add_f32_e32 v1, v66, v1
	v_mul_f32_e32 v2, v82, v21
	v_fmac_f32_e32 v8, v78, v14
	s_wait_alu 0xfffd
	v_add_co_ci_u32_e64 v195, null, s61, v195, vcc_lo
	v_add_f32_e32 v1, v1, v3
	v_fma_f32 v3, v79, v12, -v16
	v_fma_f32 v2, v81, v20, -v2
	v_add_co_u32 v196, vcc_lo, v196, s60
	s_wait_alu 0xfffd
	v_add_co_ci_u32_e64 v197, null, s61, v197, vcc_lo
	v_add_f32_e32 v0, v0, v3
	v_mul_f32_e32 v3, v84, v23
	v_add_co_u32 v198, vcc_lo, v198, s60
	s_wait_alu 0xfffd
	v_add_co_ci_u32_e64 v199, null, s61, v199, vcc_lo
	v_add_f32_e32 v0, v0, v4
	v_dual_mul_f32 v4, v81, v21 :: v_dual_fmac_f32 v7, v76, v6
	v_add_f32_e32 v1, v1, v5
	v_add_co_u32 v200, vcc_lo, v200, s60
	s_delay_alu instid0(VALU_DEP_4) | instskip(NEXT) | instid1(VALU_DEP_3)
	v_add_f32_e32 v0, v0, v2
	v_dual_fmac_f32 v4, v82, v20 :: v_dual_add_f32 v1, v1, v7
	v_mul_f32_e32 v2, v88, v25
	s_wait_alu 0xfffd
	v_add_co_ci_u32_e64 v201, null, s61, v201, vcc_lo
	v_add_co_u32 v202, vcc_lo, v202, s60
	v_add_f32_e32 v1, v1, v13
	v_fma_f32 v2, v87, v24, -v2
	s_wait_alu 0xfffd
	v_add_co_ci_u32_e64 v203, null, s61, v203, vcc_lo
	v_add_co_u32 v204, vcc_lo, v204, s60
	v_add_f32_e32 v1, v1, v8
	s_wait_alu 0xfffd
	v_add_co_ci_u32_e64 v205, null, s61, v205, vcc_lo
	v_add_co_u32 v206, vcc_lo, v206, s60
	s_delay_alu instid0(VALU_DEP_3)
	v_dual_add_f32 v1, v1, v4 :: v_dual_mul_f32 v4, v87, v25
	v_fma_f32 v3, v83, v22, -v3
	v_mul_f32_e32 v5, v83, v23
	s_wait_alu 0xfffd
	v_add_co_ci_u32_e64 v207, null, s61, v207, vcc_lo
	v_fmac_f32_e32 v4, v88, v24
	v_add_f32_e32 v0, v0, v3
	v_fmac_f32_e32 v5, v84, v22
	v_add_co_u32 v208, vcc_lo, v208, s60
	s_wait_alu 0xfffd
	v_add_co_ci_u32_e64 v209, null, s61, v209, vcc_lo
	v_dual_add_f32 v0, v0, v2 :: v_dual_mul_f32 v3, v86, v27
	v_add_co_u32 v210, vcc_lo, v210, s60
	s_wait_alu 0xfffd
	v_add_co_ci_u32_e64 v211, null, s61, v211, vcc_lo
	s_delay_alu instid0(VALU_DEP_3) | instskip(SKIP_3) | instid1(VALU_DEP_4)
	v_fma_f32 v2, v85, v26, -v3
	v_mul_f32_e32 v3, v90, v29
	v_add_co_u32 v212, vcc_lo, v212, s60
	v_mul_f32_e32 v6, v99, v47
	v_add_f32_e32 v0, v0, v2
	s_delay_alu instid0(VALU_DEP_4)
	v_fma_f32 v2, v89, v28, -v3
	v_mul_f32_e32 v3, v92, v31
	s_wait_alu 0xfffd
	v_add_co_ci_u32_e64 v213, null, s61, v213, vcc_lo
	v_fmac_f32_e32 v6, v100, v46
	v_add_f32_e32 v0, v0, v2
	v_fma_f32 v2, v91, v30, -v3
	v_mul_f32_e32 v3, v94, v41
	v_add_co_u32 v214, vcc_lo, v214, s60
	s_wait_alu 0xfffd
	v_add_co_ci_u32_e64 v215, null, s61, v215, vcc_lo
	v_add_f32_e32 v0, v0, v2
	v_fma_f32 v2, v93, v40, -v3
	v_add_f32_e32 v1, v1, v5
	v_mul_f32_e32 v5, v85, v27
	v_mul_f32_e32 v3, v96, v43
	v_add_co_u32 v216, vcc_lo, v216, s60
	v_add_f32_e32 v0, v0, v2
	s_delay_alu instid0(VALU_DEP_4) | instskip(NEXT) | instid1(VALU_DEP_4)
	v_fmac_f32_e32 v5, v86, v26
	v_fma_f32 v2, v95, v42, -v3
	v_add_f32_e32 v1, v1, v4
	v_dual_mul_f32 v4, v89, v29 :: v_dual_mul_f32 v3, v95, v43
	s_wait_alu 0xfffd
	v_add_co_ci_u32_e64 v217, null, s61, v217, vcc_lo
	v_add_f32_e32 v0, v0, v2
	s_delay_alu instid0(VALU_DEP_3)
	v_fmac_f32_e32 v4, v90, v28
	v_mul_f32_e32 v2, v97, v45
	v_add_f32_e32 v1, v1, v5
	v_mul_f32_e32 v5, v91, v31
	v_fmac_f32_e32 v3, v96, v42
	v_add_co_u32 v218, vcc_lo, v218, s60
	s_delay_alu instid0(VALU_DEP_4) | instskip(SKIP_4) | instid1(VALU_DEP_3)
	v_add_f32_e32 v1, v1, v4
	v_mul_f32_e32 v4, v93, v41
	v_dual_fmac_f32 v2, v98, v44 :: v_dual_fmac_f32 v5, v92, v30
	s_wait_alu 0xfffd
	v_add_co_ci_u32_e64 v219, null, s61, v219, vcc_lo
	v_fmac_f32_e32 v4, v94, v40
	v_add_co_u32 v220, vcc_lo, v220, s60
	v_add_f32_e32 v1, v1, v5
	v_mul_f32_e32 v5, v98, v45
	s_wait_alu 0xfffd
	v_add_co_ci_u32_e64 v221, null, s61, v221, vcc_lo
	v_add_co_u32 v222, vcc_lo, v222, s60
	v_add_f32_e32 v1, v1, v4
	v_fma_f32 v4, v97, v44, -v5
	v_mul_f32_e32 v5, v100, v47
	s_wait_alu 0xfffd
	v_add_co_ci_u32_e64 v223, null, s61, v223, vcc_lo
	s_delay_alu instid0(VALU_DEP_3) | instskip(NEXT) | instid1(VALU_DEP_3)
	v_dual_add_f32 v1, v1, v3 :: v_dual_add_f32 v0, v0, v4
	v_fma_f32 v3, v99, v46, -v5
	v_add_co_u32 v224, vcc_lo, v224, s60
	s_delay_alu instid0(VALU_DEP_3) | instskip(SKIP_3) | instid1(VALU_DEP_3)
	v_add_f32_e32 v1, v1, v2
	s_wait_alu 0xfffd
	v_add_co_ci_u32_e64 v225, null, s61, v225, vcc_lo
	v_add_co_u32 v226, vcc_lo, v226, s60
	v_dual_add_f32 v65, v0, v3 :: v_dual_add_f32 v66, v1, v6
	v_add_nc_u32_e32 v67, 64, v67
	s_wait_alu 0xfffd
	v_add_co_ci_u32_e64 v227, null, s61, v227, vcc_lo
	s_add_co_i32 s22, s23, 1
	s_add_co_i32 s23, s23, 2
	;; [unrolled: 1-line block ×3, first 2 shown]
	s_wait_alu 0xfffe
	s_cmp_ge_u32 s23, s48
	s_wait_loadcnt 0x0
	s_wait_storecnt 0x0
	s_barrier_signal -1
	s_barrier_wait -1
	global_inv scope:SCOPE_SE
	s_cbranch_scc1 .LBB2_165
; %bb.164:                              ;   in Loop: Header=BB2_113 Depth=2
	s_mov_b32 s23, s22
	s_wait_alu 0xfffe
	s_cmp_eq_u32 s71, s23
	s_cselect_b32 s75, s68, 0
	s_and_saveexec_b32 s22, s0
	s_cbranch_execnz .LBB2_109
	s_branch .LBB2_113
.LBB2_165:                              ;   in Loop: Header=BB2_4 Depth=1
	ds_store_b64 v138, v[65:66]
	s_wait_loadcnt_dscnt 0x0
	s_barrier_signal -1
	s_barrier_wait -1
	global_inv scope:SCOPE_SE
	s_and_saveexec_b32 s22, s73
	s_cbranch_execz .LBB2_2
; %bb.166:                              ;   in Loop: Header=BB2_4 Depth=1
	ds_load_2addr_b64 v[0:3], v103 offset1:67
	ds_load_2addr_b64 v[4:7], v103 offset0:134 offset1:201
	s_wait_dscnt 0x1
	v_dual_add_f32 v0, v2, v0 :: v_dual_add_f32 v1, v3, v1
	s_wait_alu 0xfffe
	v_add_co_u32 v2, vcc_lo, s64, v61
	s_wait_alu 0xfffd
	v_add_co_ci_u32_e64 v3, null, s65, v62, vcc_lo
	s_wait_dscnt 0x0
	v_dual_add_f32 v0, v4, v0 :: v_dual_add_f32 v1, v5, v1
	s_delay_alu instid0(VALU_DEP_1)
	v_dual_add_f32 v0, v0, v6 :: v_dual_add_f32 v1, v1, v7
	global_store_b64 v[2:3], v[0:1], off
	s_branch .LBB2_2
.LBB2_167:                              ;   in Loop: Header=BB2_4 Depth=1
	ds_load_b64 v[3:4], v183
	s_mov_b32 s22, exec_lo
	s_wait_dscnt 0x0
	v_xor_b32_e32 v2, 0x80000000, v4
	ds_store_b32 v109, v3
	s_wait_alu 0xfffe
	s_or_saveexec_b32 s23, s23
	v_mov_b32_e32 v3, v109
	s_wait_alu 0xfffe
	s_xor_b32 exec_lo, exec_lo, s23
	s_cbranch_execz .LBB2_35
.LBB2_168:                              ;   in Loop: Header=BB2_4 Depth=1
	v_dual_mov_b32 v2, 0 :: v_dual_mov_b32 v3, v107
	s_and_not1_b32 s22, s22, exec_lo
	s_and_b32 s64, s9, exec_lo
	s_wait_alu 0xfffe
	s_or_b32 s22, s22, s64
	s_or_b32 exec_lo, exec_lo, s23
	s_wait_alu 0xfffe
	s_and_saveexec_b32 s23, s22
	s_cbranch_execnz .LBB2_36
	s_branch .LBB2_37
.LBB2_169:                              ;   in Loop: Header=BB2_4 Depth=1
	ds_load_b64 v[3:4], v183
	s_mov_b32 s22, exec_lo
	s_wait_dscnt 0x0
	v_xor_b32_e32 v2, 0x80000000, v4
	ds_store_b32 v109, v3
	s_wait_alu 0xfffe
	s_or_saveexec_b32 s23, s23
	v_mov_b32_e32 v3, v109
	s_wait_alu 0xfffe
	s_xor_b32 exec_lo, exec_lo, s23
	s_cbranch_execz .LBB2_73
.LBB2_170:                              ;   in Loop: Header=BB2_4 Depth=1
	v_dual_mov_b32 v2, 0 :: v_dual_mov_b32 v3, v107
	s_and_not1_b32 s22, s22, exec_lo
	s_and_b32 s64, s9, exec_lo
	s_wait_alu 0xfffe
	s_or_b32 s22, s22, s64
	s_or_b32 exec_lo, exec_lo, s23
	s_wait_alu 0xfffe
	s_and_saveexec_b32 s23, s22
	s_cbranch_execnz .LBB2_74
	s_branch .LBB2_75
.LBB2_171:                              ;   in Loop: Header=BB2_4 Depth=1
	global_load_b64 v[4:5], v[0:1], off
	s_wait_loadcnt 0x0
	ds_store_b64 v180, v[4:5]
	s_or_b32 exec_lo, exec_lo, s22
	s_and_saveexec_b32 s22, s3
	s_wait_alu 0xfffe
	s_xor_b32 s22, exec_lo, s22
	s_cbranch_execz .LBB2_18
.LBB2_172:                              ;   in Loop: Header=BB2_4 Depth=1
	v_mov_b32_e32 v64, v63
	ds_store_b64 v180, v[63:64] offset:2112
	s_wait_alu 0xfffe
	s_and_not1_saveexec_b32 s22, s22
	s_cbranch_execz .LBB2_19
.LBB2_173:                              ;   in Loop: Header=BB2_4 Depth=1
	s_lshl_b64 s[64:65], s[46:47], 3
	s_wait_alu 0xfffe
	v_add_co_u32 v4, vcc_lo, v0, s64
	s_wait_alu 0xfffd
	v_add_co_ci_u32_e64 v5, null, s65, v1, vcc_lo
	global_load_b64 v[4:5], v[4:5], off
	s_wait_loadcnt 0x0
	ds_store_b64 v180, v[4:5] offset:2112
	s_or_b32 exec_lo, exec_lo, s22
	s_and_saveexec_b32 s22, s4
	s_wait_alu 0xfffe
	s_xor_b32 s22, exec_lo, s22
	s_cbranch_execz .LBB2_20
.LBB2_174:                              ;   in Loop: Header=BB2_4 Depth=1
	v_mov_b32_e32 v64, v63
	ds_store_b64 v180, v[63:64] offset:4224
	s_wait_alu 0xfffe
	s_and_not1_saveexec_b32 s22, s22
	s_cbranch_execz .LBB2_21
.LBB2_175:                              ;   in Loop: Header=BB2_4 Depth=1
	v_add_co_u32 v4, vcc_lo, v0, s58
	s_wait_alu 0xfffd
	v_add_co_ci_u32_e64 v5, null, s59, v1, vcc_lo
	global_load_b64 v[4:5], v[4:5], off
	s_wait_loadcnt 0x0
	ds_store_b64 v180, v[4:5] offset:4224
	s_wait_alu 0xfffe
	s_or_b32 exec_lo, exec_lo, s22
	s_and_saveexec_b32 s22, s5
	s_wait_alu 0xfffe
	s_xor_b32 s22, exec_lo, s22
	s_cbranch_execz .LBB2_22
.LBB2_176:                              ;   in Loop: Header=BB2_4 Depth=1
	v_mov_b32_e32 v64, v63
	ds_store_b64 v180, v[63:64] offset:6336
	s_wait_alu 0xfffe
	s_and_not1_saveexec_b32 s22, s22
	s_cbranch_execnz .LBB2_23
	s_branch .LBB2_24
.LBB2_177:                              ;   in Loop: Header=BB2_4 Depth=1
	global_load_b64 v[6:7], v[0:1], off
	s_wait_loadcnt 0x0
	ds_store_b64 v180, v[6:7]
	s_or_b32 exec_lo, exec_lo, s22
	s_and_saveexec_b32 s22, s17
	s_wait_alu 0xfffe
	s_xor_b32 s22, exec_lo, s22
	s_cbranch_execz .LBB2_56
.LBB2_178:                              ;   in Loop: Header=BB2_4 Depth=1
	v_mov_b32_e32 v64, v63
	ds_store_b64 v180, v[63:64] offset:2112
	s_wait_alu 0xfffe
	s_and_not1_saveexec_b32 s22, s22
	s_cbranch_execz .LBB2_57
.LBB2_179:                              ;   in Loop: Header=BB2_4 Depth=1
	s_lshl_b64 s[64:65], s[46:47], 3
	s_wait_alu 0xfffe
	v_add_co_u32 v6, vcc_lo, v0, s64
	s_wait_alu 0xfffd
	v_add_co_ci_u32_e64 v7, null, s65, v1, vcc_lo
	global_load_b64 v[6:7], v[6:7], off
	s_wait_loadcnt 0x0
	ds_store_b64 v180, v[6:7] offset:2112
	s_or_b32 exec_lo, exec_lo, s22
	s_and_saveexec_b32 s22, s18
	s_wait_alu 0xfffe
	s_xor_b32 s22, exec_lo, s22
	s_cbranch_execz .LBB2_58
.LBB2_180:                              ;   in Loop: Header=BB2_4 Depth=1
	v_mov_b32_e32 v64, v63
	ds_store_b64 v180, v[63:64] offset:4224
	s_wait_alu 0xfffe
	s_and_not1_saveexec_b32 s22, s22
	s_cbranch_execz .LBB2_59
.LBB2_181:                              ;   in Loop: Header=BB2_4 Depth=1
	v_add_co_u32 v6, vcc_lo, v0, s58
	s_wait_alu 0xfffd
	v_add_co_ci_u32_e64 v7, null, s59, v1, vcc_lo
	global_load_b64 v[6:7], v[6:7], off
	s_wait_loadcnt 0x0
	ds_store_b64 v180, v[6:7] offset:4224
	s_wait_alu 0xfffe
	s_or_b32 exec_lo, exec_lo, s22
	s_and_saveexec_b32 s22, s19
	s_wait_alu 0xfffe
	s_xor_b32 s22, exec_lo, s22
	s_cbranch_execz .LBB2_60
.LBB2_182:                              ;   in Loop: Header=BB2_4 Depth=1
	v_mov_b32_e32 v64, v63
	ds_store_b64 v180, v[63:64] offset:6336
	s_wait_alu 0xfffe
	s_and_not1_saveexec_b32 s22, s22
	s_cbranch_execnz .LBB2_61
	s_branch .LBB2_62
.LBB2_183:                              ;   in Loop: Header=BB2_4 Depth=1
	global_load_b64 v[6:7], v[4:5], off
	s_wait_loadcnt 0x0
	ds_store_b64 v180, v[6:7]
	s_or_b32 exec_lo, exec_lo, s22
	s_and_saveexec_b32 s22, s17
	s_wait_alu 0xfffe
	s_xor_b32 s22, exec_lo, s22
	s_cbranch_execz .LBB2_94
.LBB2_184:                              ;   in Loop: Header=BB2_4 Depth=1
	v_mov_b32_e32 v64, v63
	ds_store_b64 v180, v[63:64] offset:2112
	s_wait_alu 0xfffe
	s_and_not1_saveexec_b32 s22, s22
	s_cbranch_execz .LBB2_95
.LBB2_185:                              ;   in Loop: Header=BB2_4 Depth=1
	s_lshl_b64 s[64:65], s[46:47], 3
	s_wait_alu 0xfffe
	v_add_co_u32 v6, vcc_lo, v4, s64
	s_wait_alu 0xfffd
	v_add_co_ci_u32_e64 v7, null, s65, v5, vcc_lo
	global_load_b64 v[6:7], v[6:7], off
	s_wait_loadcnt 0x0
	ds_store_b64 v180, v[6:7] offset:2112
	s_or_b32 exec_lo, exec_lo, s22
	s_and_saveexec_b32 s22, s18
	s_wait_alu 0xfffe
	s_xor_b32 s22, exec_lo, s22
	s_cbranch_execz .LBB2_96
.LBB2_186:                              ;   in Loop: Header=BB2_4 Depth=1
	v_mov_b32_e32 v64, v63
	ds_store_b64 v180, v[63:64] offset:4224
	s_wait_alu 0xfffe
	s_and_not1_saveexec_b32 s22, s22
	s_cbranch_execz .LBB2_97
.LBB2_187:                              ;   in Loop: Header=BB2_4 Depth=1
	v_add_co_u32 v6, vcc_lo, v4, s58
	s_wait_alu 0xfffd
	v_add_co_ci_u32_e64 v7, null, s59, v5, vcc_lo
	global_load_b64 v[6:7], v[6:7], off
	s_wait_loadcnt 0x0
	ds_store_b64 v180, v[6:7] offset:4224
	s_wait_alu 0xfffe
	s_or_b32 exec_lo, exec_lo, s22
	s_and_saveexec_b32 s22, s19
	s_wait_alu 0xfffe
	s_xor_b32 s22, exec_lo, s22
	s_cbranch_execz .LBB2_98
.LBB2_188:                              ;   in Loop: Header=BB2_4 Depth=1
	v_mov_b32_e32 v64, v63
	ds_store_b64 v180, v[63:64] offset:6336
	s_wait_alu 0xfffe
	s_and_not1_saveexec_b32 s22, s22
	s_cbranch_execnz .LBB2_99
	s_branch .LBB2_100
.LBB2_189:
	s_nop 0
	s_sendmsg sendmsg(MSG_DEALLOC_VGPRS)
	s_endpgm
	.section	.rodata,"a",@progbits
	.p2align	6, 0x0
	.amdhsa_kernel _ZL26rocblas_hemvn_kernel_upperILb1ELi64ELi4ELi33ELi32ELi16EiPK19rocblas_complex_numIfES3_PS1_EviT6_lT7_lT5_lS6_lS7_lS5_lT8_i
		.amdhsa_group_segment_fixed_size 9600
		.amdhsa_private_segment_fixed_size 0
		.amdhsa_kernarg_size 376
		.amdhsa_user_sgpr_count 2
		.amdhsa_user_sgpr_dispatch_ptr 0
		.amdhsa_user_sgpr_queue_ptr 0
		.amdhsa_user_sgpr_kernarg_segment_ptr 1
		.amdhsa_user_sgpr_dispatch_id 0
		.amdhsa_user_sgpr_private_segment_size 0
		.amdhsa_wavefront_size32 1
		.amdhsa_uses_dynamic_stack 0
		.amdhsa_enable_private_segment 0
		.amdhsa_system_sgpr_workgroup_id_x 1
		.amdhsa_system_sgpr_workgroup_id_y 0
		.amdhsa_system_sgpr_workgroup_id_z 1
		.amdhsa_system_sgpr_workgroup_info 0
		.amdhsa_system_vgpr_workitem_id 1
		.amdhsa_next_free_vgpr 236
		.amdhsa_next_free_sgpr 87
		.amdhsa_reserve_vcc 1
		.amdhsa_float_round_mode_32 0
		.amdhsa_float_round_mode_16_64 0
		.amdhsa_float_denorm_mode_32 3
		.amdhsa_float_denorm_mode_16_64 3
		.amdhsa_fp16_overflow 0
		.amdhsa_workgroup_processor_mode 1
		.amdhsa_memory_ordered 1
		.amdhsa_forward_progress 1
		.amdhsa_inst_pref_size 94
		.amdhsa_round_robin_scheduling 0
		.amdhsa_exception_fp_ieee_invalid_op 0
		.amdhsa_exception_fp_denorm_src 0
		.amdhsa_exception_fp_ieee_div_zero 0
		.amdhsa_exception_fp_ieee_overflow 0
		.amdhsa_exception_fp_ieee_underflow 0
		.amdhsa_exception_fp_ieee_inexact 0
		.amdhsa_exception_int_div_zero 0
	.end_amdhsa_kernel
	.section	.text._ZL26rocblas_hemvn_kernel_upperILb1ELi64ELi4ELi33ELi32ELi16EiPK19rocblas_complex_numIfES3_PS1_EviT6_lT7_lT5_lS6_lS7_lS5_lT8_i,"axG",@progbits,_ZL26rocblas_hemvn_kernel_upperILb1ELi64ELi4ELi33ELi32ELi16EiPK19rocblas_complex_numIfES3_PS1_EviT6_lT7_lT5_lS6_lS7_lS5_lT8_i,comdat
.Lfunc_end2:
	.size	_ZL26rocblas_hemvn_kernel_upperILb1ELi64ELi4ELi33ELi32ELi16EiPK19rocblas_complex_numIfES3_PS1_EviT6_lT7_lT5_lS6_lS7_lS5_lT8_i, .Lfunc_end2-_ZL26rocblas_hemvn_kernel_upperILb1ELi64ELi4ELi33ELi32ELi16EiPK19rocblas_complex_numIfES3_PS1_EviT6_lT7_lT5_lS6_lS7_lS5_lT8_i
                                        ; -- End function
	.set _ZL26rocblas_hemvn_kernel_upperILb1ELi64ELi4ELi33ELi32ELi16EiPK19rocblas_complex_numIfES3_PS1_EviT6_lT7_lT5_lS6_lS7_lS5_lT8_i.num_vgpr, 236
	.set _ZL26rocblas_hemvn_kernel_upperILb1ELi64ELi4ELi33ELi32ELi16EiPK19rocblas_complex_numIfES3_PS1_EviT6_lT7_lT5_lS6_lS7_lS5_lT8_i.num_agpr, 0
	.set _ZL26rocblas_hemvn_kernel_upperILb1ELi64ELi4ELi33ELi32ELi16EiPK19rocblas_complex_numIfES3_PS1_EviT6_lT7_lT5_lS6_lS7_lS5_lT8_i.numbered_sgpr, 87
	.set _ZL26rocblas_hemvn_kernel_upperILb1ELi64ELi4ELi33ELi32ELi16EiPK19rocblas_complex_numIfES3_PS1_EviT6_lT7_lT5_lS6_lS7_lS5_lT8_i.num_named_barrier, 0
	.set _ZL26rocblas_hemvn_kernel_upperILb1ELi64ELi4ELi33ELi32ELi16EiPK19rocblas_complex_numIfES3_PS1_EviT6_lT7_lT5_lS6_lS7_lS5_lT8_i.private_seg_size, 0
	.set _ZL26rocblas_hemvn_kernel_upperILb1ELi64ELi4ELi33ELi32ELi16EiPK19rocblas_complex_numIfES3_PS1_EviT6_lT7_lT5_lS6_lS7_lS5_lT8_i.uses_vcc, 1
	.set _ZL26rocblas_hemvn_kernel_upperILb1ELi64ELi4ELi33ELi32ELi16EiPK19rocblas_complex_numIfES3_PS1_EviT6_lT7_lT5_lS6_lS7_lS5_lT8_i.uses_flat_scratch, 0
	.set _ZL26rocblas_hemvn_kernel_upperILb1ELi64ELi4ELi33ELi32ELi16EiPK19rocblas_complex_numIfES3_PS1_EviT6_lT7_lT5_lS6_lS7_lS5_lT8_i.has_dyn_sized_stack, 0
	.set _ZL26rocblas_hemvn_kernel_upperILb1ELi64ELi4ELi33ELi32ELi16EiPK19rocblas_complex_numIfES3_PS1_EviT6_lT7_lT5_lS6_lS7_lS5_lT8_i.has_recursion, 0
	.set _ZL26rocblas_hemvn_kernel_upperILb1ELi64ELi4ELi33ELi32ELi16EiPK19rocblas_complex_numIfES3_PS1_EviT6_lT7_lT5_lS6_lS7_lS5_lT8_i.has_indirect_call, 0
	.section	.AMDGPU.csdata,"",@progbits
; Kernel info:
; codeLenInByte = 12024
; TotalNumSgprs: 89
; NumVgprs: 236
; ScratchSize: 0
; MemoryBound: 1
; FloatMode: 240
; IeeeMode: 1
; LDSByteSize: 9600 bytes/workgroup (compile time only)
; SGPRBlocks: 0
; VGPRBlocks: 29
; NumSGPRsForWavesPerEU: 89
; NumVGPRsForWavesPerEU: 236
; Occupancy: 6
; WaveLimiterHint : 0
; COMPUTE_PGM_RSRC2:SCRATCH_EN: 0
; COMPUTE_PGM_RSRC2:USER_SGPR: 2
; COMPUTE_PGM_RSRC2:TRAP_HANDLER: 0
; COMPUTE_PGM_RSRC2:TGID_X_EN: 1
; COMPUTE_PGM_RSRC2:TGID_Y_EN: 0
; COMPUTE_PGM_RSRC2:TGID_Z_EN: 1
; COMPUTE_PGM_RSRC2:TIDIG_COMP_CNT: 1
	.section	.text._ZL36rocblas_hemvn_kernel_upper_block_sumILi64EiPK19rocblas_complex_numIfEPS1_S1_EviT1_lS5_lT2_lT0_lPT3_i,"axG",@progbits,_ZL36rocblas_hemvn_kernel_upper_block_sumILi64EiPK19rocblas_complex_numIfEPS1_S1_EviT1_lS5_lT2_lT0_lPT3_i,comdat
	.globl	_ZL36rocblas_hemvn_kernel_upper_block_sumILi64EiPK19rocblas_complex_numIfEPS1_S1_EviT1_lS5_lT2_lT0_lPT3_i ; -- Begin function _ZL36rocblas_hemvn_kernel_upper_block_sumILi64EiPK19rocblas_complex_numIfEPS1_S1_EviT1_lS5_lT2_lT0_lPT3_i
	.p2align	8
	.type	_ZL36rocblas_hemvn_kernel_upper_block_sumILi64EiPK19rocblas_complex_numIfEPS1_S1_EviT1_lS5_lT2_lT0_lPT3_i,@function
_ZL36rocblas_hemvn_kernel_upper_block_sumILi64EiPK19rocblas_complex_numIfEPS1_S1_EviT1_lS5_lT2_lT0_lPT3_i: ; @_ZL36rocblas_hemvn_kernel_upper_block_sumILi64EiPK19rocblas_complex_numIfEPS1_S1_EviT1_lS5_lT2_lT0_lPT3_i
; %bb.0:
	s_load_b32 s26, s[0:1], 0x50
	s_lshr_b32 s2, ttmp7, 16
	s_wait_kmcnt 0x0
	s_cmp_ge_u32 s2, s26
	s_cbranch_scc1 .LBB3_23
; %bb.1:
	s_clause 0x3
	s_load_b128 s[20:23], s[0:1], 0x28
	s_load_b32 s18, s[0:1], 0x0
	s_load_b32 s3, s[0:1], 0x38
	s_load_b128 s[12:15], s[0:1], 0x40
	v_lshl_or_b32 v0, ttmp9, 6, v0
	s_load_b256 s[4:11], s[0:1], 0x8
	s_add_nc_u64 s[16:17], s[0:1], 0x58
	s_delay_alu instid0(VALU_DEP_1) | instskip(NEXT) | instid1(VALU_DEP_1)
	v_ashrrev_i32_e32 v1, 31, v0
	v_lshlrev_b64_e32 v[1:2], 3, v[0:1]
	s_wait_kmcnt 0x0
	s_lshl_b64 s[22:23], s[22:23], 3
	v_cmp_gt_i32_e64 s0, s18, v0
	v_mul_lo_u32 v3, s3, v0
	s_delay_alu instid0(VALU_DEP_3) | instskip(NEXT) | instid1(VALU_DEP_1)
	v_add_co_u32 v0, vcc_lo, s14, v1
	v_add_co_ci_u32_e64 v1, null, s15, v2, vcc_lo
	s_ashr_i32 s19, s18, 31
	v_add_co_u32 v0, vcc_lo, v0, 4
	v_ashrrev_i32_e32 v4, 31, v3
	s_wait_alu 0xfffd
	v_add_co_ci_u32_e64 v1, null, 0, v1, vcc_lo
	s_cmp_gt_i32 ttmp9, -1
	s_add_nc_u64 s[14:15], s[20:21], s[22:23]
	v_lshlrev_b64_e32 v[2:3], 3, v[3:4]
	s_cselect_b32 s1, -1, 0
	s_add_co_i32 s27, ttmp9, 1
	s_wait_alu 0xfffe
	s_lshl_b64 s[18:19], s[18:19], 3
	s_mov_b32 s3, 0
	s_branch .LBB3_5
.LBB3_2:                                ;   in Loop: Header=BB3_5 Depth=1
	v_add_co_u32 v6, vcc_lo, s22, v2
	s_wait_alu 0xfffd
	v_add_co_ci_u32_e64 v7, null, s23, v3, vcc_lo
	global_store_b64 v[6:7], v[4:5], off
.LBB3_3:                                ;   in Loop: Header=BB3_5 Depth=1
	s_or_b32 exec_lo, exec_lo, s28
.LBB3_4:                                ;   in Loop: Header=BB3_5 Depth=1
	s_add_co_i32 s2, s2, 0x10000
	s_wait_alu 0xfffe
	s_cmp_lt_u32 s2, s26
	s_cbranch_scc0 .LBB3_23
.LBB3_5:                                ; =>This Loop Header: Depth=1
                                        ;     Child Loop BB3_18 Depth 2
	s_wait_alu 0xfffe
	s_mul_u64 s[20:21], s[6:7], s[2:3]
	s_wait_alu 0xfffe
	s_lshl_b64 s[20:21], s[20:21], 3
	s_wait_alu 0xfffe
	s_add_nc_u64 s[20:21], s[4:5], s[20:21]
	s_load_b64 s[24:25], s[20:21], 0x0
	s_mul_u64 s[20:21], s[10:11], s[2:3]
	s_wait_alu 0xfffe
	s_lshl_b64 s[20:21], s[20:21], 3
	s_wait_alu 0xfffe
	s_add_nc_u64 s[20:21], s[8:9], s[20:21]
	s_load_b64 s[20:21], s[20:21], 0x0
	s_wait_kmcnt 0x0
	s_or_b32 s22, s24, s25
	s_wait_alu 0xfffe
	s_bitset0_b32 s22, 31
	s_wait_alu 0xfffe
	s_cmp_eq_u32 s22, 0
	s_cselect_b32 s28, -1, 0
	s_cmp_lg_u32 s22, 0
	s_mov_b32 s22, -1
	s_cbranch_scc1 .LBB3_7
; %bb.6:                                ;   in Loop: Header=BB3_5 Depth=1
	s_cmp_neq_f32 s20, 1.0
	s_cselect_b32 s22, -1, 0
	s_cmp_neq_f32 s21, 0
	s_cselect_b32 s23, -1, 0
	s_wait_alu 0xfffe
	s_or_b32 s22, s22, s23
.LBB3_7:                                ;   in Loop: Header=BB3_5 Depth=1
	s_wait_alu 0xfffe
	s_and_not1_b32 vcc_lo, exec_lo, s22
	s_wait_alu 0xfffe
	s_cbranch_vccnz .LBB3_4
; %bb.8:                                ;   in Loop: Header=BB3_5 Depth=1
	s_mul_u64 s[22:23], s[12:13], s[2:3]
	s_and_not1_b32 vcc_lo, exec_lo, s28
	s_wait_alu 0xfffe
	s_lshl_b64 s[22:23], s[22:23], 3
	s_mov_b32 s28, -1
	s_wait_alu 0xfffe
	s_add_nc_u64 s[22:23], s[14:15], s[22:23]
	s_cbranch_vccnz .LBB3_14
; %bb.9:                                ;   in Loop: Header=BB3_5 Depth=1
	s_and_saveexec_b32 s28, s0
	s_cbranch_execz .LBB3_13
; %bb.10:                               ;   in Loop: Header=BB3_5 Depth=1
	s_cmp_neq_f32 s20, 0
	v_dual_mov_b32 v4, 0 :: v_dual_mov_b32 v5, 0
	s_cselect_b32 s29, -1, 0
	s_cmp_neq_f32 s21, 0
	s_cselect_b32 s30, -1, 0
	s_wait_alu 0xfffe
	s_or_b32 s29, s29, s30
	s_delay_alu instid0(SALU_CYCLE_1)
	s_and_not1_b32 vcc_lo, exec_lo, s29
	s_wait_alu 0xfffe
	s_cbranch_vccnz .LBB3_12
; %bb.11:                               ;   in Loop: Header=BB3_5 Depth=1
	v_add_co_u32 v4, vcc_lo, s22, v2
	s_wait_alu 0xfffd
	v_add_co_ci_u32_e64 v5, null, s23, v3, vcc_lo
	global_load_b64 v[6:7], v[4:5], off
	s_wait_loadcnt 0x0
	v_mul_f32_e32 v5, s20, v7
	s_delay_alu instid0(VALU_DEP_1) | instskip(NEXT) | instid1(VALU_DEP_1)
	v_dual_mul_f32 v4, s21, v7 :: v_dual_fmac_f32 v5, s21, v6
	v_fma_f32 v4, v6, s20, -v4
.LBB3_12:                               ;   in Loop: Header=BB3_5 Depth=1
	v_add_co_u32 v6, vcc_lo, s22, v2
	s_wait_alu 0xfffd
	v_add_co_ci_u32_e64 v7, null, s23, v3, vcc_lo
	global_store_b64 v[6:7], v[4:5], off
.LBB3_13:                               ;   in Loop: Header=BB3_5 Depth=1
	s_or_b32 exec_lo, exec_lo, s28
	s_mov_b32 s28, 0
.LBB3_14:                               ;   in Loop: Header=BB3_5 Depth=1
	s_delay_alu instid0(SALU_CYCLE_1)
	s_and_not1_b32 vcc_lo, exec_lo, s28
	s_wait_alu 0xfffe
	s_cbranch_vccnz .LBB3_4
; %bb.15:                               ;   in Loop: Header=BB3_5 Depth=1
	s_and_saveexec_b32 s28, s0
	s_cbranch_execz .LBB3_3
; %bb.16:                               ;   in Loop: Header=BB3_5 Depth=1
	v_dual_mov_b32 v6, 0 :: v_dual_mov_b32 v7, 0
	s_and_not1_b32 vcc_lo, exec_lo, s1
	s_wait_alu 0xfffe
	s_cbranch_vccnz .LBB3_19
; %bb.17:                               ;   in Loop: Header=BB3_5 Depth=1
	s_load_b32 s30, s[16:17], 0x0
	s_mov_b32 s31, s3
	s_mov_b32 s29, s27
	v_mov_b32_e32 v7, 0
	s_wait_kmcnt 0x0
	s_wait_alu 0xfffe
	s_mul_u64 s[30:31], s[18:19], s[30:31]
	s_wait_alu 0xfffe
	v_mad_co_u64_u32 v[4:5], null, s30, s2, v[0:1]
	s_delay_alu instid0(VALU_DEP_1)
	v_mad_co_u64_u32 v[5:6], null, s31, s2, v[5:6]
	v_mov_b32_e32 v6, 0
.LBB3_18:                               ;   Parent Loop BB3_5 Depth=1
                                        ; =>  This Inner Loop Header: Depth=2
	global_load_b64 v[8:9], v[4:5], off offset:-4
	v_add_co_u32 v4, vcc_lo, v4, s18
	s_wait_alu 0xfffd
	v_add_co_ci_u32_e64 v5, null, s19, v5, vcc_lo
	s_add_co_i32 s29, s29, -1
	s_delay_alu instid0(SALU_CYCLE_1)
	s_cmp_eq_u32 s29, 0
	s_wait_loadcnt 0x0
	v_dual_add_f32 v7, v7, v8 :: v_dual_add_f32 v6, v6, v9
	s_cbranch_scc0 .LBB3_18
.LBB3_19:                               ;   in Loop: Header=BB3_5 Depth=1
	s_cmp_neq_f32 s20, 0
	s_delay_alu instid0(VALU_DEP_1) | instskip(SKIP_3) | instid1(VALU_DEP_2)
	v_mul_f32_e32 v5, s24, v6
	v_mul_f32_e32 v4, s25, v6
	s_cselect_b32 s29, -1, 0
	s_cmp_neq_f32 s21, 0
	v_fmac_f32_e32 v5, s25, v7
	s_delay_alu instid0(VALU_DEP_2) | instskip(SKIP_4) | instid1(SALU_CYCLE_1)
	v_fma_f32 v4, v7, s24, -v4
	s_mov_b32 s24, -1
	s_cselect_b32 s30, -1, 0
	s_wait_alu 0xfffe
	s_or_b32 s29, s29, s30
	s_and_not1_b32 vcc_lo, exec_lo, s29
	s_wait_alu 0xfffe
	s_cbranch_vccz .LBB3_21
; %bb.20:                               ;   in Loop: Header=BB3_5 Depth=1
	s_mov_b32 s24, 0
.LBB3_21:                               ;   in Loop: Header=BB3_5 Depth=1
	s_wait_alu 0xfffe
	s_and_not1_b32 vcc_lo, exec_lo, s24
	s_wait_alu 0xfffe
	s_cbranch_vccnz .LBB3_2
; %bb.22:                               ;   in Loop: Header=BB3_5 Depth=1
	v_add_co_u32 v6, vcc_lo, s22, v2
	s_wait_alu 0xfffd
	v_add_co_ci_u32_e64 v7, null, s23, v3, vcc_lo
	global_load_b64 v[6:7], v[6:7], off
	s_wait_loadcnt 0x0
	v_mul_f32_e32 v8, s21, v7
	v_mul_f32_e32 v7, s20, v7
	s_delay_alu instid0(VALU_DEP_1) | instskip(NEXT) | instid1(VALU_DEP_3)
	v_fmac_f32_e32 v7, s21, v6
	v_fma_f32 v8, v6, s20, -v8
	s_delay_alu instid0(VALU_DEP_1)
	v_dual_add_f32 v5, v5, v7 :: v_dual_add_f32 v4, v4, v8
	s_branch .LBB3_2
.LBB3_23:
	s_endpgm
	.section	.rodata,"a",@progbits
	.p2align	6, 0x0
	.amdhsa_kernel _ZL36rocblas_hemvn_kernel_upper_block_sumILi64EiPK19rocblas_complex_numIfEPS1_S1_EviT1_lS5_lT2_lT0_lPT3_i
		.amdhsa_group_segment_fixed_size 0
		.amdhsa_private_segment_fixed_size 0
		.amdhsa_kernarg_size 344
		.amdhsa_user_sgpr_count 2
		.amdhsa_user_sgpr_dispatch_ptr 0
		.amdhsa_user_sgpr_queue_ptr 0
		.amdhsa_user_sgpr_kernarg_segment_ptr 1
		.amdhsa_user_sgpr_dispatch_id 0
		.amdhsa_user_sgpr_private_segment_size 0
		.amdhsa_wavefront_size32 1
		.amdhsa_uses_dynamic_stack 0
		.amdhsa_enable_private_segment 0
		.amdhsa_system_sgpr_workgroup_id_x 1
		.amdhsa_system_sgpr_workgroup_id_y 0
		.amdhsa_system_sgpr_workgroup_id_z 1
		.amdhsa_system_sgpr_workgroup_info 0
		.amdhsa_system_vgpr_workitem_id 0
		.amdhsa_next_free_vgpr 10
		.amdhsa_next_free_sgpr 32
		.amdhsa_reserve_vcc 1
		.amdhsa_float_round_mode_32 0
		.amdhsa_float_round_mode_16_64 0
		.amdhsa_float_denorm_mode_32 3
		.amdhsa_float_denorm_mode_16_64 3
		.amdhsa_fp16_overflow 0
		.amdhsa_workgroup_processor_mode 1
		.amdhsa_memory_ordered 1
		.amdhsa_forward_progress 1
		.amdhsa_inst_pref_size 8
		.amdhsa_round_robin_scheduling 0
		.amdhsa_exception_fp_ieee_invalid_op 0
		.amdhsa_exception_fp_denorm_src 0
		.amdhsa_exception_fp_ieee_div_zero 0
		.amdhsa_exception_fp_ieee_overflow 0
		.amdhsa_exception_fp_ieee_underflow 0
		.amdhsa_exception_fp_ieee_inexact 0
		.amdhsa_exception_int_div_zero 0
	.end_amdhsa_kernel
	.section	.text._ZL36rocblas_hemvn_kernel_upper_block_sumILi64EiPK19rocblas_complex_numIfEPS1_S1_EviT1_lS5_lT2_lT0_lPT3_i,"axG",@progbits,_ZL36rocblas_hemvn_kernel_upper_block_sumILi64EiPK19rocblas_complex_numIfEPS1_S1_EviT1_lS5_lT2_lT0_lPT3_i,comdat
.Lfunc_end3:
	.size	_ZL36rocblas_hemvn_kernel_upper_block_sumILi64EiPK19rocblas_complex_numIfEPS1_S1_EviT1_lS5_lT2_lT0_lPT3_i, .Lfunc_end3-_ZL36rocblas_hemvn_kernel_upper_block_sumILi64EiPK19rocblas_complex_numIfEPS1_S1_EviT1_lS5_lT2_lT0_lPT3_i
                                        ; -- End function
	.set _ZL36rocblas_hemvn_kernel_upper_block_sumILi64EiPK19rocblas_complex_numIfEPS1_S1_EviT1_lS5_lT2_lT0_lPT3_i.num_vgpr, 10
	.set _ZL36rocblas_hemvn_kernel_upper_block_sumILi64EiPK19rocblas_complex_numIfEPS1_S1_EviT1_lS5_lT2_lT0_lPT3_i.num_agpr, 0
	.set _ZL36rocblas_hemvn_kernel_upper_block_sumILi64EiPK19rocblas_complex_numIfEPS1_S1_EviT1_lS5_lT2_lT0_lPT3_i.numbered_sgpr, 32
	.set _ZL36rocblas_hemvn_kernel_upper_block_sumILi64EiPK19rocblas_complex_numIfEPS1_S1_EviT1_lS5_lT2_lT0_lPT3_i.num_named_barrier, 0
	.set _ZL36rocblas_hemvn_kernel_upper_block_sumILi64EiPK19rocblas_complex_numIfEPS1_S1_EviT1_lS5_lT2_lT0_lPT3_i.private_seg_size, 0
	.set _ZL36rocblas_hemvn_kernel_upper_block_sumILi64EiPK19rocblas_complex_numIfEPS1_S1_EviT1_lS5_lT2_lT0_lPT3_i.uses_vcc, 1
	.set _ZL36rocblas_hemvn_kernel_upper_block_sumILi64EiPK19rocblas_complex_numIfEPS1_S1_EviT1_lS5_lT2_lT0_lPT3_i.uses_flat_scratch, 0
	.set _ZL36rocblas_hemvn_kernel_upper_block_sumILi64EiPK19rocblas_complex_numIfEPS1_S1_EviT1_lS5_lT2_lT0_lPT3_i.has_dyn_sized_stack, 0
	.set _ZL36rocblas_hemvn_kernel_upper_block_sumILi64EiPK19rocblas_complex_numIfEPS1_S1_EviT1_lS5_lT2_lT0_lPT3_i.has_recursion, 0
	.set _ZL36rocblas_hemvn_kernel_upper_block_sumILi64EiPK19rocblas_complex_numIfEPS1_S1_EviT1_lS5_lT2_lT0_lPT3_i.has_indirect_call, 0
	.section	.AMDGPU.csdata,"",@progbits
; Kernel info:
; codeLenInByte = 920
; TotalNumSgprs: 34
; NumVgprs: 10
; ScratchSize: 0
; MemoryBound: 0
; FloatMode: 240
; IeeeMode: 1
; LDSByteSize: 0 bytes/workgroup (compile time only)
; SGPRBlocks: 0
; VGPRBlocks: 1
; NumSGPRsForWavesPerEU: 34
; NumVGPRsForWavesPerEU: 10
; Occupancy: 16
; WaveLimiterHint : 0
; COMPUTE_PGM_RSRC2:SCRATCH_EN: 0
; COMPUTE_PGM_RSRC2:USER_SGPR: 2
; COMPUTE_PGM_RSRC2:TRAP_HANDLER: 0
; COMPUTE_PGM_RSRC2:TGID_X_EN: 1
; COMPUTE_PGM_RSRC2:TGID_Y_EN: 0
; COMPUTE_PGM_RSRC2:TGID_Z_EN: 1
; COMPUTE_PGM_RSRC2:TIDIG_COMP_CNT: 0
	.section	.text._ZL26rocblas_hemvn_kernel_upperILb1ELi64ELi4ELi33ELi32ELi16El19rocblas_complex_numIfEPKS1_PS1_EviT6_lT7_lT5_lS6_lS7_lS5_lT8_i,"axG",@progbits,_ZL26rocblas_hemvn_kernel_upperILb1ELi64ELi4ELi33ELi32ELi16El19rocblas_complex_numIfEPKS1_PS1_EviT6_lT7_lT5_lS6_lS7_lS5_lT8_i,comdat
	.globl	_ZL26rocblas_hemvn_kernel_upperILb1ELi64ELi4ELi33ELi32ELi16El19rocblas_complex_numIfEPKS1_PS1_EviT6_lT7_lT5_lS6_lS7_lS5_lT8_i ; -- Begin function _ZL26rocblas_hemvn_kernel_upperILb1ELi64ELi4ELi33ELi32ELi16El19rocblas_complex_numIfEPKS1_PS1_EviT6_lT7_lT5_lS6_lS7_lS5_lT8_i
	.p2align	8
	.type	_ZL26rocblas_hemvn_kernel_upperILb1ELi64ELi4ELi33ELi32ELi16El19rocblas_complex_numIfEPKS1_PS1_EviT6_lT7_lT5_lS6_lS7_lS5_lT8_i,@function
_ZL26rocblas_hemvn_kernel_upperILb1ELi64ELi4ELi33ELi32ELi16El19rocblas_complex_numIfEPKS1_PS1_EviT6_lT7_lT5_lS6_lS7_lS5_lT8_i: ; @_ZL26rocblas_hemvn_kernel_upperILb1ELi64ELi4ELi33ELi32ELi16El19rocblas_complex_numIfEPKS1_PS1_EviT6_lT7_lT5_lS6_lS7_lS5_lT8_i
; %bb.0:
	s_clause 0x1
	s_load_b64 s[2:3], s[0:1], 0x84
	s_load_b32 s33, s[0:1], 0x70
	s_lshr_b32 s24, ttmp7, 16
	s_wait_kmcnt 0x0
	s_lshr_b32 s4, s2, 16
	s_and_b32 s2, s2, 0xffff
	s_and_b32 s3, s3, 0xffff
	s_mul_i32 s2, s4, s2
	s_delay_alu instid0(SALU_CYCLE_1) | instskip(NEXT) | instid1(SALU_CYCLE_1)
	s_mul_i32 s2, s2, s3
	s_cmp_lg_u32 s2, 0x100
	s_cselect_b32 s2, -1, 0
	s_cmp_ge_u32 s24, s33
	s_cselect_b32 s3, -1, 0
	s_delay_alu instid0(SALU_CYCLE_1) | instskip(NEXT) | instid1(SALU_CYCLE_1)
	s_or_b32 s2, s2, s3
	s_and_b32 vcc_lo, exec_lo, s2
	s_cbranch_vccnz .LBB4_187
; %bb.1:
	s_clause 0x4
	s_load_b32 s2, s[0:1], 0x0
	s_load_b64 s[8:9], s[0:1], 0x4
	s_load_b512 s[36:51], s[0:1], 0x18
	s_load_b64 s[10:11], s[0:1], 0x58
	s_load_b64 s[6:7], s[0:1], 0x68
	s_add_nc_u64 s[0:1], s[0:1], 0x78
	v_and_b32_e32 v96, 0x3ff, v0
	s_load_b32 s26, s[0:1], 0x0
	v_bfe_u32 v10, v0, 10, 10
	v_dual_mov_b32 v56, 0 :: v_dual_and_b32 v1, 31, v0
	s_mov_b32 s4, ttmp9
	s_mov_b32 s25, 0
	s_delay_alu instid0(VALU_DEP_2) | instskip(NEXT) | instid1(VALU_DEP_2)
	v_lshl_add_u32 v11, v10, 6, v96
	v_lshlrev_b32_e32 v18, 3, v1
	v_mov_b32_e32 v2, v56
	s_mov_b32 s27, s25
	v_lshlrev_b32_e32 v22, 5, v10
	v_lshrrev_b32_e32 v12, 5, v11
	v_lshl_or_b32 v15, v1, 8, v18
	s_wait_kmcnt 0x0
	s_ashr_i32 s3, s2, 31
	s_or_b32 s0, s8, s9
	s_lshl_b64 s[8:9], s[46:47], 3
	s_bitset0_b32 s0, 31
	s_lshl_b64 s[12:13], s[38:39], 3
	s_cmp_lg_u32 s0, 0
	v_mad_co_u64_u32 v[2:3], null, s40, v12, v[1:2]
	s_cselect_b32 s56, -1, 0
	s_cmp_neq_f32 s10, 1.0
	s_add_nc_u64 s[8:9], s[44:45], s[8:9]
	s_mul_u64 s[30:31], s[26:27], s[2:3]
	v_and_b32_e32 v16, 0x7fe0, v11
	s_cselect_b32 s57, -1, 0
	s_cmp_neq_f32 s11, 0
	s_add_nc_u64 s[10:11], s[36:37], s[12:13]
	v_lshlrev_b32_e32 v14, 2, v12
	v_add_nc_u32_e32 v104, v15, v16
	s_cselect_b32 s58, -1, 0
	s_lshl_b32 s22, ttmp9, 6
	s_lshr_b32 s1, s3, 26
	v_add_nc_u32_e32 v4, s22, v96
	s_add_co_i32 s1, s2, s1
	s_add_co_i32 s5, s26, -1
	s_and_not1_b32 s1, s1, 63
	v_add_nc_u32_e32 v109, 0x2380, v16
	v_ashrrev_i32_e32 v5, 31, v4
	v_mul_lo_u32 v8, s49, v4
	v_mad_co_u64_u32 v[6:7], null, s48, v4, 0
	s_sub_co_i32 s60, s2, s1
	v_mul_lo_u32 v9, s48, v5
	s_cmp_eq_u32 ttmp9, s5
	v_add_nc_u32_e32 v16, 0x298, v22
	s_cselect_b32 s28, s60, 0
	v_cmp_eq_u32_e64 s0, 0, v10
	s_cmp_lg_u32 s28, 0
	v_or_b32_e32 v15, 2, v14
	s_cselect_b32 s61, -1, 0
	v_add3_u32 v7, v7, v9, v8
	v_mad_co_u64_u32 v[8:9], null, s41, v12, v[3:4]
	s_cmp_eq_u32 s28, 0
	v_cmp_gt_u32_e64 s14, 32, v11
	s_cselect_b32 s1, -1, 0
	v_lshlrev_b64_e32 v[6:7], 3, v[6:7]
	s_ashr_i32 s5, ttmp9, 31
	s_ashr_i32 s23, s22, 31
	v_mov_b32_e32 v3, v8
	v_cmp_gt_i32_e32 vcc_lo, s28, v96
	s_mul_u64 s[4:5], s[2:3], s[4:5]
	v_lshlrev_b32_e32 v97, 3, v96
	s_lshl_b64 s[2:3], s[4:5], 3
	v_lshlrev_b64_e32 v[2:3], 3, v[2:3]
	s_wait_alu 0xfffe
	s_lshl_b64 s[4:5], s[22:23], 3
	s_or_b32 s59, s1, vcc_lo
	v_add_co_u32 v98, vcc_lo, s8, v6
	s_add_nc_u64 s[34:35], s[6:7], s[2:3]
	s_add_nc_u64 s[2:3], s[10:11], s[4:5]
	v_add_co_ci_u32_e64 v99, null, s9, v7, vcc_lo
	v_add_co_u32 v6, vcc_lo, s2, v2
	s_mul_u64 s[4:5], s[40:41], s[22:23]
	s_wait_alu 0xfffd
	v_add_co_ci_u32_e64 v7, null, s3, v3, vcc_lo
	v_add_nc_u32_e32 v8, 8, v12
	s_lshl_b64 s[2:3], s[4:5], 3
	s_sub_co_i32 s19, s28, 32
	s_wait_alu 0xfffe
	v_add_co_u32 v101, vcc_lo, v6, s2
	s_add_co_i32 s21, ttmp9, 1
	s_xor_b32 s62, s59, -1
	s_ashr_i32 s29, s28, 31
	s_lshl_b64 s[36:37], s[40:41], 6
	s_lshl_b64 s[38:39], s[40:41], 7
	;; [unrolled: 1-line block ×3, first 2 shown]
	s_wait_alu 0xfffd
	v_add_co_ci_u32_e64 v102, null, s3, v7, vcc_lo
	v_cmp_le_i32_e64 s3, s28, v8
	v_cmp_le_i32_e64 s17, s19, v8
	v_lshlrev_b32_e32 v112, 2, v10
	s_cmp_lt_u32 s21, s26
	v_lshrrev_b32_e32 v8, 4, v11
	v_mad_u32_u24 v115, 0x860, v10, v97
	v_cmp_gt_u32_e64 s21, 64, v11
	v_mad_u32_u24 v134, 0x218, v10, v97
	v_mad_co_u64_u32 v[10:11], null, s40, v16, 0
	v_add_nc_u32_e32 v9, 16, v12
	v_sub_co_u32 v6, s2, 0, v1
	s_wait_alu 0xf1ff
	v_sub_co_ci_u32_e64 v7, null, 0, 0, s2
	v_cmp_le_i32_e64 s2, s28, v12
	v_mul_u32_u24_e32 v19, 0x108, v12
	v_add_nc_u32_e32 v13, 24, v12
	v_cmp_le_i32_e64 s4, s28, v9
	v_mul_u32_u24_e32 v20, 0x420, v12
	v_cmp_le_u32_e64 s10, v15, v1
	v_cmp_eq_u32_e64 s11, v15, v1
	v_lshlrev_b32_e32 v15, 3, v12
	v_cmp_le_i32_e64 s16, s19, v12
	v_cmp_le_i32_e64 s18, s19, v9
	v_cmp_eq_u32_e64 s20, 1, v12
	v_mul_i32_i24_e32 v111, 0xffffffe8, v12
	v_and_b32_e32 v9, 15, v0
	v_and_b32_e32 v0, 48, v0
	v_lshlrev_b32_e32 v12, 5, v8
	v_cmp_le_i32_e64 s5, s28, v13
	v_cmp_le_i32_e64 s19, s19, v13
	v_or_b32_e32 v13, 0x78, v97
	v_lshlrev_b32_e32 v0, 3, v0
	v_mad_u32_u24 v116, 0x218, v9, v12
	v_add_nc_u32_e32 v12, 0x100, v22
	v_mul_i32_i24_e32 v23, 0xffffffe8, v8
	v_mad_u32_u24 v118, 0x218, v9, v13
	v_mad_u32_u24 v117, 0x218, v9, v0
	v_or_b32_e32 v17, 1, v14
	v_mad_co_u64_u32 v[8:9], null, s40, v12, 0
	v_cmp_le_u32_e64 s6, v14, v1
	v_cmp_eq_u32_e64 s7, v14, v1
	s_delay_alu instid0(VALU_DEP_4)
	v_mul_u32_u24_e32 v21, 0x108, v17
	v_cmp_eq_u32_e64 s9, v17, v1
	v_mul_u32_u24_e32 v17, 33, v1
	v_cmp_ge_u32_e64 s8, v14, v1
	v_mov_b32_e32 v0, v9
	v_sub_co_u32 v24, vcc_lo, v8, v2
	s_delay_alu instid0(VALU_DEP_4) | instskip(SKIP_1) | instid1(VALU_DEP_4)
	v_lshlrev_b32_e32 v107, 3, v17
	v_add_nc_u32_e32 v17, 0x290, v22
	v_mad_co_u64_u32 v[12:13], null, s41, v12, v[0:1]
	v_mov_b32_e32 v0, v11
	v_or_b32_e32 v14, 3, v14
	v_or_b32_e32 v137, 4, v24
	v_add_nc_u32_e32 v24, 0x108, v22
	v_add_nc_u32_e32 v25, 0x210, v22
	v_mad_co_u64_u32 v[8:9], null, s41, v16, v[0:1]
	s_wait_alu 0xfffd
	v_sub_co_ci_u32_e64 v136, null, v12, v3, vcc_lo
	v_mad_co_u64_u32 v[11:12], null, s40, v17, 0
	v_sub_co_u32 v138, vcc_lo, v10, v2
	v_cmp_le_u32_e64 s12, v14, v1
	v_cmp_eq_u32_e64 s13, v14, v1
	v_or_b32_e32 v14, 32, v1
	s_wait_alu 0xfffd
	v_sub_co_ci_u32_e64 v139, null, v8, v3, vcc_lo
	v_mov_b32_e32 v8, v12
	v_add_nc_u32_e32 v110, v107, v15
	v_add_nc_u32_e32 v135, 0x2380, v15
	;; [unrolled: 1-line block ×3, first 2 shown]
	v_cmp_gt_i32_e64 s15, s28, v14
	v_add_nc_u32_e32 v27, 0x190, v22
	v_add_nc_u32_e32 v114, 0x2180, v22
	s_mul_u64 s[46:47], s[48:49], s[22:23]
	v_mad_co_u64_u32 v[13:14], null, s40, v15, 0
	v_add_nc_u32_e32 v105, 8, v104
	s_cselect_b32 s23, -1, 0
	s_add_co_i32 s64, s22, 64
	v_lshlrev_b64_e32 v[58:59], 3, v[4:5]
	v_lshlrev_b64_e32 v[60:61], 3, v[6:7]
	v_add_nc_u32_e32 v100, 0x2380, v97
	v_mov_b32_e32 v0, v14
	v_sub_co_u32 v140, vcc_lo, v13, v2
	v_cmp_gt_i32_e64 s1, s28, v1
	v_mad_u32_u24 v103, 0x108, v1, v18
	s_delay_alu instid0(VALU_DEP_4)
	v_mad_co_u64_u32 v[9:10], null, s41, v15, v[0:1]
	v_mad_co_u64_u32 v[14:15], null, s40, v24, 0
	v_add_nc_u32_e32 v106, 16, v104
	v_add_nc_u32_e32 v108, 24, v104
	v_or_b32_e32 v119, 1, v112
	v_or_b32_e32 v120, 2, v112
	v_mad_co_u64_u32 v[16:17], null, s41, v17, v[8:9]
	v_add_nc_u32_e32 v17, 0x288, v22
	s_wait_alu 0xfffd
	v_sub_co_ci_u32_e64 v141, null, v9, v3, vcc_lo
	v_dual_mov_b32 v0, v15 :: v_dual_add_nc_u32 v15, 0x118, v22
	s_delay_alu instid0(VALU_DEP_3) | instskip(SKIP_1) | instid1(VALU_DEP_3)
	v_mad_co_u64_u32 v[8:9], null, s40, v17, 0
	v_sub_co_u32 v142, vcc_lo, v11, v2
	v_mad_co_u64_u32 v[10:11], null, s41, v24, v[0:1]
	s_delay_alu instid0(VALU_DEP_4) | instskip(NEXT) | instid1(VALU_DEP_4)
	v_mad_co_u64_u32 v[11:12], null, s40, v15, 0
	v_mov_b32_e32 v0, v9
	s_wait_alu 0xfffd
	v_sub_co_ci_u32_e64 v143, null, v16, v3, vcc_lo
	v_add_nc_u32_e32 v16, 0x280, v22
	v_sub_co_u32 v24, vcc_lo, v14, v2
	s_wait_alu 0xfffd
	v_sub_co_ci_u32_e64 v144, null, v10, v3, vcc_lo
	v_mad_co_u64_u32 v[9:10], null, s41, v17, v[0:1]
	v_mad_co_u64_u32 v[13:14], null, s40, v16, 0
	v_mov_b32_e32 v0, v12
	v_sub_co_u32 v146, vcc_lo, v8, v2
	v_add_nc_u32_e32 v12, 0x180, v22
	s_wait_alu 0xfffd
	v_sub_co_ci_u32_e64 v147, null, v9, v3, vcc_lo
	v_mad_co_u64_u32 v[9:10], null, s41, v15, v[0:1]
	v_dual_mov_b32 v8, v14 :: v_dual_add_nc_u32 v113, 0x2180, v97
	v_mad_co_u64_u32 v[14:15], null, s40, v12, 0
	v_or_b32_e32 v145, 4, v24
	v_sub_co_u32 v24, vcc_lo, v11, v2
	s_delay_alu instid0(VALU_DEP_4) | instskip(SKIP_4) | instid1(VALU_DEP_3)
	v_mad_co_u64_u32 v[16:17], null, s41, v16, v[8:9]
	v_add_nc_u32_e32 v17, 0x218, v22
	v_dual_mov_b32 v0, v15 :: v_dual_add_nc_u32 v123, 17, v112
	s_wait_alu 0xfffd
	v_sub_co_ci_u32_e64 v148, null, v9, v3, vcc_lo
	v_mad_co_u64_u32 v[8:9], null, s40, v17, 0
	v_sub_co_u32 v149, vcc_lo, v13, v2
	v_add_nc_u32_e32 v13, 0x188, v22
	v_mad_co_u64_u32 v[10:11], null, s41, v12, v[0:1]
	s_delay_alu instid0(VALU_DEP_4) | instskip(NEXT) | instid1(VALU_DEP_3)
	v_dual_mov_b32 v0, v9 :: v_dual_add_nc_u32 v125, 19, v112
	v_mad_co_u64_u32 v[11:12], null, s40, v13, 0
	s_wait_alu 0xfffd
	v_sub_co_ci_u32_e64 v150, null, v16, v3, vcc_lo
	s_delay_alu instid0(VALU_DEP_3)
	v_mad_co_u64_u32 v[15:16], null, s41, v17, v[0:1]
	v_add_nc_u32_e32 v127, 33, v112
	v_mad_co_u64_u32 v[16:17], null, s40, v25, 0
	v_mov_b32_e32 v0, v12
	v_sub_co_u32 v26, vcc_lo, v14, v2
	s_wait_alu 0xfffd
	v_sub_co_ci_u32_e64 v151, null, v10, v3, vcc_lo
	s_delay_alu instid0(VALU_DEP_3)
	v_mad_co_u64_u32 v[9:10], null, s41, v13, v[0:1]
	v_add_nc_u32_e32 v129, 35, v112
	v_sub_co_u32 v152, vcc_lo, v8, v2
	v_mov_b32_e32 v8, v17
	v_mad_co_u64_u32 v[12:13], null, s40, v27, 0
	s_wait_alu 0xfffd
	v_sub_co_ci_u32_e64 v153, null, v15, v3, vcc_lo
	s_delay_alu instid0(VALU_DEP_3)
	v_mad_co_u64_u32 v[14:15], null, s41, v25, v[8:9]
	v_add_nc_u32_e32 v15, 0x208, v22
	v_sub_co_u32 v17, vcc_lo, v11, v2
	v_dual_mov_b32 v0, v13 :: v_dual_add_nc_u32 v131, 49, v112
	s_wait_alu 0xfffd
	v_sub_co_ci_u32_e64 v154, null, v9, v3, vcc_lo
	v_mad_co_u64_u32 v[8:9], null, s40, v15, 0
	v_sub_co_u32 v155, vcc_lo, v16, v2
	v_add_nc_u32_e32 v16, 0x198, v22
	v_mad_co_u64_u32 v[10:11], null, s41, v27, v[0:1]
	s_delay_alu instid0(VALU_DEP_4)
	v_dual_mov_b32 v0, v9 :: v_dual_add_nc_u32 v133, 51, v112
	s_wait_alu 0xfffd
	v_sub_co_ci_u32_e64 v156, null, v14, v3, vcc_lo
	v_mad_co_u64_u32 v[13:14], null, s40, v16, 0
	v_add_nc_u32_e32 v22, 0x200, v22
	v_sub_co_u32 v12, vcc_lo, v12, v2
	s_wait_alu 0xfffd
	v_sub_co_ci_u32_e64 v157, null, v10, v3, vcc_lo
	v_mad_co_u64_u32 v[9:10], null, s41, v15, v[0:1]
	v_mad_co_u64_u32 v[10:11], null, s40, v22, 0
	v_mov_b32_e32 v0, v14
	v_sub_co_u32 v159, vcc_lo, v8, v2
	v_or_b32_e32 v163, 4, v12
	s_wait_alu 0xfffd
	v_sub_co_ci_u32_e64 v160, null, v9, v3, vcc_lo
	v_mad_co_u64_u32 v[8:9], null, s41, v16, v[0:1]
	v_mov_b32_e32 v0, v11
	v_or_b32_e32 v121, 3, v112
	v_add_nc_u32_e32 v122, 16, v112
	v_add_nc_u32_e32 v124, 18, v112
	;; [unrolled: 1-line block ×3, first 2 shown]
	v_mad_co_u64_u32 v[11:12], null, s41, v22, v[0:1]
	v_sub_co_u32 v0, vcc_lo, v13, v2
	v_sub_co_u32 v2, s22, v10, v2
	v_add_nc_u32_e32 v128, 34, v112
	v_add_nc_u32_e32 v130, 48, v112
	;; [unrolled: 1-line block ×3, first 2 shown]
	v_or_b32_e32 v158, 4, v24
	v_or_b32_e32 v161, 4, v26
	v_or_b32_e32 v162, 4, v17
	s_wait_alu 0xfffd
	v_sub_co_ci_u32_e64 v164, null, v8, v3, vcc_lo
	v_or_b32_e32 v165, 4, v0
	s_wait_alu 0xf1ff
	v_sub_co_ci_u32_e64 v166, null, v11, v3, s22
	v_or_b32_e32 v167, 4, v2
	v_add_nc_u32_e32 v168, v116, v23
	v_cndmask_b32_e64 v169, 0, 1, s56
	v_add_nc_u32_e32 v170, v18, v19
	v_lshlrev_b32_e32 v171, 3, v1
	v_add_nc_u32_e32 v172, v18, v20
	v_add_nc_u32_e32 v173, v18, v21
	s_sub_nc_u64 s[54:55], 0, s[46:47]
	s_or_b32 s57, s57, s58
	s_mul_u64 s[44:45], s[40:41], 0xc0
	s_add_co_i32 s27, s26, -2
	s_and_b32 s63, s0, s59
	s_wait_alu 0xfffe
	s_sub_nc_u64 s[46:47], 0, s[28:29]
	s_or_b32 s65, s57, s56
	s_lshl_b64 s[40:41], s[40:41], 9
	s_lshl_b64 s[52:53], s[52:53], 3
	s_lshl_b64 s[54:55], s[54:55], 3
	s_branch .LBB4_4
.LBB4_2:                                ;   in Loop: Header=BB4_4 Depth=1
	s_wait_alu 0xfffe
	s_or_b32 exec_lo, exec_lo, s22
.LBB4_3:                                ;   in Loop: Header=BB4_4 Depth=1
	s_add_co_i32 s24, s24, 0x10000
	s_delay_alu instid0(SALU_CYCLE_1)
	s_cmp_lt_u32 s24, s33
	s_cbranch_scc0 .LBB4_187
.LBB4_4:                                ; =>This Loop Header: Depth=1
                                        ;     Child Loop BB4_111 Depth 2
	s_and_not1_b32 vcc_lo, exec_lo, s65
	s_wait_alu 0xfffe
	s_cbranch_vccnz .LBB4_3
; %bb.5:                                ;   in Loop: Header=BB4_4 Depth=1
	v_cmp_ne_u32_e32 vcc_lo, 1, v169
	s_cbranch_vccnz .LBB4_3
; %bb.6:                                ;   in Loop: Header=BB4_4 Depth=1
	s_mul_u64 s[56:57], s[50:51], s[24:25]
	s_wait_alu 0xfffe
	s_lshl_b64 s[56:57], s[56:57], 3
	s_wait_alu 0xfffe
	v_add_co_u32 v12, vcc_lo, v98, s56
	s_wait_alu 0xfffd
	v_add_co_ci_u32_e64 v13, null, s57, v99, vcc_lo
	s_and_saveexec_b32 s22, s0
	s_cbranch_execz .LBB4_11
; %bb.7:                                ;   in Loop: Header=BB4_4 Depth=1
	s_and_saveexec_b32 s56, s62
	s_wait_alu 0xfffe
	s_xor_b32 s56, exec_lo, s56
; %bb.8:                                ;   in Loop: Header=BB4_4 Depth=1
	v_mov_b32_e32 v57, v56
	ds_store_b64 v100, v[56:57]
; %bb.9:                                ;   in Loop: Header=BB4_4 Depth=1
	s_wait_alu 0xfffe
	s_and_not1_saveexec_b32 s56, s56
	s_cbranch_execz .LBB4_11
; %bb.10:                               ;   in Loop: Header=BB4_4 Depth=1
	global_load_b64 v[0:1], v[12:13], off
	s_wait_loadcnt 0x0
	ds_store_b64 v100, v[0:1]
.LBB4_11:                               ;   in Loop: Header=BB4_4 Depth=1
	s_wait_alu 0xfffe
	s_or_b32 exec_lo, exec_lo, s22
	s_mul_u64 s[56:57], s[42:43], s[24:25]
	s_mov_b32 s22, -1
	s_wait_alu 0xfffe
	s_lshl_b64 s[56:57], s[56:57], 3
                                        ; implicit-def: $vgpr0_vgpr1
	s_wait_alu 0xfffe
	v_add_co_u32 v2, vcc_lo, v101, s56
	s_wait_alu 0xfffd
	v_add_co_ci_u32_e64 v3, null, s57, v102, vcc_lo
	s_and_b32 vcc_lo, exec_lo, s61
	s_wait_alu 0xfffe
	s_cbranch_vccz .LBB4_23
; %bb.12:                               ;   in Loop: Header=BB4_4 Depth=1
	s_and_saveexec_b32 s22, s2
	s_wait_alu 0xfffe
	s_xor_b32 s22, exec_lo, s22
; %bb.13:                               ;   in Loop: Header=BB4_4 Depth=1
	v_mov_b32_e32 v57, v56
	ds_store_b64 v170, v[56:57]
; %bb.14:                               ;   in Loop: Header=BB4_4 Depth=1
	s_wait_alu 0xfffe
	s_or_saveexec_b32 s22, s22
	v_add_co_u32 v0, vcc_lo, v2, v60
	s_wait_alu 0xfffd
	v_add_co_ci_u32_e64 v1, null, v3, v61, vcc_lo
	s_lshl_b64 s[56:57], s[28:29], 3
	s_wait_alu 0xfffe
	v_add_co_u32 v0, vcc_lo, v0, s56
	s_wait_alu 0xfffd
	v_add_co_ci_u32_e64 v1, null, s57, v1, vcc_lo
	s_delay_alu instid0(VALU_DEP_2) | instskip(SKIP_1) | instid1(VALU_DEP_2)
	v_add_co_u32 v0, vcc_lo, v0, -8
	s_wait_alu 0xfffd
	v_add_co_ci_u32_e64 v1, null, -1, v1, vcc_lo
	s_delay_alu instid0(VALU_DEP_2) | instskip(NEXT) | instid1(VALU_DEP_2)
	v_cndmask_b32_e64 v0, v0, v2, s1
	v_cndmask_b32_e64 v1, v1, v3, s1
	s_xor_b32 exec_lo, exec_lo, s22
	s_cbranch_execnz .LBB4_169
; %bb.15:                               ;   in Loop: Header=BB4_4 Depth=1
	s_or_b32 exec_lo, exec_lo, s22
	s_and_saveexec_b32 s22, s3
	s_wait_alu 0xfffe
	s_xor_b32 s22, exec_lo, s22
	s_cbranch_execnz .LBB4_170
.LBB4_16:                               ;   in Loop: Header=BB4_4 Depth=1
	s_wait_alu 0xfffe
	s_and_not1_saveexec_b32 s22, s22
	s_cbranch_execnz .LBB4_171
.LBB4_17:                               ;   in Loop: Header=BB4_4 Depth=1
	s_wait_alu 0xfffe
	s_or_b32 exec_lo, exec_lo, s22
	s_and_saveexec_b32 s22, s4
	s_wait_alu 0xfffe
	s_xor_b32 s22, exec_lo, s22
	s_cbranch_execnz .LBB4_172
.LBB4_18:                               ;   in Loop: Header=BB4_4 Depth=1
	s_wait_alu 0xfffe
	s_and_not1_saveexec_b32 s22, s22
	s_cbranch_execnz .LBB4_173
.LBB4_19:                               ;   in Loop: Header=BB4_4 Depth=1
	s_wait_alu 0xfffe
	s_or_b32 exec_lo, exec_lo, s22
	s_and_saveexec_b32 s22, s5
	s_wait_alu 0xfffe
	s_xor_b32 s22, exec_lo, s22
	s_cbranch_execnz .LBB4_174
.LBB4_20:                               ;   in Loop: Header=BB4_4 Depth=1
	s_wait_alu 0xfffe
	s_and_not1_saveexec_b32 s22, s22
	s_cbranch_execz .LBB4_22
.LBB4_21:                               ;   in Loop: Header=BB4_4 Depth=1
	v_add_co_u32 v4, vcc_lo, v0, s44
	s_wait_alu 0xfffd
	v_add_co_ci_u32_e64 v5, null, s45, v1, vcc_lo
	global_load_b64 v[4:5], v[4:5], off
	s_wait_loadcnt 0x0
	ds_store_b64 v170, v[4:5] offset:6336
.LBB4_22:                               ;   in Loop: Header=BB4_4 Depth=1
	s_wait_alu 0xfffe
	s_or_b32 exec_lo, exec_lo, s22
	v_add_co_u32 v0, vcc_lo, v0, v171
	s_wait_alu 0xfffd
	v_add_co_ci_u32_e64 v1, null, 0, v1, vcc_lo
	s_lshl_b64 s[56:57], s[46:47], 3
	s_mov_b32 s22, 0
	s_wait_alu 0xfffe
	v_add_co_u32 v0, vcc_lo, v0, s56
	s_wait_alu 0xfffd
	v_add_co_ci_u32_e64 v1, null, s57, v1, vcc_lo
	s_delay_alu instid0(VALU_DEP_2) | instskip(SKIP_1) | instid1(VALU_DEP_2)
	v_add_co_u32 v0, vcc_lo, v0, 8
	s_wait_alu 0xfffd
	v_add_co_ci_u32_e64 v1, null, 0, v1, vcc_lo
	s_delay_alu instid0(VALU_DEP_2) | instskip(NEXT) | instid1(VALU_DEP_2)
	v_cndmask_b32_e64 v0, v0, v2, s1
	v_cndmask_b32_e64 v1, v1, v3, s1
.LBB4_23:                               ;   in Loop: Header=BB4_4 Depth=1
	s_and_b32 vcc_lo, exec_lo, s22
	s_wait_alu 0xfffe
	s_cbranch_vccz .LBB4_25
; %bb.24:                               ;   in Loop: Header=BB4_4 Depth=1
	v_add_co_u32 v0, vcc_lo, v2, s36
	s_wait_alu 0xfffd
	v_add_co_ci_u32_e64 v1, null, s37, v3, vcc_lo
	s_delay_alu instid0(VALU_DEP_2) | instskip(SKIP_1) | instid1(VALU_DEP_2)
	v_add_co_u32 v4, vcc_lo, v0, s36
	s_wait_alu 0xfffd
	v_add_co_ci_u32_e64 v5, null, s37, v1, vcc_lo
	s_delay_alu instid0(VALU_DEP_2) | instskip(SKIP_1) | instid1(VALU_DEP_2)
	v_add_co_u32 v6, vcc_lo, v4, s36
	s_wait_alu 0xfffd
	v_add_co_ci_u32_e64 v7, null, s37, v5, vcc_lo
	s_clause 0x3
	global_load_b64 v[8:9], v[2:3], off
	global_load_b64 v[10:11], v[0:1], off
	;; [unrolled: 1-line block ×4, first 2 shown]
	v_dual_mov_b32 v0, v2 :: v_dual_mov_b32 v1, v3
	s_wait_loadcnt 0x3
	ds_store_b64 v170, v[8:9]
	s_wait_loadcnt 0x2
	ds_store_b64 v170, v[10:11] offset:2112
	s_wait_loadcnt 0x1
	ds_store_b64 v170, v[4:5] offset:4224
	;; [unrolled: 2-line block ×3, first 2 shown]
.LBB4_25:                               ;   in Loop: Header=BB4_4 Depth=1
	s_mov_b32 s22, 0
	s_wait_dscnt 0x0
	s_barrier_signal -1
	s_barrier_wait -1
	global_inv scope:SCOPE_SE
	s_and_saveexec_b32 s56, s6
	s_wait_alu 0xfffe
	s_xor_b32 s56, exec_lo, s56
; %bb.26:                               ;   in Loop: Header=BB4_4 Depth=1
	s_and_b32 s22, s7, exec_lo
; %bb.27:                               ;   in Loop: Header=BB4_4 Depth=1
	s_wait_alu 0xfffe
	s_or_saveexec_b32 s56, s56
	v_dual_mov_b32 v2, 0 :: v_dual_mov_b32 v3, v103
	s_wait_alu 0xfffe
	s_xor_b32 exec_lo, exec_lo, s56
	s_cbranch_execz .LBB4_29
; %bb.28:                               ;   in Loop: Header=BB4_4 Depth=1
	ds_load_b64 v[4:5], v172
	v_mov_b32_e32 v3, v104
	s_or_b32 s22, s22, exec_lo
	s_wait_dscnt 0x0
	v_xor_b32_e32 v2, 0x80000000, v5
	ds_store_b32 v104, v4
.LBB4_29:                               ;   in Loop: Header=BB4_4 Depth=1
	s_or_b32 exec_lo, exec_lo, s56
	s_wait_alu 0xfffe
	s_and_saveexec_b32 s56, s22
; %bb.30:                               ;   in Loop: Header=BB4_4 Depth=1
	ds_store_b32 v3, v2 offset:4
; %bb.31:                               ;   in Loop: Header=BB4_4 Depth=1
	s_wait_alu 0xfffe
	s_or_b32 exec_lo, exec_lo, s56
	s_mov_b32 s22, 0
                                        ; implicit-def: $vgpr2
	s_and_saveexec_b32 s56, s8
	s_wait_alu 0xfffe
	s_xor_b32 s56, exec_lo, s56
	s_cbranch_execnz .LBB4_165
; %bb.32:                               ;   in Loop: Header=BB4_4 Depth=1
	s_wait_alu 0xfffe
	s_or_saveexec_b32 s56, s56
	v_mov_b32_e32 v3, v105
	s_wait_alu 0xfffe
	s_xor_b32 exec_lo, exec_lo, s56
	s_cbranch_execnz .LBB4_166
.LBB4_33:                               ;   in Loop: Header=BB4_4 Depth=1
	s_or_b32 exec_lo, exec_lo, s56
	s_and_saveexec_b32 s56, s22
.LBB4_34:                               ;   in Loop: Header=BB4_4 Depth=1
	ds_store_b32 v3, v2 offset:4
.LBB4_35:                               ;   in Loop: Header=BB4_4 Depth=1
	s_wait_alu 0xfffe
	s_or_b32 exec_lo, exec_lo, s56
	s_mov_b32 s22, 0
	s_and_saveexec_b32 s56, s10
	s_wait_alu 0xfffe
	s_xor_b32 s56, exec_lo, s56
; %bb.36:                               ;   in Loop: Header=BB4_4 Depth=1
	s_and_b32 s22, s11, exec_lo
; %bb.37:                               ;   in Loop: Header=BB4_4 Depth=1
	s_wait_alu 0xfffe
	s_or_saveexec_b32 s56, s56
	v_dual_mov_b32 v2, 0 :: v_dual_mov_b32 v3, v103
	s_wait_alu 0xfffe
	s_xor_b32 exec_lo, exec_lo, s56
	s_cbranch_execz .LBB4_39
; %bb.38:                               ;   in Loop: Header=BB4_4 Depth=1
	ds_load_b64 v[4:5], v173 offset:264
	v_mov_b32_e32 v3, v106
	s_or_b32 s22, s22, exec_lo
	s_wait_dscnt 0x0
	v_xor_b32_e32 v2, 0x80000000, v5
	ds_store_b32 v106, v4
.LBB4_39:                               ;   in Loop: Header=BB4_4 Depth=1
	s_or_b32 exec_lo, exec_lo, s56
	s_wait_alu 0xfffe
	s_and_saveexec_b32 s56, s22
; %bb.40:                               ;   in Loop: Header=BB4_4 Depth=1
	ds_store_b32 v3, v2 offset:4
; %bb.41:                               ;   in Loop: Header=BB4_4 Depth=1
	s_wait_alu 0xfffe
	s_or_b32 exec_lo, exec_lo, s56
	s_mov_b32 s22, 0
	s_and_saveexec_b32 s56, s12
	s_wait_alu 0xfffe
	s_xor_b32 s56, exec_lo, s56
; %bb.42:                               ;   in Loop: Header=BB4_4 Depth=1
	s_and_b32 s22, s13, exec_lo
; %bb.43:                               ;   in Loop: Header=BB4_4 Depth=1
	s_wait_alu 0xfffe
	s_or_saveexec_b32 s56, s56
	v_dual_mov_b32 v2, 0 :: v_dual_mov_b32 v3, v103
	s_wait_alu 0xfffe
	s_xor_b32 exec_lo, exec_lo, s56
	s_cbranch_execz .LBB4_45
; %bb.44:                               ;   in Loop: Header=BB4_4 Depth=1
	ds_load_b64 v[4:5], v173 offset:528
	v_mov_b32_e32 v3, v108
	s_or_b32 s22, s22, exec_lo
	s_wait_dscnt 0x0
	v_xor_b32_e32 v2, 0x80000000, v5
	ds_store_b32 v108, v4
.LBB4_45:                               ;   in Loop: Header=BB4_4 Depth=1
	s_or_b32 exec_lo, exec_lo, s56
	s_wait_alu 0xfffe
	s_and_saveexec_b32 s56, s22
; %bb.46:                               ;   in Loop: Header=BB4_4 Depth=1
	ds_store_b32 v3, v2 offset:4
; %bb.47:                               ;   in Loop: Header=BB4_4 Depth=1
	s_wait_alu 0xfffe
	s_or_b32 exec_lo, exec_lo, s56
	s_wait_loadcnt_dscnt 0x0
	s_barrier_signal -1
	s_barrier_wait -1
	global_inv scope:SCOPE_SE
	ds_load_b64 v[10:11], v172
	ds_load_b128 v[2:5], v109
	ds_load_2addr_b64 v[6:9], v173 offset1:33
	ds_load_b128 v[14:17], v109 offset:16
	ds_load_b64 v[18:19], v173 offset:528
	s_wait_loadcnt_dscnt 0x0
	s_barrier_signal -1
	s_barrier_wait -1
	global_inv scope:SCOPE_SE
	v_dual_mov_b32 v63, 0 :: v_dual_mul_f32 v20, v3, v11
	v_dual_mul_f32 v11, v2, v11 :: v_dual_mul_f32 v22, v15, v9
	v_mul_f32_e32 v9, v14, v9
	s_delay_alu instid0(VALU_DEP_3) | instskip(SKIP_1) | instid1(VALU_DEP_4)
	v_fma_f32 v2, v2, v10, -v20
	v_mul_f32_e32 v21, v5, v7
	v_fmac_f32_e32 v11, v3, v10
	s_delay_alu instid0(VALU_DEP_4) | instskip(SKIP_3) | instid1(VALU_DEP_1)
	v_fmac_f32_e32 v9, v15, v8
	v_fma_f32 v10, v14, v8, -v22
	v_dual_add_f32 v2, 0, v2 :: v_dual_mul_f32 v7, v4, v7
	v_fma_f32 v4, v4, v6, -v21
	v_dual_add_f32 v2, v2, v4 :: v_dual_fmac_f32 v7, v5, v6
	v_mul_f32_e32 v6, v16, v19
	v_add_f32_e32 v5, 0, v11
	s_delay_alu instid0(VALU_DEP_3) | instskip(NEXT) | instid1(VALU_DEP_3)
	v_dual_mul_f32 v3, v17, v19 :: v_dual_add_f32 v2, v2, v10
	v_fmac_f32_e32 v6, v17, v18
	s_delay_alu instid0(VALU_DEP_3) | instskip(NEXT) | instid1(VALU_DEP_3)
	v_add_f32_e32 v4, v5, v7
	v_fma_f32 v3, v16, v18, -v3
	s_delay_alu instid0(VALU_DEP_2) | instskip(SKIP_1) | instid1(VALU_DEP_2)
	v_add_f32_e32 v4, v4, v9
	v_mov_b32_e32 v62, 0
	v_dual_add_f32 v2, v2, v3 :: v_dual_add_f32 v3, v4, v6
	ds_store_b64 v110, v[2:3]
	s_wait_loadcnt_dscnt 0x0
	s_barrier_signal -1
	s_barrier_wait -1
	global_inv scope:SCOPE_SE
	s_and_saveexec_b32 s22, s14
	s_cbranch_execz .LBB4_49
; %bb.48:                               ;   in Loop: Header=BB4_4 Depth=1
	ds_load_2addr_b64 v[2:5], v107 offset1:7
	ds_load_2addr_b64 v[6:9], v107 offset0:1 offset1:2
	ds_load_2addr_b64 v[14:17], v107 offset0:3 offset1:4
	;; [unrolled: 1-line block ×3, first 2 shown]
	s_wait_dscnt 0x2
	v_dual_add_f32 v2, v6, v2 :: v_dual_add_f32 v3, v7, v3
	s_delay_alu instid0(VALU_DEP_1) | instskip(SKIP_1) | instid1(VALU_DEP_1)
	v_dual_add_f32 v2, v8, v2 :: v_dual_add_f32 v3, v9, v3
	s_wait_dscnt 0x1
	v_dual_add_f32 v2, v2, v14 :: v_dual_add_f32 v3, v3, v15
	s_delay_alu instid0(VALU_DEP_1) | instskip(SKIP_1) | instid1(VALU_DEP_1)
	v_dual_add_f32 v2, v2, v16 :: v_dual_add_f32 v3, v3, v17
	s_wait_dscnt 0x0
	v_dual_add_f32 v2, v2, v18 :: v_dual_add_f32 v3, v3, v19
	s_delay_alu instid0(VALU_DEP_1) | instskip(NEXT) | instid1(VALU_DEP_1)
	v_dual_add_f32 v2, v2, v20 :: v_dual_add_f32 v3, v3, v21
	v_dual_add_f32 v62, v2, v4 :: v_dual_add_f32 v63, v3, v5
.LBB4_49:                               ;   in Loop: Header=BB4_4 Depth=1
	s_wait_alu 0xfffe
	s_or_b32 exec_lo, exec_lo, s22
	v_add_co_u32 v4, vcc_lo, v0, s52
	s_wait_alu 0xfffd
	v_add_co_ci_u32_e64 v5, null, s53, v1, vcc_lo
	s_mov_b32 s22, -1
	v_add_co_u32 v2, vcc_lo, 0x100, v4
	s_wait_alu 0xfffd
	v_add_co_ci_u32_e64 v3, null, 0, v5, vcc_lo
	s_and_b32 vcc_lo, exec_lo, s61
	s_wait_loadcnt 0x0
	s_barrier_signal -1
	s_barrier_wait -1
	global_inv scope:SCOPE_SE
                                        ; implicit-def: $vgpr0_vgpr1
	s_wait_alu 0xfffe
	s_cbranch_vccz .LBB4_61
; %bb.50:                               ;   in Loop: Header=BB4_4 Depth=1
	s_and_saveexec_b32 s22, s16
	s_wait_alu 0xfffe
	s_xor_b32 s22, exec_lo, s22
; %bb.51:                               ;   in Loop: Header=BB4_4 Depth=1
	v_mov_b32_e32 v57, v56
	ds_store_b64 v170, v[56:57]
; %bb.52:                               ;   in Loop: Header=BB4_4 Depth=1
	s_wait_alu 0xfffe
	s_or_saveexec_b32 s22, s22
	v_add_co_u32 v0, vcc_lo, v4, v60
	s_wait_alu 0xfffd
	v_add_co_ci_u32_e64 v1, null, v5, v61, vcc_lo
	s_lshl_b64 s[56:57], s[28:29], 3
	s_wait_alu 0xfffe
	v_add_co_u32 v0, vcc_lo, v0, s56
	s_wait_alu 0xfffd
	v_add_co_ci_u32_e64 v1, null, s57, v1, vcc_lo
	s_delay_alu instid0(VALU_DEP_2) | instskip(SKIP_1) | instid1(VALU_DEP_2)
	v_add_co_u32 v0, vcc_lo, v0, -8
	s_wait_alu 0xfffd
	v_add_co_ci_u32_e64 v1, null, -1, v1, vcc_lo
	s_delay_alu instid0(VALU_DEP_2) | instskip(NEXT) | instid1(VALU_DEP_2)
	v_cndmask_b32_e64 v0, v0, v2, s15
	v_cndmask_b32_e64 v1, v1, v3, s15
	s_xor_b32 exec_lo, exec_lo, s22
	s_cbranch_execnz .LBB4_175
; %bb.53:                               ;   in Loop: Header=BB4_4 Depth=1
	s_or_b32 exec_lo, exec_lo, s22
	s_and_saveexec_b32 s22, s17
	s_wait_alu 0xfffe
	s_xor_b32 s22, exec_lo, s22
	s_cbranch_execnz .LBB4_176
.LBB4_54:                               ;   in Loop: Header=BB4_4 Depth=1
	s_wait_alu 0xfffe
	s_and_not1_saveexec_b32 s22, s22
	s_cbranch_execnz .LBB4_177
.LBB4_55:                               ;   in Loop: Header=BB4_4 Depth=1
	s_wait_alu 0xfffe
	s_or_b32 exec_lo, exec_lo, s22
	s_and_saveexec_b32 s22, s18
	s_wait_alu 0xfffe
	s_xor_b32 s22, exec_lo, s22
	s_cbranch_execnz .LBB4_178
.LBB4_56:                               ;   in Loop: Header=BB4_4 Depth=1
	s_wait_alu 0xfffe
	s_and_not1_saveexec_b32 s22, s22
	s_cbranch_execnz .LBB4_179
.LBB4_57:                               ;   in Loop: Header=BB4_4 Depth=1
	s_wait_alu 0xfffe
	s_or_b32 exec_lo, exec_lo, s22
	s_and_saveexec_b32 s22, s19
	s_wait_alu 0xfffe
	s_xor_b32 s22, exec_lo, s22
	s_cbranch_execnz .LBB4_180
.LBB4_58:                               ;   in Loop: Header=BB4_4 Depth=1
	s_wait_alu 0xfffe
	s_and_not1_saveexec_b32 s22, s22
	s_cbranch_execz .LBB4_60
.LBB4_59:                               ;   in Loop: Header=BB4_4 Depth=1
	v_add_co_u32 v6, vcc_lo, v0, s44
	s_wait_alu 0xfffd
	v_add_co_ci_u32_e64 v7, null, s45, v1, vcc_lo
	global_load_b64 v[6:7], v[6:7], off
	s_wait_loadcnt 0x0
	ds_store_b64 v170, v[6:7] offset:6336
.LBB4_60:                               ;   in Loop: Header=BB4_4 Depth=1
	s_wait_alu 0xfffe
	s_or_b32 exec_lo, exec_lo, s22
	v_add_co_u32 v0, vcc_lo, v0, v171
	s_wait_alu 0xfffd
	v_add_co_ci_u32_e64 v1, null, 0, v1, vcc_lo
	s_lshl_b64 s[56:57], s[46:47], 3
	s_mov_b32 s22, 0
	s_wait_alu 0xfffe
	v_add_co_u32 v0, vcc_lo, v0, s56
	s_wait_alu 0xfffd
	v_add_co_ci_u32_e64 v1, null, s57, v1, vcc_lo
	s_delay_alu instid0(VALU_DEP_2) | instskip(SKIP_1) | instid1(VALU_DEP_2)
	v_add_co_u32 v0, vcc_lo, 0x108, v0
	s_wait_alu 0xfffd
	v_add_co_ci_u32_e64 v1, null, 0, v1, vcc_lo
	s_delay_alu instid0(VALU_DEP_2) | instskip(NEXT) | instid1(VALU_DEP_2)
	v_cndmask_b32_e64 v0, v0, v2, s15
	v_cndmask_b32_e64 v1, v1, v3, s15
.LBB4_61:                               ;   in Loop: Header=BB4_4 Depth=1
	s_and_b32 vcc_lo, exec_lo, s22
	s_wait_alu 0xfffe
	s_cbranch_vccz .LBB4_63
; %bb.62:                               ;   in Loop: Header=BB4_4 Depth=1
	v_add_co_u32 v0, vcc_lo, v4, s36
	s_wait_alu 0xfffd
	v_add_co_ci_u32_e64 v1, null, s37, v5, vcc_lo
	s_delay_alu instid0(VALU_DEP_2) | instskip(SKIP_1) | instid1(VALU_DEP_2)
	v_add_co_u32 v6, vcc_lo, v0, s36
	s_wait_alu 0xfffd
	v_add_co_ci_u32_e64 v7, null, s37, v1, vcc_lo
	s_delay_alu instid0(VALU_DEP_2) | instskip(SKIP_1) | instid1(VALU_DEP_2)
	v_add_co_u32 v8, vcc_lo, v6, s36
	s_wait_alu 0xfffd
	v_add_co_ci_u32_e64 v9, null, s37, v7, vcc_lo
	s_clause 0x3
	global_load_b64 v[4:5], v[4:5], off offset:256
	global_load_b64 v[10:11], v[0:1], off offset:256
	;; [unrolled: 1-line block ×4, first 2 shown]
	v_dual_mov_b32 v0, v2 :: v_dual_mov_b32 v1, v3
	s_wait_loadcnt 0x3
	ds_store_b64 v170, v[4:5]
	s_wait_loadcnt 0x2
	ds_store_b64 v170, v[10:11] offset:2112
	s_wait_loadcnt 0x1
	ds_store_b64 v170, v[6:7] offset:4224
	;; [unrolled: 2-line block ×3, first 2 shown]
.LBB4_63:                               ;   in Loop: Header=BB4_4 Depth=1
	s_mov_b32 s22, 0
	s_wait_loadcnt_dscnt 0x0
	s_barrier_signal -1
	s_barrier_wait -1
	global_inv scope:SCOPE_SE
	s_and_saveexec_b32 s56, s6
	s_wait_alu 0xfffe
	s_xor_b32 s56, exec_lo, s56
; %bb.64:                               ;   in Loop: Header=BB4_4 Depth=1
	s_and_b32 s22, s7, exec_lo
; %bb.65:                               ;   in Loop: Header=BB4_4 Depth=1
	s_wait_alu 0xfffe
	s_or_saveexec_b32 s56, s56
	v_dual_mov_b32 v2, 0 :: v_dual_mov_b32 v3, v103
	s_wait_alu 0xfffe
	s_xor_b32 exec_lo, exec_lo, s56
	s_cbranch_execz .LBB4_67
; %bb.66:                               ;   in Loop: Header=BB4_4 Depth=1
	ds_load_b64 v[4:5], v172
	v_mov_b32_e32 v3, v104
	s_or_b32 s22, s22, exec_lo
	s_wait_dscnt 0x0
	v_xor_b32_e32 v2, 0x80000000, v5
	ds_store_b32 v104, v4
.LBB4_67:                               ;   in Loop: Header=BB4_4 Depth=1
	s_or_b32 exec_lo, exec_lo, s56
	s_wait_alu 0xfffe
	s_and_saveexec_b32 s56, s22
; %bb.68:                               ;   in Loop: Header=BB4_4 Depth=1
	ds_store_b32 v3, v2 offset:4
; %bb.69:                               ;   in Loop: Header=BB4_4 Depth=1
	s_wait_alu 0xfffe
	s_or_b32 exec_lo, exec_lo, s56
	s_mov_b32 s22, 0
                                        ; implicit-def: $vgpr2
	s_and_saveexec_b32 s56, s8
	s_wait_alu 0xfffe
	s_xor_b32 s56, exec_lo, s56
	s_cbranch_execnz .LBB4_167
; %bb.70:                               ;   in Loop: Header=BB4_4 Depth=1
	s_wait_alu 0xfffe
	s_or_saveexec_b32 s56, s56
	v_mov_b32_e32 v3, v105
	s_wait_alu 0xfffe
	s_xor_b32 exec_lo, exec_lo, s56
	s_cbranch_execnz .LBB4_168
.LBB4_71:                               ;   in Loop: Header=BB4_4 Depth=1
	s_or_b32 exec_lo, exec_lo, s56
	s_and_saveexec_b32 s56, s22
.LBB4_72:                               ;   in Loop: Header=BB4_4 Depth=1
	ds_store_b32 v3, v2 offset:4
.LBB4_73:                               ;   in Loop: Header=BB4_4 Depth=1
	s_wait_alu 0xfffe
	s_or_b32 exec_lo, exec_lo, s56
	s_mov_b32 s22, 0
	s_and_saveexec_b32 s56, s10
	s_wait_alu 0xfffe
	s_xor_b32 s56, exec_lo, s56
; %bb.74:                               ;   in Loop: Header=BB4_4 Depth=1
	s_and_b32 s22, s11, exec_lo
; %bb.75:                               ;   in Loop: Header=BB4_4 Depth=1
	s_wait_alu 0xfffe
	s_or_saveexec_b32 s56, s56
	v_dual_mov_b32 v2, 0 :: v_dual_mov_b32 v3, v103
	s_wait_alu 0xfffe
	s_xor_b32 exec_lo, exec_lo, s56
	s_cbranch_execz .LBB4_77
; %bb.76:                               ;   in Loop: Header=BB4_4 Depth=1
	ds_load_b64 v[4:5], v173 offset:264
	v_mov_b32_e32 v3, v106
	s_or_b32 s22, s22, exec_lo
	s_wait_dscnt 0x0
	v_xor_b32_e32 v2, 0x80000000, v5
	ds_store_b32 v106, v4
.LBB4_77:                               ;   in Loop: Header=BB4_4 Depth=1
	s_or_b32 exec_lo, exec_lo, s56
	s_wait_alu 0xfffe
	s_and_saveexec_b32 s56, s22
; %bb.78:                               ;   in Loop: Header=BB4_4 Depth=1
	ds_store_b32 v3, v2 offset:4
; %bb.79:                               ;   in Loop: Header=BB4_4 Depth=1
	s_wait_alu 0xfffe
	s_or_b32 exec_lo, exec_lo, s56
	s_mov_b32 s22, 0
	s_and_saveexec_b32 s56, s12
	s_wait_alu 0xfffe
	s_xor_b32 s56, exec_lo, s56
; %bb.80:                               ;   in Loop: Header=BB4_4 Depth=1
	s_and_b32 s22, s13, exec_lo
; %bb.81:                               ;   in Loop: Header=BB4_4 Depth=1
	s_wait_alu 0xfffe
	s_or_saveexec_b32 s56, s56
	v_dual_mov_b32 v2, 0 :: v_dual_mov_b32 v3, v103
	s_wait_alu 0xfffe
	s_xor_b32 exec_lo, exec_lo, s56
	s_cbranch_execz .LBB4_83
; %bb.82:                               ;   in Loop: Header=BB4_4 Depth=1
	ds_load_b64 v[4:5], v173 offset:528
	v_mov_b32_e32 v3, v108
	s_or_b32 s22, s22, exec_lo
	s_wait_dscnt 0x0
	v_xor_b32_e32 v2, 0x80000000, v5
	ds_store_b32 v108, v4
.LBB4_83:                               ;   in Loop: Header=BB4_4 Depth=1
	s_or_b32 exec_lo, exec_lo, s56
	s_wait_alu 0xfffe
	s_and_saveexec_b32 s56, s22
; %bb.84:                               ;   in Loop: Header=BB4_4 Depth=1
	ds_store_b32 v3, v2 offset:4
; %bb.85:                               ;   in Loop: Header=BB4_4 Depth=1
	s_wait_alu 0xfffe
	s_or_b32 exec_lo, exec_lo, s56
	s_wait_loadcnt_dscnt 0x0
	s_barrier_signal -1
	s_barrier_wait -1
	global_inv scope:SCOPE_SE
	ds_load_b64 v[10:11], v172
	ds_load_b128 v[2:5], v109 offset:256
	ds_load_2addr_b64 v[6:9], v173 offset1:33
	ds_load_b128 v[14:17], v109 offset:272
	ds_load_b64 v[18:19], v173 offset:528
	s_wait_loadcnt_dscnt 0x0
	s_barrier_signal -1
	s_barrier_wait -1
	global_inv scope:SCOPE_SE
	v_mul_f32_e32 v20, v3, v11
	v_dual_mul_f32 v11, v2, v11 :: v_dual_mul_f32 v22, v15, v9
	v_mul_f32_e32 v9, v14, v9
	s_delay_alu instid0(VALU_DEP_3) | instskip(SKIP_1) | instid1(VALU_DEP_4)
	v_fma_f32 v2, v2, v10, -v20
	v_mul_f32_e32 v21, v5, v7
	v_fmac_f32_e32 v11, v3, v10
	s_delay_alu instid0(VALU_DEP_4) | instskip(SKIP_3) | instid1(VALU_DEP_1)
	v_fmac_f32_e32 v9, v15, v8
	v_fma_f32 v10, v14, v8, -v22
	v_dual_add_f32 v2, 0, v2 :: v_dual_mul_f32 v7, v4, v7
	v_fma_f32 v4, v4, v6, -v21
	v_dual_add_f32 v2, v2, v4 :: v_dual_fmac_f32 v7, v5, v6
	v_mul_f32_e32 v6, v16, v19
	v_add_f32_e32 v5, 0, v11
	s_delay_alu instid0(VALU_DEP_3) | instskip(NEXT) | instid1(VALU_DEP_3)
	v_dual_mul_f32 v3, v17, v19 :: v_dual_add_f32 v2, v2, v10
	v_fmac_f32_e32 v6, v17, v18
	s_delay_alu instid0(VALU_DEP_3) | instskip(NEXT) | instid1(VALU_DEP_3)
	v_add_f32_e32 v4, v5, v7
	v_fma_f32 v3, v16, v18, -v3
	s_delay_alu instid0(VALU_DEP_2) | instskip(NEXT) | instid1(VALU_DEP_1)
	v_add_f32_e32 v4, v4, v9
	v_dual_add_f32 v2, v2, v3 :: v_dual_add_f32 v3, v4, v6
	ds_store_b64 v110, v[2:3]
	s_wait_loadcnt_dscnt 0x0
	s_barrier_signal -1
	s_barrier_wait -1
	global_inv scope:SCOPE_SE
	s_and_saveexec_b32 s22, s20
	s_cbranch_execz .LBB4_87
; %bb.86:                               ;   in Loop: Header=BB4_4 Depth=1
	ds_load_2addr_b64 v[2:5], v107 offset1:7
	ds_load_2addr_b64 v[6:9], v107 offset0:1 offset1:2
	ds_load_2addr_b64 v[14:17], v107 offset0:3 offset1:4
	;; [unrolled: 1-line block ×3, first 2 shown]
	s_wait_dscnt 0x2
	v_dual_add_f32 v2, v6, v2 :: v_dual_add_f32 v3, v7, v3
	s_delay_alu instid0(VALU_DEP_1) | instskip(SKIP_1) | instid1(VALU_DEP_1)
	v_dual_add_f32 v2, v8, v2 :: v_dual_add_f32 v3, v9, v3
	s_wait_dscnt 0x1
	v_dual_add_f32 v2, v2, v14 :: v_dual_add_f32 v3, v3, v15
	s_delay_alu instid0(VALU_DEP_1) | instskip(SKIP_1) | instid1(VALU_DEP_1)
	v_dual_add_f32 v2, v2, v16 :: v_dual_add_f32 v3, v3, v17
	s_wait_dscnt 0x0
	v_dual_add_f32 v2, v2, v18 :: v_dual_add_f32 v3, v3, v19
	s_delay_alu instid0(VALU_DEP_1) | instskip(NEXT) | instid1(VALU_DEP_1)
	v_dual_add_f32 v2, v2, v20 :: v_dual_add_f32 v3, v3, v21
	v_dual_add_f32 v62, v2, v4 :: v_dual_add_f32 v63, v3, v5
.LBB4_87:                               ;   in Loop: Header=BB4_4 Depth=1
	s_wait_alu 0xfffe
	s_or_b32 exec_lo, exec_lo, s22
	v_add_co_u32 v2, vcc_lo, 0xffffff00, v0
	s_wait_alu 0xfffd
	v_add_co_ci_u32_e64 v3, null, -1, v1, vcc_lo
	s_and_b32 vcc_lo, exec_lo, s61
	s_mov_b32 s22, -1
	s_wait_loadcnt 0x0
	s_barrier_signal -1
	s_barrier_wait -1
	global_inv scope:SCOPE_SE
                                        ; implicit-def: $vgpr14_vgpr15
	s_wait_alu 0xfffe
	s_cbranch_vccz .LBB4_99
; %bb.88:                               ;   in Loop: Header=BB4_4 Depth=1
	s_and_saveexec_b32 s22, s16
	s_wait_alu 0xfffe
	s_xor_b32 s22, exec_lo, s22
; %bb.89:                               ;   in Loop: Header=BB4_4 Depth=1
	v_mov_b32_e32 v57, v56
	ds_store_b64 v170, v[56:57]
; %bb.90:                               ;   in Loop: Header=BB4_4 Depth=1
	s_wait_alu 0xfffe
	s_or_saveexec_b32 s22, s22
	v_add_co_u32 v4, vcc_lo, v0, v60
	s_wait_alu 0xfffd
	v_add_co_ci_u32_e64 v5, null, v1, v61, vcc_lo
	s_lshl_b64 s[56:57], s[28:29], 3
	s_wait_alu 0xfffe
	v_add_co_u32 v4, vcc_lo, v4, s56
	s_wait_alu 0xfffd
	v_add_co_ci_u32_e64 v5, null, s57, v5, vcc_lo
	s_delay_alu instid0(VALU_DEP_2) | instskip(SKIP_1) | instid1(VALU_DEP_2)
	v_add_co_u32 v4, vcc_lo, 0xfffffef8, v4
	s_wait_alu 0xfffd
	v_add_co_ci_u32_e64 v5, null, -1, v5, vcc_lo
	s_delay_alu instid0(VALU_DEP_2) | instskip(NEXT) | instid1(VALU_DEP_2)
	v_cndmask_b32_e64 v4, v4, v2, s1
	v_cndmask_b32_e64 v5, v5, v3, s1
	s_xor_b32 exec_lo, exec_lo, s22
	s_cbranch_execnz .LBB4_181
; %bb.91:                               ;   in Loop: Header=BB4_4 Depth=1
	s_or_b32 exec_lo, exec_lo, s22
	s_and_saveexec_b32 s22, s17
	s_wait_alu 0xfffe
	s_xor_b32 s22, exec_lo, s22
	s_cbranch_execnz .LBB4_182
.LBB4_92:                               ;   in Loop: Header=BB4_4 Depth=1
	s_wait_alu 0xfffe
	s_and_not1_saveexec_b32 s22, s22
	s_cbranch_execnz .LBB4_183
.LBB4_93:                               ;   in Loop: Header=BB4_4 Depth=1
	s_wait_alu 0xfffe
	s_or_b32 exec_lo, exec_lo, s22
	s_and_saveexec_b32 s22, s18
	s_wait_alu 0xfffe
	s_xor_b32 s22, exec_lo, s22
	s_cbranch_execnz .LBB4_184
.LBB4_94:                               ;   in Loop: Header=BB4_4 Depth=1
	s_wait_alu 0xfffe
	s_and_not1_saveexec_b32 s22, s22
	s_cbranch_execnz .LBB4_185
.LBB4_95:                               ;   in Loop: Header=BB4_4 Depth=1
	s_wait_alu 0xfffe
	s_or_b32 exec_lo, exec_lo, s22
	s_and_saveexec_b32 s22, s19
	s_wait_alu 0xfffe
	s_xor_b32 s22, exec_lo, s22
	s_cbranch_execnz .LBB4_186
.LBB4_96:                               ;   in Loop: Header=BB4_4 Depth=1
	s_wait_alu 0xfffe
	s_and_not1_saveexec_b32 s22, s22
	s_cbranch_execz .LBB4_98
.LBB4_97:                               ;   in Loop: Header=BB4_4 Depth=1
	v_add_co_u32 v6, vcc_lo, v4, s44
	s_wait_alu 0xfffd
	v_add_co_ci_u32_e64 v7, null, s45, v5, vcc_lo
	global_load_b64 v[6:7], v[6:7], off
	s_wait_loadcnt 0x0
	ds_store_b64 v170, v[6:7] offset:6336
.LBB4_98:                               ;   in Loop: Header=BB4_4 Depth=1
	s_wait_alu 0xfffe
	s_or_b32 exec_lo, exec_lo, s22
	v_add_co_u32 v4, vcc_lo, v4, v171
	s_wait_alu 0xfffd
	v_add_co_ci_u32_e64 v5, null, 0, v5, vcc_lo
	s_lshl_b64 s[56:57], s[46:47], 3
	s_mov_b32 s22, 0
	s_wait_alu 0xfffe
	v_add_co_u32 v4, vcc_lo, v4, s56
	s_wait_alu 0xfffd
	v_add_co_ci_u32_e64 v5, null, s57, v5, vcc_lo
	s_delay_alu instid0(VALU_DEP_2) | instskip(SKIP_1) | instid1(VALU_DEP_2)
	v_add_co_u32 v4, vcc_lo, v4, 8
	s_wait_alu 0xfffd
	v_add_co_ci_u32_e64 v5, null, 0, v5, vcc_lo
	s_delay_alu instid0(VALU_DEP_2) | instskip(NEXT) | instid1(VALU_DEP_2)
	v_cndmask_b32_e64 v14, v4, v2, s1
	v_cndmask_b32_e64 v15, v5, v3, s1
.LBB4_99:                               ;   in Loop: Header=BB4_4 Depth=1
	s_and_b32 vcc_lo, exec_lo, s22
	s_wait_alu 0xfffe
	s_cbranch_vccz .LBB4_101
; %bb.100:                              ;   in Loop: Header=BB4_4 Depth=1
	v_add_co_u32 v4, vcc_lo, v0, s36
	s_wait_alu 0xfffd
	v_add_co_ci_u32_e64 v5, null, s37, v1, vcc_lo
	v_dual_mov_b32 v15, v3 :: v_dual_mov_b32 v14, v2
	s_delay_alu instid0(VALU_DEP_3) | instskip(SKIP_1) | instid1(VALU_DEP_3)
	v_add_co_u32 v6, vcc_lo, v4, s36
	s_wait_alu 0xfffd
	v_add_co_ci_u32_e64 v7, null, s37, v5, vcc_lo
	s_delay_alu instid0(VALU_DEP_2) | instskip(SKIP_1) | instid1(VALU_DEP_2)
	v_add_co_u32 v8, vcc_lo, v6, s36
	s_wait_alu 0xfffd
	v_add_co_ci_u32_e64 v9, null, s37, v7, vcc_lo
	s_clause 0x3
	global_load_b64 v[0:1], v[0:1], off offset:-256
	global_load_b64 v[4:5], v[4:5], off offset:-256
	;; [unrolled: 1-line block ×4, first 2 shown]
	s_wait_loadcnt 0x3
	ds_store_b64 v170, v[0:1]
	s_wait_loadcnt 0x2
	ds_store_b64 v170, v[4:5] offset:2112
	s_wait_loadcnt 0x1
	ds_store_b64 v170, v[6:7] offset:4224
	;; [unrolled: 2-line block ×3, first 2 shown]
.LBB4_101:                              ;   in Loop: Header=BB4_4 Depth=1
	v_add_nc_u32_e32 v0, v104, v111
	v_add_nc_u32_e32 v1, v109, v111
	s_wait_loadcnt_dscnt 0x0
	s_barrier_signal -1
	s_barrier_wait -1
	global_inv scope:SCOPE_SE
	ds_load_2addr_b64 v[20:23], v110 offset0:8 offset1:16
	ds_load_2addr_b64 v[24:27], v135 offset0:8 offset1:16
	ds_load_b64 v[28:29], v0
	ds_load_b64 v[30:31], v1
	ds_load_b64 v[32:33], v110 offset:192
	ds_load_b64 v[34:35], v135 offset:192
	ds_load_b128 v[8:11], v109 offset:256
	ds_load_b128 v[0:3], v109 offset:272
	ds_load_2addr_b64 v[4:7], v173 offset1:33
	ds_load_b64 v[18:19], v172
	ds_load_b64 v[16:17], v173 offset:528
	s_wait_loadcnt_dscnt 0x0
	s_barrier_signal -1
	s_barrier_wait -1
	global_inv scope:SCOPE_SE
	v_mul_f32_e32 v36, v21, v25
	v_dual_mul_f32 v21, v21, v24 :: v_dual_mul_f32 v38, v23, v27
	v_mul_f32_e32 v37, v29, v31
	v_mul_f32_e32 v29, v29, v30
	s_delay_alu instid0(VALU_DEP_4) | instskip(NEXT) | instid1(VALU_DEP_4)
	v_dual_mul_f32 v23, v23, v26 :: v_dual_fmac_f32 v36, v20, v24
	v_fmac_f32_e32 v38, v22, v26
	s_delay_alu instid0(VALU_DEP_4) | instskip(NEXT) | instid1(VALU_DEP_4)
	v_fmac_f32_e32 v37, v28, v30
	v_fma_f32 v28, v28, v31, -v29
	v_fma_f32 v20, v20, v25, -v21
	v_mul_f32_e32 v26, v33, v34
	v_fma_f32 v22, v22, v27, -v23
	s_delay_alu instid0(VALU_DEP_4) | instskip(SKIP_1) | instid1(VALU_DEP_4)
	v_dual_add_f32 v24, 0, v28 :: v_dual_add_f32 v21, 0, v37
	v_mul_f32_e32 v25, v33, v35
	v_fma_f32 v23, v32, v35, -v26
	s_delay_alu instid0(VALU_DEP_3) | instskip(NEXT) | instid1(VALU_DEP_4)
	v_add_f32_e32 v20, v24, v20
	v_add_f32_e32 v21, v21, v36
	s_delay_alu instid0(VALU_DEP_4) | instskip(NEXT) | instid1(VALU_DEP_3)
	v_fmac_f32_e32 v25, v32, v34
	v_add_f32_e32 v22, v20, v22
	s_delay_alu instid0(VALU_DEP_3) | instskip(NEXT) | instid1(VALU_DEP_1)
	v_add_f32_e32 v21, v21, v38
	v_dual_add_f32 v20, v21, v25 :: v_dual_add_f32 v21, v22, v23
	ds_store_b64 v110, v[20:21]
	s_wait_loadcnt_dscnt 0x0
	s_barrier_signal -1
	s_barrier_wait -1
	global_inv scope:SCOPE_SE
	s_and_saveexec_b32 s22, s20
	s_cbranch_execz .LBB4_103
; %bb.102:                              ;   in Loop: Header=BB4_4 Depth=1
	ds_load_2addr_b64 v[20:23], v107 offset1:1
	ds_load_2addr_b64 v[24:27], v107 offset0:2 offset1:3
	ds_load_2addr_b64 v[28:31], v107 offset0:4 offset1:5
	s_wait_dscnt 0x2
	v_dual_add_f32 v20, v62, v20 :: v_dual_add_f32 v21, v63, v21
	s_delay_alu instid0(VALU_DEP_1) | instskip(SKIP_3) | instid1(VALU_DEP_1)
	v_dual_add_f32 v32, v20, v22 :: v_dual_add_f32 v33, v21, v23
	ds_load_2addr_b64 v[20:23], v107 offset0:6 offset1:7
	s_wait_dscnt 0x2
	v_dual_add_f32 v24, v32, v24 :: v_dual_add_f32 v25, v33, v25
	v_dual_add_f32 v24, v24, v26 :: v_dual_add_f32 v25, v25, v27
	s_wait_dscnt 0x1
	s_delay_alu instid0(VALU_DEP_1) | instskip(NEXT) | instid1(VALU_DEP_1)
	v_dual_add_f32 v24, v24, v28 :: v_dual_add_f32 v25, v25, v29
	v_dual_add_f32 v24, v24, v30 :: v_dual_add_f32 v25, v25, v31
	s_wait_dscnt 0x0
	s_delay_alu instid0(VALU_DEP_1) | instskip(NEXT) | instid1(VALU_DEP_1)
	v_dual_add_f32 v20, v24, v20 :: v_dual_add_f32 v21, v25, v21
	v_dual_add_f32 v62, v20, v22 :: v_dual_add_f32 v63, v21, v23
.LBB4_103:                              ;   in Loop: Header=BB4_4 Depth=1
	s_wait_alu 0xfffe
	s_or_b32 exec_lo, exec_lo, s22
	v_dual_mul_f32 v20, v9, v19 :: v_dual_mul_f32 v21, v11, v5
	v_mul_f32_e32 v19, v8, v19
	v_dual_mul_f32 v5, v10, v5 :: v_dual_mul_f32 v22, v1, v7
	s_delay_alu instid0(VALU_DEP_3) | instskip(NEXT) | instid1(VALU_DEP_4)
	v_fma_f32 v8, v8, v18, -v20
	v_fma_f32 v10, v10, v4, -v21
	v_mul_f32_e32 v7, v0, v7
	s_wait_loadcnt 0x0
	v_fma_f32 v0, v0, v6, -v22
	v_add_f32_e32 v8, 0, v8
	v_fmac_f32_e32 v5, v11, v4
	v_fmac_f32_e32 v7, v1, v6
	s_barrier_signal -1
	s_barrier_wait -1
	v_add_f32_e32 v8, v8, v10
	v_fmac_f32_e32 v19, v9, v18
	global_inv scope:SCOPE_SE
	v_dual_add_f32 v0, v8, v0 :: v_dual_mul_f32 v9, v3, v17
	v_dual_add_f32 v4, 0, v19 :: v_dual_mul_f32 v11, v2, v17
	s_delay_alu instid0(VALU_DEP_2) | instskip(NEXT) | instid1(VALU_DEP_2)
	v_fma_f32 v2, v2, v16, -v9
	v_add_f32_e32 v1, v4, v5
	s_delay_alu instid0(VALU_DEP_2) | instskip(NEXT) | instid1(VALU_DEP_2)
	v_dual_add_f32 v0, v0, v2 :: v_dual_fmac_f32 v11, v3, v16
	v_add_f32_e32 v1, v1, v7
	s_delay_alu instid0(VALU_DEP_1)
	v_add_f32_e32 v1, v1, v11
	ds_store_b64 v110, v[0:1]
	s_wait_loadcnt_dscnt 0x0
	s_barrier_signal -1
	s_barrier_wait -1
	global_inv scope:SCOPE_SE
	s_and_saveexec_b32 s22, s14
	s_cbranch_execz .LBB4_105
; %bb.104:                              ;   in Loop: Header=BB4_4 Depth=1
	ds_load_2addr_b64 v[0:3], v107 offset1:1
	ds_load_2addr_b64 v[4:7], v107 offset0:2 offset1:3
	ds_load_2addr_b64 v[8:11], v107 offset0:4 offset1:5
	s_wait_dscnt 0x2
	v_dual_add_f32 v0, v62, v0 :: v_dual_add_f32 v1, v63, v1
	s_delay_alu instid0(VALU_DEP_1) | instskip(SKIP_3) | instid1(VALU_DEP_1)
	v_dual_add_f32 v16, v0, v2 :: v_dual_add_f32 v17, v1, v3
	ds_load_2addr_b64 v[0:3], v107 offset0:6 offset1:7
	s_wait_dscnt 0x2
	v_dual_add_f32 v4, v16, v4 :: v_dual_add_f32 v5, v17, v5
	v_dual_add_f32 v4, v4, v6 :: v_dual_add_f32 v5, v5, v7
	s_wait_dscnt 0x1
	s_delay_alu instid0(VALU_DEP_1) | instskip(NEXT) | instid1(VALU_DEP_1)
	v_dual_add_f32 v4, v4, v8 :: v_dual_add_f32 v5, v5, v9
	v_dual_add_f32 v4, v4, v10 :: v_dual_add_f32 v5, v5, v11
	s_wait_dscnt 0x0
	s_delay_alu instid0(VALU_DEP_1) | instskip(NEXT) | instid1(VALU_DEP_1)
	v_dual_add_f32 v0, v4, v0 :: v_dual_add_f32 v1, v5, v1
	v_dual_add_f32 v62, v0, v2 :: v_dual_add_f32 v63, v1, v3
.LBB4_105:                              ;   in Loop: Header=BB4_4 Depth=1
	s_wait_alu 0xfffe
	s_or_b32 exec_lo, exec_lo, s22
	s_mul_u64 s[56:57], s[30:31], s[24:25]
	s_and_not1_b32 vcc_lo, exec_lo, s23
	s_wait_alu 0xfffe
	s_lshl_b64 s[56:57], s[56:57], 3
	s_wait_loadcnt 0x0
	s_wait_alu 0xfffe
	s_add_nc_u64 s[56:57], s[34:35], s[56:57]
	s_barrier_signal -1
	s_barrier_wait -1
	global_inv scope:SCOPE_SE
	s_cbranch_vccnz .LBB4_163
; %bb.106:                              ;   in Loop: Header=BB4_4 Depth=1
	v_add_co_u32 v174, vcc_lo, v12, s54
	s_wait_alu 0xfffd
	v_add_co_ci_u32_e64 v175, null, s55, v13, vcc_lo
	v_add_co_u32 v176, vcc_lo, v14, v137
	s_wait_alu 0xfffd
	v_add_co_ci_u32_e64 v177, null, v15, v136, vcc_lo
	;; [unrolled: 3-line block ×17, first 2 shown]
	s_mov_b32 s66, ttmp9
	s_mov_b32 s58, s64
	s_wait_alu 0xfffe
	s_cmp_eq_u32 s27, s66
	s_cselect_b32 s67, s60, 0
	s_and_saveexec_b32 s22, s0
	s_cbranch_execz .LBB4_111
.LBB4_107:                              ;   in Loop: Header=BB4_4 Depth=1
	s_wait_alu 0xfffe
	v_cmp_le_i32_e32 vcc_lo, s67, v96
	s_cmp_lg_u32 s67, 0
	s_cselect_b32 s59, -1, 0
	s_wait_alu 0xfffe
	s_and_b32 s59, s59, vcc_lo
	s_wait_alu 0xfffe
	s_and_saveexec_b32 s68, s59
	s_wait_alu 0xfffe
	s_xor_b32 s59, exec_lo, s68
; %bb.108:                              ;   in Loop: Header=BB4_4 Depth=1
	v_mov_b32_e32 v57, v56
	ds_store_b64 v113, v[56:57]
; %bb.109:                              ;   in Loop: Header=BB4_4 Depth=1
	s_wait_alu 0xfffe
	s_and_not1_saveexec_b32 s59, s59
	s_cbranch_execz .LBB4_111
; %bb.110:                              ;   in Loop: Header=BB4_4 Depth=1
	s_ashr_i32 s59, s58, 31
	s_wait_alu 0xfffe
	s_mul_u64 s[68:69], s[48:49], s[58:59]
	s_wait_alu 0xfffe
	s_lshl_b64 s[68:69], s[68:69], 3
	s_wait_alu 0xfffe
	v_add_co_u32 v0, vcc_lo, v174, s68
	s_wait_alu 0xfffd
	v_add_co_ci_u32_e64 v1, null, s69, v175, vcc_lo
	global_load_b64 v[0:1], v[0:1], off
	s_wait_loadcnt 0x0
	ds_store_b64 v113, v[0:1]
.LBB4_111:                              ;   Parent Loop BB4_4 Depth=1
                                        ; =>  This Inner Loop Header: Depth=2
	s_wait_alu 0xfffe
	s_or_b32 exec_lo, exec_lo, s22
	s_cmp_eq_u32 s67, 0
	v_add_co_u32 v0, vcc_lo, v176, v97
	s_cselect_b32 s59, -1, 0
	s_cmp_lg_u32 s67, 0
	s_wait_alu 0xfffd
	v_add_co_ci_u32_e64 v1, null, 0, v177, vcc_lo
	s_cselect_b32 s22, -1, 0
	s_wait_loadcnt_dscnt 0x0
	s_wait_alu 0xfffe
	s_and_b32 vcc_lo, exec_lo, s22
	s_barrier_signal -1
	s_barrier_wait -1
	global_inv scope:SCOPE_SE
	s_wait_alu 0xfffe
	s_cbranch_vccz .LBB4_119
; %bb.112:                              ;   in Loop: Header=BB4_111 Depth=2
	v_dual_mov_b32 v66, 0 :: v_dual_mov_b32 v65, 0
	v_mov_b32_e32 v64, 0
	s_mov_b32 s68, exec_lo
	v_cmpx_gt_i32_e64 s67, v112
	s_cbranch_execz .LBB4_114
; %bb.113:                              ;   in Loop: Header=BB4_111 Depth=2
	global_load_b64 v[64:65], v[0:1], off offset:-4
.LBB4_114:                              ;   in Loop: Header=BB4_111 Depth=2
	s_wait_alu 0xfffe
	s_or_b32 exec_lo, exec_lo, s68
	v_mov_b32_e32 v67, 0
	s_mov_b32 s68, exec_lo
	v_cmpx_gt_i32_e64 s67, v119
	s_cbranch_execz .LBB4_116
; %bb.115:                              ;   in Loop: Header=BB4_111 Depth=2
	v_add_co_u32 v2, vcc_lo, v184, v97
	s_wait_alu 0xfffd
	v_add_co_ci_u32_e64 v3, null, 0, v185, vcc_lo
	global_load_b64 v[66:67], v[2:3], off offset:-4
.LBB4_116:                              ;   in Loop: Header=BB4_111 Depth=2
	s_wait_alu 0xfffe
	s_or_b32 exec_lo, exec_lo, s68
	v_dual_mov_b32 v68, 0 :: v_dual_mov_b32 v69, 0
	s_mov_b32 s68, exec_lo
	v_cmpx_gt_i32_e64 s67, v120
	s_cbranch_execz .LBB4_118
; %bb.117:                              ;   in Loop: Header=BB4_111 Depth=2
	v_add_co_u32 v2, vcc_lo, v180, v97
	s_wait_alu 0xfffd
	v_add_co_ci_u32_e64 v3, null, 0, v181, vcc_lo
	global_load_b64 v[68:69], v[2:3], off
.LBB4_118:                              ;   in Loop: Header=BB4_111 Depth=2
	s_wait_alu 0xfffe
	s_or_b32 exec_lo, exec_lo, s68
	v_cmp_gt_i32_e64 s68, s67, v121
	s_branch .LBB4_121
.LBB4_119:                              ;   in Loop: Header=BB4_111 Depth=2
	s_mov_b32 s68, 0
                                        ; implicit-def: $vgpr65
                                        ; implicit-def: $vgpr67
                                        ; implicit-def: $vgpr69
	s_cbranch_execz .LBB4_121
; %bb.120:                              ;   in Loop: Header=BB4_111 Depth=2
	v_add_co_u32 v2, vcc_lo, v184, v97
	s_wait_alu 0xfffd
	v_add_co_ci_u32_e64 v3, null, 0, v185, vcc_lo
	v_add_co_u32 v4, vcc_lo, v180, v97
	s_wait_alu 0xfffd
	v_add_co_ci_u32_e64 v5, null, 0, v181, vcc_lo
	s_wait_loadcnt 0x0
	global_load_b64 v[64:65], v[0:1], off offset:-4
	global_load_b64 v[66:67], v[2:3], off offset:-4
	global_load_b64 v[68:69], v[4:5], off
	s_wait_alu 0xfffe
	s_or_b32 s68, s68, exec_lo
.LBB4_121:                              ;   in Loop: Header=BB4_111 Depth=2
	v_dual_mov_b32 v70, 0 :: v_dual_mov_b32 v71, 0
	s_wait_alu 0xfffe
	s_delay_alu instid0(VALU_DEP_2)
	s_and_saveexec_b32 s69, s68
	s_cbranch_execz .LBB4_123
; %bb.122:                              ;   in Loop: Header=BB4_111 Depth=2
	v_add_co_u32 v0, vcc_lo, v188, v97
	s_wait_alu 0xfffd
	v_add_co_ci_u32_e64 v1, null, 0, v189, vcc_lo
	global_load_b64 v[70:71], v[0:1], off offset:-4
.LBB4_123:                              ;   in Loop: Header=BB4_111 Depth=2
	s_wait_alu 0xfffe
	s_or_b32 exec_lo, exec_lo, s69
	ds_load_b64 v[4:5], v100
	ds_load_b128 v[0:3], v114
	v_cndmask_b32_e64 v40, 0, 1, s22
	s_wait_loadcnt_dscnt 0x1
	v_dual_mul_f32 v8, v65, v5 :: v_dual_mul_f32 v7, v67, v4
	v_mul_f32_e32 v6, v65, v4
	v_dual_mul_f32 v10, v67, v5 :: v_dual_mul_f32 v13, v69, v4
	v_dual_mul_f32 v12, v69, v5 :: v_dual_mul_f32 v15, v71, v4
	v_mul_f32_e32 v14, v71, v5
	v_fmac_f32_e32 v8, v64, v4
	v_fma_f32 v9, v64, v5, -v6
	v_fmac_f32_e32 v10, v66, v4
	v_fma_f32 v11, v66, v5, -v7
	;; [unrolled: 2-line block ×4, first 2 shown]
	ds_load_b128 v[4:7], v114 offset:16
	ds_store_2addr_b64 v115, v[8:9], v[10:11] offset1:67
	ds_store_2addr_b64 v115, v[12:13], v[14:15] offset0:134 offset1:201
	s_wait_dscnt 0x0
	s_barrier_signal -1
	s_barrier_wait -1
	global_inv scope:SCOPE_SE
	ds_load_2addr_b64 v[16:19], v116 offset1:1
	ds_load_2addr_b64 v[8:11], v116 offset0:2 offset1:3
	v_add_co_u32 v12, vcc_lo, v192, v97
	s_wait_alu 0xfffd
	v_add_co_ci_u32_e64 v13, null, 0, v193, vcc_lo
	s_and_not1_b32 vcc_lo, exec_lo, s22
	s_wait_loadcnt_dscnt 0x0
	s_barrier_signal -1
	s_barrier_wait -1
	global_inv scope:SCOPE_SE
	s_wait_alu 0xfffe
	s_cbranch_vccnz .LBB4_131
; %bb.124:                              ;   in Loop: Header=BB4_111 Depth=2
	v_dual_mov_b32 v72, 0 :: v_dual_mov_b32 v75, 0
	v_mov_b32_e32 v74, 0
	s_mov_b32 s22, exec_lo
	v_cmpx_gt_i32_e64 s67, v122
	s_cbranch_execz .LBB4_126
; %bb.125:                              ;   in Loop: Header=BB4_111 Depth=2
	global_load_b64 v[74:75], v[12:13], off offset:-4
.LBB4_126:                              ;   in Loop: Header=BB4_111 Depth=2
	s_wait_alu 0xfffe
	s_or_b32 exec_lo, exec_lo, s22
	v_mov_b32_e32 v73, 0
	s_mov_b32 s22, exec_lo
	v_cmpx_gt_i32_e64 s67, v123
	s_cbranch_execz .LBB4_128
; %bb.127:                              ;   in Loop: Header=BB4_111 Depth=2
	v_add_co_u32 v14, vcc_lo, v196, v97
	s_wait_alu 0xfffd
	v_add_co_ci_u32_e64 v15, null, 0, v197, vcc_lo
	global_load_b64 v[72:73], v[14:15], off offset:-4
.LBB4_128:                              ;   in Loop: Header=BB4_111 Depth=2
	s_wait_alu 0xfffe
	s_or_b32 exec_lo, exec_lo, s22
	v_dual_mov_b32 v76, 0 :: v_dual_mov_b32 v77, 0
	s_mov_b32 s22, exec_lo
	v_cmpx_gt_i32_e64 s67, v124
	s_cbranch_execz .LBB4_130
; %bb.129:                              ;   in Loop: Header=BB4_111 Depth=2
	v_add_co_u32 v14, vcc_lo, v200, v97
	s_wait_alu 0xfffd
	v_add_co_ci_u32_e64 v15, null, 0, v201, vcc_lo
	global_load_b64 v[76:77], v[14:15], off offset:-4
.LBB4_130:                              ;   in Loop: Header=BB4_111 Depth=2
	s_wait_alu 0xfffe
	s_or_b32 exec_lo, exec_lo, s22
	v_cmp_gt_i32_e64 s22, s67, v125
	s_branch .LBB4_133
.LBB4_131:                              ;   in Loop: Header=BB4_111 Depth=2
	s_mov_b32 s22, 0
                                        ; implicit-def: $vgpr75
                                        ; implicit-def: $vgpr73
                                        ; implicit-def: $vgpr77
	s_cbranch_execz .LBB4_133
; %bb.132:                              ;   in Loop: Header=BB4_111 Depth=2
	v_add_co_u32 v14, vcc_lo, v196, v97
	s_wait_alu 0xfffd
	v_add_co_ci_u32_e64 v15, null, 0, v197, vcc_lo
	v_add_co_u32 v20, vcc_lo, v200, v97
	s_wait_alu 0xfffd
	v_add_co_ci_u32_e64 v21, null, 0, v201, vcc_lo
	s_wait_loadcnt 0x0
	global_load_b64 v[74:75], v[12:13], off offset:-4
	global_load_b64 v[72:73], v[14:15], off offset:-4
	;; [unrolled: 1-line block ×3, first 2 shown]
	s_wait_alu 0xfffe
	s_or_b32 s22, s22, exec_lo
.LBB4_133:                              ;   in Loop: Header=BB4_111 Depth=2
	v_dual_mov_b32 v78, 0 :: v_dual_mov_b32 v79, 0
	s_wait_alu 0xfffe
	s_delay_alu instid0(VALU_DEP_2)
	s_and_saveexec_b32 s68, s22
	s_cbranch_execz .LBB4_135
; %bb.134:                              ;   in Loop: Header=BB4_111 Depth=2
	v_add_co_u32 v12, vcc_lo, v204, v97
	s_wait_alu 0xfffd
	v_add_co_ci_u32_e64 v13, null, 0, v205, vcc_lo
	global_load_b64 v[78:79], v[12:13], off offset:-4
.LBB4_135:                              ;   in Loop: Header=BB4_111 Depth=2
	s_wait_alu 0xfffe
	s_or_b32 exec_lo, exec_lo, s68
	ds_load_b64 v[20:21], v100
	ds_load_b128 v[12:15], v114 offset:128
	v_cmp_ne_u32_e32 vcc_lo, 1, v40
	s_and_b32 vcc_lo, exec_lo, vcc_lo
	s_wait_loadcnt_dscnt 0x1
	v_dual_mul_f32 v24, v75, v21 :: v_dual_mul_f32 v23, v73, v20
	v_mul_f32_e32 v22, v75, v20
	v_dual_mul_f32 v26, v73, v21 :: v_dual_mul_f32 v31, v79, v20
	v_mul_f32_e32 v28, v77, v21
	v_dual_mul_f32 v29, v77, v20 :: v_dual_mul_f32 v30, v79, v21
	v_fmac_f32_e32 v24, v74, v20
	v_fma_f32 v25, v74, v21, -v22
	v_fmac_f32_e32 v26, v72, v20
	v_fma_f32 v27, v72, v21, -v23
	;; [unrolled: 2-line block ×4, first 2 shown]
	ds_load_b128 v[20:23], v114 offset:144
	ds_store_2addr_b64 v115, v[24:25], v[26:27] offset1:67
	ds_store_2addr_b64 v115, v[28:29], v[30:31] offset0:134 offset1:201
	s_wait_dscnt 0x0
	s_barrier_signal -1
	s_barrier_wait -1
	global_inv scope:SCOPE_SE
	ds_load_2addr_b64 v[36:39], v116 offset1:1
	ds_load_2addr_b64 v[28:31], v116 offset0:2 offset1:3
	v_add_co_u32 v24, s22, v206, v97
	s_wait_alu 0xf1ff
	v_add_co_ci_u32_e64 v25, null, 0, v207, s22
	s_wait_loadcnt_dscnt 0x0
	s_barrier_signal -1
	s_barrier_wait -1
	global_inv scope:SCOPE_SE
	s_wait_alu 0xfffe
	s_cbranch_vccnz .LBB4_143
; %bb.136:                              ;   in Loop: Header=BB4_111 Depth=2
	v_dual_mov_b32 v80, 0 :: v_dual_mov_b32 v83, 0
	v_mov_b32_e32 v82, 0
	s_mov_b32 s22, exec_lo
	v_cmpx_gt_i32_e64 s67, v126
	s_cbranch_execz .LBB4_138
; %bb.137:                              ;   in Loop: Header=BB4_111 Depth=2
	global_load_b64 v[82:83], v[24:25], off offset:-4
.LBB4_138:                              ;   in Loop: Header=BB4_111 Depth=2
	s_wait_alu 0xfffe
	s_or_b32 exec_lo, exec_lo, s22
	v_mov_b32_e32 v81, 0
	s_mov_b32 s22, exec_lo
	v_cmpx_gt_i32_e64 s67, v127
	s_cbranch_execz .LBB4_140
; %bb.139:                              ;   in Loop: Header=BB4_111 Depth=2
	v_add_co_u32 v26, vcc_lo, v202, v97
	s_wait_alu 0xfffd
	v_add_co_ci_u32_e64 v27, null, 0, v203, vcc_lo
	global_load_b64 v[80:81], v[26:27], off
.LBB4_140:                              ;   in Loop: Header=BB4_111 Depth=2
	s_wait_alu 0xfffe
	s_or_b32 exec_lo, exec_lo, s22
	v_dual_mov_b32 v84, 0 :: v_dual_mov_b32 v85, 0
	s_mov_b32 s22, exec_lo
	v_cmpx_gt_i32_e64 s67, v128
	s_cbranch_execz .LBB4_142
; %bb.141:                              ;   in Loop: Header=BB4_111 Depth=2
	v_add_co_u32 v26, vcc_lo, v198, v97
	s_wait_alu 0xfffd
	v_add_co_ci_u32_e64 v27, null, 0, v199, vcc_lo
	global_load_b64 v[84:85], v[26:27], off
.LBB4_142:                              ;   in Loop: Header=BB4_111 Depth=2
	s_wait_alu 0xfffe
	s_or_b32 exec_lo, exec_lo, s22
	v_cmp_gt_i32_e64 s22, s67, v129
	s_branch .LBB4_145
.LBB4_143:                              ;   in Loop: Header=BB4_111 Depth=2
	s_mov_b32 s22, 0
                                        ; implicit-def: $vgpr83
                                        ; implicit-def: $vgpr81
                                        ; implicit-def: $vgpr85
	s_cbranch_execz .LBB4_145
; %bb.144:                              ;   in Loop: Header=BB4_111 Depth=2
	v_add_co_u32 v26, vcc_lo, v202, v97
	s_wait_alu 0xfffd
	v_add_co_ci_u32_e64 v27, null, 0, v203, vcc_lo
	v_add_co_u32 v32, vcc_lo, v198, v97
	s_wait_alu 0xfffd
	v_add_co_ci_u32_e64 v33, null, 0, v199, vcc_lo
	s_wait_loadcnt 0x0
	global_load_b64 v[82:83], v[24:25], off offset:-4
	global_load_b64 v[80:81], v[26:27], off
	global_load_b64 v[84:85], v[32:33], off
	s_wait_alu 0xfffe
	s_or_b32 s22, s22, exec_lo
.LBB4_145:                              ;   in Loop: Header=BB4_111 Depth=2
	v_dual_mov_b32 v86, 0 :: v_dual_mov_b32 v87, 0
	s_wait_alu 0xfffe
	s_delay_alu instid0(VALU_DEP_2)
	s_and_saveexec_b32 s68, s22
	s_cbranch_execz .LBB4_147
; %bb.146:                              ;   in Loop: Header=BB4_111 Depth=2
	v_add_co_u32 v24, vcc_lo, v194, v97
	s_wait_alu 0xfffd
	v_add_co_ci_u32_e64 v25, null, 0, v195, vcc_lo
	global_load_b64 v[86:87], v[24:25], off
.LBB4_147:                              ;   in Loop: Header=BB4_111 Depth=2
	s_wait_alu 0xfffe
	s_or_b32 exec_lo, exec_lo, s68
	ds_load_b64 v[24:25], v100
	v_cmp_ne_u32_e32 vcc_lo, 1, v40
	v_add_co_u32 v40, s22, v190, v97
	s_and_b32 vcc_lo, exec_lo, vcc_lo
	s_wait_loadcnt_dscnt 0x0
	v_dual_mul_f32 v41, v83, v25 :: v_dual_mul_f32 v32, v85, v24
	v_dual_mul_f32 v26, v83, v24 :: v_dual_mul_f32 v43, v81, v25
	v_mul_f32_e32 v27, v81, v24
	v_mul_f32_e32 v45, v85, v25
	;; [unrolled: 1-line block ×4, first 2 shown]
	v_fmac_f32_e32 v41, v82, v24
	v_fma_f32 v42, v82, v25, -v26
	v_fmac_f32_e32 v43, v80, v24
	v_fma_f32 v44, v80, v25, -v27
	;; [unrolled: 2-line block ×4, first 2 shown]
	ds_load_b128 v[32:35], v114 offset:256
	ds_load_b128 v[24:27], v114 offset:272
	ds_store_2addr_b64 v115, v[41:42], v[43:44] offset1:67
	ds_store_2addr_b64 v115, v[45:46], v[47:48] offset0:134 offset1:201
	s_wait_dscnt 0x0
	s_barrier_signal -1
	s_barrier_wait -1
	global_inv scope:SCOPE_SE
	ds_load_2addr_b64 v[52:55], v116 offset1:1
	ds_load_2addr_b64 v[48:51], v116 offset0:2 offset1:3
	s_wait_alu 0xf1ff
	v_add_co_ci_u32_e64 v41, null, 0, v191, s22
	s_wait_loadcnt_dscnt 0x0
	s_barrier_signal -1
	s_barrier_wait -1
	global_inv scope:SCOPE_SE
	s_wait_alu 0xfffe
	s_cbranch_vccnz .LBB4_155
; %bb.148:                              ;   in Loop: Header=BB4_111 Depth=2
	v_dual_mov_b32 v90, 0 :: v_dual_mov_b32 v89, 0
	v_mov_b32_e32 v88, 0
	s_mov_b32 s22, exec_lo
	v_cmpx_gt_i32_e64 s67, v130
	s_cbranch_execz .LBB4_150
; %bb.149:                              ;   in Loop: Header=BB4_111 Depth=2
	global_load_b64 v[88:89], v[40:41], off
.LBB4_150:                              ;   in Loop: Header=BB4_111 Depth=2
	s_wait_alu 0xfffe
	s_or_b32 exec_lo, exec_lo, s22
	v_mov_b32_e32 v91, 0
	s_mov_b32 s22, exec_lo
	v_cmpx_gt_i32_e64 s67, v131
	s_cbranch_execz .LBB4_152
; %bb.151:                              ;   in Loop: Header=BB4_111 Depth=2
	v_add_co_u32 v42, vcc_lo, v186, v97
	s_wait_alu 0xfffd
	v_add_co_ci_u32_e64 v43, null, 0, v187, vcc_lo
	global_load_b64 v[90:91], v[42:43], off
.LBB4_152:                              ;   in Loop: Header=BB4_111 Depth=2
	s_wait_alu 0xfffe
	s_or_b32 exec_lo, exec_lo, s22
	v_dual_mov_b32 v92, 0 :: v_dual_mov_b32 v93, 0
	s_mov_b32 s22, exec_lo
	v_cmpx_gt_i32_e64 s67, v132
	s_cbranch_execz .LBB4_154
; %bb.153:                              ;   in Loop: Header=BB4_111 Depth=2
	v_add_co_u32 v42, vcc_lo, v182, v97
	s_wait_alu 0xfffd
	v_add_co_ci_u32_e64 v43, null, 0, v183, vcc_lo
	global_load_b64 v[92:93], v[42:43], off
.LBB4_154:                              ;   in Loop: Header=BB4_111 Depth=2
	s_wait_alu 0xfffe
	s_or_b32 exec_lo, exec_lo, s22
	v_cmp_gt_i32_e64 s22, s67, v133
	s_branch .LBB4_157
.LBB4_155:                              ;   in Loop: Header=BB4_111 Depth=2
	s_mov_b32 s22, 0
                                        ; implicit-def: $vgpr89
                                        ; implicit-def: $vgpr91
                                        ; implicit-def: $vgpr93
	s_cbranch_execz .LBB4_157
; %bb.156:                              ;   in Loop: Header=BB4_111 Depth=2
	v_add_co_u32 v42, vcc_lo, v186, v97
	s_wait_alu 0xfffd
	v_add_co_ci_u32_e64 v43, null, 0, v187, vcc_lo
	v_add_co_u32 v44, vcc_lo, v182, v97
	s_wait_alu 0xfffd
	v_add_co_ci_u32_e64 v45, null, 0, v183, vcc_lo
	s_wait_loadcnt 0x0
	global_load_b64 v[88:89], v[40:41], off
	global_load_b64 v[90:91], v[42:43], off
	;; [unrolled: 1-line block ×3, first 2 shown]
	s_wait_alu 0xfffe
	s_or_b32 s22, s22, exec_lo
.LBB4_157:                              ;   in Loop: Header=BB4_111 Depth=2
	v_dual_mov_b32 v94, 0 :: v_dual_mov_b32 v95, 0
	s_wait_alu 0xfffe
	s_delay_alu instid0(VALU_DEP_2)
	s_and_saveexec_b32 s68, s22
	s_cbranch_execz .LBB4_159
; %bb.158:                              ;   in Loop: Header=BB4_111 Depth=2
	v_add_co_u32 v40, vcc_lo, v178, v97
	s_wait_alu 0xfffd
	v_add_co_ci_u32_e64 v41, null, 0, v179, vcc_lo
	global_load_b64 v[94:95], v[40:41], off
.LBB4_159:                              ;   in Loop: Header=BB4_111 Depth=2
	s_wait_alu 0xfffe
	s_or_b32 exec_lo, exec_lo, s68
	ds_load_b64 v[44:45], v100
	ds_load_b128 v[40:43], v114 offset:384
	v_add_f32_e32 v52, 0, v52
	v_cmp_gt_i32_e32 vcc_lo, s67, v96
	v_add_f32_e32 v53, 0, v53
	v_add_f32_e32 v37, 0, v37
	;; [unrolled: 1-line block ×3, first 2 shown]
	s_or_b32 s22, s59, vcc_lo
	s_wait_alu 0xfffe
	s_and_b32 s59, s21, s22
	v_add_f32_e32 v37, v37, v39
	v_dual_add_f32 v17, v17, v19 :: v_dual_add_f32 v36, 0, v36
	s_delay_alu instid0(VALU_DEP_2) | instskip(NEXT) | instid1(VALU_DEP_2)
	v_add_f32_e32 v29, v37, v29
	v_dual_add_f32 v39, v17, v9 :: v_dual_add_f32 v36, v36, v38
	s_wait_loadcnt_dscnt 0x1
	v_dual_mul_f32 v208, v89, v45 :: v_dual_mul_f32 v47, v91, v44
	v_mul_f32_e32 v46, v89, v44
	v_dual_mul_f32 v210, v91, v45 :: v_dual_mul_f32 v57, v93, v44
	v_dual_mul_f32 v212, v93, v45 :: v_dual_mul_f32 v215, v95, v44
	v_mul_f32_e32 v214, v95, v45
	v_fmac_f32_e32 v208, v88, v44
	v_fma_f32 v209, v88, v45, -v46
	v_fmac_f32_e32 v210, v90, v44
	v_fma_f32 v211, v90, v45, -v47
	;; [unrolled: 2-line block ×3, first 2 shown]
	v_fma_f32 v215, v94, v45, -v215
	v_dual_add_f32 v57, v52, v54 :: v_dual_fmac_f32 v214, v94, v44
	ds_load_b128 v[44:47], v114 offset:400
	ds_store_2addr_b64 v115, v[208:209], v[210:211] offset1:67
	ds_store_2addr_b64 v115, v[212:213], v[214:215] offset0:134 offset1:201
	s_wait_dscnt 0x0
	s_barrier_signal -1
	s_barrier_wait -1
	global_inv scope:SCOPE_SE
	ds_load_2addr_b64 v[208:211], v116 offset1:1
	v_add_f32_e32 v212, v53, v55
	ds_load_2addr_b64 v[52:55], v116 offset0:2 offset1:3
	v_add_f32_e32 v16, 0, v16
	v_dual_add_f32 v28, v36, v28 :: v_dual_add_f32 v17, v29, v31
	v_add_f32_e32 v19, v212, v49
	v_add_f32_e32 v11, v39, v11
	s_wait_loadcnt_dscnt 0x0
	s_barrier_signal -1
	s_barrier_wait -1
	v_add_f32_e32 v9, v19, v51
	global_inv scope:SCOPE_SE
	v_dual_add_f32 v36, 0, v208 :: v_dual_add_f32 v37, 0, v209
	v_add_f32_e32 v16, v16, v18
	v_add_f32_e32 v18, v57, v48
	s_delay_alu instid0(VALU_DEP_2) | instskip(NEXT) | instid1(VALU_DEP_2)
	v_add_f32_e32 v38, v16, v8
	v_add_f32_e32 v8, v18, v50
	v_add_f32_e32 v18, v36, v210
	v_add_f32_e32 v36, v37, v211
	v_add_f32_e32 v16, v28, v30
	v_add_f32_e32 v10, v38, v10
	s_delay_alu instid0(VALU_DEP_3) | instskip(NEXT) | instid1(VALU_DEP_1)
	v_dual_add_f32 v18, v18, v52 :: v_dual_add_f32 v19, v36, v53
	v_dual_add_f32 v18, v18, v54 :: v_dual_add_f32 v19, v19, v55
	ds_store_2addr_b64 v168, v[10:11], v[16:17] offset1:16
	ds_store_2addr_b64 v168, v[8:9], v[18:19] offset0:32 offset1:48
	s_wait_loadcnt_dscnt 0x0
	s_barrier_signal -1
	s_barrier_wait -1
	global_inv scope:SCOPE_SE
	s_wait_alu 0xfffe
	s_and_saveexec_b32 s22, s59
	s_cbranch_execz .LBB4_161
; %bb.160:                              ;   in Loop: Header=BB4_111 Depth=2
	ds_load_b64 v[36:37], v117
	ds_load_2addr_b64 v[8:11], v117 offset0:1 offset1:2
	ds_load_2addr_b64 v[16:19], v117 offset0:3 offset1:4
	;; [unrolled: 1-line block ×3, first 2 shown]
	s_wait_dscnt 0x2
	v_dual_add_f32 v8, v8, v36 :: v_dual_add_f32 v9, v9, v37
	s_delay_alu instid0(VALU_DEP_1) | instskip(SKIP_3) | instid1(VALU_DEP_1)
	v_dual_add_f32 v36, v10, v8 :: v_dual_add_f32 v37, v11, v9
	ds_load_2addr_b64 v[8:11], v117 offset0:7 offset1:8
	s_wait_dscnt 0x2
	v_dual_add_f32 v16, v36, v16 :: v_dual_add_f32 v17, v37, v17
	v_dual_add_f32 v36, v16, v18 :: v_dual_add_f32 v37, v17, v19
	ds_load_2addr_b64 v[16:19], v117 offset0:9 offset1:10
	s_wait_dscnt 0x2
	v_dual_add_f32 v28, v36, v28 :: v_dual_add_f32 v29, v37, v29
	s_delay_alu instid0(VALU_DEP_1) | instskip(SKIP_3) | instid1(VALU_DEP_1)
	v_dual_add_f32 v36, v28, v30 :: v_dual_add_f32 v37, v29, v31
	ds_load_2addr_b64 v[28:31], v117 offset0:11 offset1:12
	s_wait_dscnt 0x2
	v_dual_add_f32 v8, v36, v8 :: v_dual_add_f32 v9, v37, v9
	v_dual_add_f32 v36, v8, v10 :: v_dual_add_f32 v37, v9, v11
	ds_load_2addr_b64 v[8:11], v117 offset0:13 offset1:14
	s_wait_dscnt 0x2
	v_dual_add_f32 v16, v36, v16 :: v_dual_add_f32 v17, v37, v17
	s_delay_alu instid0(VALU_DEP_1) | instskip(SKIP_3) | instid1(VALU_DEP_1)
	v_dual_add_f32 v18, v16, v18 :: v_dual_add_f32 v19, v17, v19
	ds_load_b64 v[16:17], v118
	s_wait_dscnt 0x2
	v_dual_add_f32 v18, v18, v28 :: v_dual_add_f32 v19, v19, v29
	v_dual_add_f32 v28, v18, v30 :: v_dual_add_f32 v19, v19, v31
	s_wait_dscnt 0x1
	s_delay_alu instid0(VALU_DEP_1) | instskip(NEXT) | instid1(VALU_DEP_2)
	v_dual_add_f32 v9, v19, v9 :: v_dual_add_nc_u32 v18, s58, v96
	v_add_f32_e32 v8, v28, v8
	s_delay_alu instid0(VALU_DEP_2) | instskip(NEXT) | instid1(VALU_DEP_2)
	v_ashrrev_i32_e32 v19, 31, v18
	v_dual_add_f32 v11, v9, v11 :: v_dual_add_f32 v10, v8, v10
	s_delay_alu instid0(VALU_DEP_2) | instskip(SKIP_1) | instid1(VALU_DEP_2)
	v_lshlrev_b64_e32 v[8:9], 3, v[18:19]
	s_wait_dscnt 0x0
	v_dual_add_f32 v11, v11, v17 :: v_dual_add_f32 v10, v10, v16
	s_delay_alu instid0(VALU_DEP_2) | instskip(SKIP_1) | instid1(VALU_DEP_3)
	v_add_co_u32 v8, vcc_lo, s56, v8
	s_wait_alu 0xfffd
	v_add_co_ci_u32_e64 v9, null, s57, v9, vcc_lo
	global_store_b64 v[8:9], v[10:11], off
.LBB4_161:                              ;   in Loop: Header=BB4_111 Depth=2
	s_wait_alu 0xfffe
	s_or_b32 exec_lo, exec_lo, s22
	v_dual_mul_f32 v8, v65, v1 :: v_dual_mul_f32 v9, v67, v3
	v_dual_mul_f32 v3, v66, v3 :: v_dual_mul_f32 v10, v69, v5
	v_add_co_u32 v176, vcc_lo, v176, s40
	s_delay_alu instid0(VALU_DEP_3)
	v_fma_f32 v8, v64, v0, -v8
	v_mul_f32_e32 v1, v64, v1
	v_fma_f32 v9, v66, v2, -v9
	v_fmac_f32_e32 v3, v67, v2
	v_mul_f32_e32 v16, v75, v13
	v_dual_add_f32 v8, v62, v8 :: v_dual_mul_f32 v11, v71, v7
	v_fmac_f32_e32 v1, v65, v0
	v_fma_f32 v0, v68, v4, -v10
	s_delay_alu instid0(VALU_DEP_3)
	v_dual_mul_f32 v7, v70, v7 :: v_dual_add_f32 v8, v8, v9
	v_mul_f32_e32 v13, v74, v13
	v_fma_f32 v2, v70, v6, -v11
	s_wait_alu 0xfffd
	v_add_co_ci_u32_e64 v177, null, s41, v177, vcc_lo
	v_dual_add_f32 v0, v8, v0 :: v_dual_mul_f32 v9, v73, v15
	v_mul_f32_e32 v8, v72, v15
	v_mul_f32_e32 v5, v68, v5
	v_add_co_u32 v178, vcc_lo, v178, s40
	s_delay_alu instid0(VALU_DEP_4)
	v_dual_add_f32 v0, v0, v2 :: v_dual_add_f32 v1, v63, v1
	v_mul_f32_e32 v2, v77, v21
	v_fmac_f32_e32 v8, v73, v14
	v_fmac_f32_e32 v5, v69, v4
	v_fma_f32 v4, v72, v14, -v9
	v_add_f32_e32 v1, v1, v3
	v_fma_f32 v3, v74, v12, -v16
	v_fma_f32 v2, v76, v20, -v2
	s_wait_alu 0xfffd
	v_add_co_ci_u32_e64 v179, null, s41, v179, vcc_lo
	v_add_co_u32 v180, vcc_lo, v180, s40
	v_add_f32_e32 v0, v0, v3
	v_mul_f32_e32 v3, v79, v23
	s_wait_alu 0xfffd
	v_add_co_ci_u32_e64 v181, null, s41, v181, vcc_lo
	v_add_co_u32 v182, vcc_lo, v182, s40
	v_add_f32_e32 v0, v0, v4
	v_dual_mul_f32 v4, v76, v21 :: v_dual_fmac_f32 v7, v71, v6
	v_add_f32_e32 v1, v1, v5
	s_wait_alu 0xfffd
	v_add_co_ci_u32_e64 v183, null, s41, v183, vcc_lo
	v_dual_add_f32 v0, v0, v2 :: v_dual_fmac_f32 v13, v75, v12
	v_mul_f32_e32 v2, v83, v33
	v_fmac_f32_e32 v4, v77, v20
	v_add_f32_e32 v1, v1, v7
	v_add_co_u32 v184, vcc_lo, v184, s40
	s_delay_alu instid0(VALU_DEP_4)
	v_fma_f32 v2, v82, v32, -v2
	s_wait_alu 0xfffd
	v_add_co_ci_u32_e64 v185, null, s41, v185, vcc_lo
	v_add_f32_e32 v1, v1, v13
	v_add_co_u32 v186, vcc_lo, v186, s40
	s_wait_alu 0xfffd
	v_add_co_ci_u32_e64 v187, null, s41, v187, vcc_lo
	s_delay_alu instid0(VALU_DEP_3) | instskip(SKIP_3) | instid1(VALU_DEP_3)
	v_add_f32_e32 v1, v1, v8
	v_add_co_u32 v188, vcc_lo, v188, s40
	s_wait_alu 0xfffd
	v_add_co_ci_u32_e64 v189, null, s41, v189, vcc_lo
	v_dual_add_f32 v1, v1, v4 :: v_dual_mul_f32 v4, v82, v33
	v_mul_f32_e32 v5, v78, v23
	v_fma_f32 v3, v78, v22, -v3
	v_add_co_u32 v190, vcc_lo, v190, s40
	s_delay_alu instid0(VALU_DEP_4) | instskip(NEXT) | instid1(VALU_DEP_3)
	v_fmac_f32_e32 v4, v83, v32
	v_dual_fmac_f32 v5, v79, v22 :: v_dual_add_f32 v0, v0, v3
	v_mul_f32_e32 v3, v81, v35
	v_mul_f32_e32 v6, v94, v47
	s_wait_alu 0xfffd
	v_add_co_ci_u32_e64 v191, null, s41, v191, vcc_lo
	v_add_f32_e32 v1, v1, v5
	v_mul_f32_e32 v5, v80, v35
	v_add_f32_e32 v0, v0, v2
	v_fmac_f32_e32 v6, v95, v46
	v_add_co_u32 v192, vcc_lo, v192, s40
	v_add_f32_e32 v1, v1, v4
	v_dual_fmac_f32 v5, v81, v34 :: v_dual_mul_f32 v4, v84, v25
	v_fma_f32 v2, v80, v34, -v3
	v_mul_f32_e32 v3, v85, v25
	s_wait_alu 0xfffd
	v_add_co_ci_u32_e64 v193, null, s41, v193, vcc_lo
	v_add_f32_e32 v1, v1, v5
	v_dual_fmac_f32 v4, v85, v24 :: v_dual_mul_f32 v5, v86, v27
	v_add_f32_e32 v0, v0, v2
	v_fma_f32 v2, v84, v24, -v3
	v_mul_f32_e32 v3, v87, v27
	s_delay_alu instid0(VALU_DEP_4) | instskip(SKIP_1) | instid1(VALU_DEP_4)
	v_add_f32_e32 v1, v1, v4
	v_dual_fmac_f32 v5, v87, v26 :: v_dual_mul_f32 v4, v88, v41
	v_add_f32_e32 v0, v0, v2
	s_delay_alu instid0(VALU_DEP_4) | instskip(SKIP_1) | instid1(VALU_DEP_4)
	v_fma_f32 v2, v86, v26, -v3
	v_add_co_u32 v194, vcc_lo, v194, s40
	v_add_f32_e32 v1, v1, v5
	v_fmac_f32_e32 v4, v89, v40
	s_delay_alu instid0(VALU_DEP_4) | instskip(SKIP_2) | instid1(VALU_DEP_3)
	v_dual_mul_f32 v5, v93, v45 :: v_dual_add_f32 v0, v0, v2
	s_wait_alu 0xfffd
	v_add_co_ci_u32_e64 v195, null, s41, v195, vcc_lo
	v_add_f32_e32 v1, v1, v4
	s_delay_alu instid0(VALU_DEP_3)
	v_fma_f32 v4, v92, v44, -v5
	v_mul_f32_e32 v3, v89, v41
	v_add_co_u32 v196, vcc_lo, v196, s40
	v_mul_f32_e32 v5, v95, v47
	s_wait_alu 0xfffd
	v_add_co_ci_u32_e64 v197, null, s41, v197, vcc_lo
	v_fma_f32 v2, v88, v40, -v3
	v_mul_f32_e32 v3, v91, v43
	v_add_co_u32 v198, vcc_lo, v198, s40
	s_wait_alu 0xfffd
	v_add_co_ci_u32_e64 v199, null, s41, v199, vcc_lo
	v_add_f32_e32 v0, v0, v2
	v_fma_f32 v2, v90, v42, -v3
	v_mul_f32_e32 v3, v90, v43
	v_add_co_u32 v200, vcc_lo, v200, s40
	s_wait_alu 0xfffd
	v_add_co_ci_u32_e64 v201, null, s41, v201, vcc_lo
	v_add_f32_e32 v0, v0, v2
	v_dual_mul_f32 v2, v92, v45 :: v_dual_fmac_f32 v3, v91, v42
	v_add_co_u32 v202, vcc_lo, v202, s40
	s_delay_alu instid0(VALU_DEP_3) | instskip(NEXT) | instid1(VALU_DEP_3)
	v_add_f32_e32 v0, v0, v4
	v_fmac_f32_e32 v2, v93, v44
	s_delay_alu instid0(VALU_DEP_4)
	v_add_f32_e32 v1, v1, v3
	v_fma_f32 v3, v94, v46, -v5
	s_wait_alu 0xfffd
	v_add_co_ci_u32_e64 v203, null, s41, v203, vcc_lo
	v_add_co_u32 v204, vcc_lo, v204, s40
	v_add_f32_e32 v1, v1, v2
	s_wait_alu 0xfffd
	v_add_co_ci_u32_e64 v205, null, s41, v205, vcc_lo
	v_add_co_u32 v206, vcc_lo, v206, s40
	s_delay_alu instid0(VALU_DEP_3)
	v_dual_add_f32 v62, v0, v3 :: v_dual_add_f32 v63, v1, v6
	s_wait_alu 0xfffd
	v_add_co_ci_u32_e64 v207, null, s41, v207, vcc_lo
	s_add_co_i32 s59, s66, 2
	s_add_co_i32 s22, s66, 1
	;; [unrolled: 1-line block ×3, first 2 shown]
	s_wait_alu 0xfffe
	s_cmp_ge_u32 s59, s26
	s_wait_loadcnt 0x0
	s_wait_storecnt 0x0
	s_barrier_signal -1
	s_barrier_wait -1
	global_inv scope:SCOPE_SE
	s_cbranch_scc1 .LBB4_163
; %bb.162:                              ;   in Loop: Header=BB4_111 Depth=2
	s_mov_b32 s66, s22
	s_wait_alu 0xfffe
	s_cmp_eq_u32 s27, s66
	s_cselect_b32 s67, s60, 0
	s_and_saveexec_b32 s22, s0
	s_cbranch_execnz .LBB4_107
	s_branch .LBB4_111
.LBB4_163:                              ;   in Loop: Header=BB4_4 Depth=1
	ds_store_b64 v134, v[62:63]
	s_wait_loadcnt_dscnt 0x0
	s_barrier_signal -1
	s_barrier_wait -1
	global_inv scope:SCOPE_SE
	s_and_saveexec_b32 s22, s63
	s_cbranch_execz .LBB4_2
; %bb.164:                              ;   in Loop: Header=BB4_4 Depth=1
	ds_load_2addr_b64 v[0:3], v97 offset1:67
	ds_load_2addr_b64 v[4:7], v97 offset0:134 offset1:201
	s_wait_dscnt 0x1
	v_dual_add_f32 v0, v2, v0 :: v_dual_add_f32 v1, v3, v1
	s_wait_alu 0xfffe
	v_add_co_u32 v2, vcc_lo, s56, v58
	s_wait_alu 0xfffd
	v_add_co_ci_u32_e64 v3, null, s57, v59, vcc_lo
	s_wait_dscnt 0x0
	v_dual_add_f32 v0, v4, v0 :: v_dual_add_f32 v1, v5, v1
	s_delay_alu instid0(VALU_DEP_1)
	v_dual_add_f32 v0, v0, v6 :: v_dual_add_f32 v1, v1, v7
	global_store_b64 v[2:3], v[0:1], off
	s_branch .LBB4_2
.LBB4_165:                              ;   in Loop: Header=BB4_4 Depth=1
	ds_load_b64 v[3:4], v173
	s_mov_b32 s22, exec_lo
	s_wait_dscnt 0x0
	v_xor_b32_e32 v2, 0x80000000, v4
	ds_store_b32 v105, v3
	s_wait_alu 0xfffe
	s_or_saveexec_b32 s56, s56
	v_mov_b32_e32 v3, v105
	s_wait_alu 0xfffe
	s_xor_b32 exec_lo, exec_lo, s56
	s_cbranch_execz .LBB4_33
.LBB4_166:                              ;   in Loop: Header=BB4_4 Depth=1
	v_dual_mov_b32 v2, 0 :: v_dual_mov_b32 v3, v103
	s_and_not1_b32 s22, s22, exec_lo
	s_and_b32 s57, s9, exec_lo
	s_wait_alu 0xfffe
	s_or_b32 s22, s22, s57
	s_or_b32 exec_lo, exec_lo, s56
	s_wait_alu 0xfffe
	s_and_saveexec_b32 s56, s22
	s_cbranch_execnz .LBB4_34
	s_branch .LBB4_35
.LBB4_167:                              ;   in Loop: Header=BB4_4 Depth=1
	ds_load_b64 v[3:4], v173
	s_mov_b32 s22, exec_lo
	s_wait_dscnt 0x0
	v_xor_b32_e32 v2, 0x80000000, v4
	ds_store_b32 v105, v3
	s_wait_alu 0xfffe
	s_or_saveexec_b32 s56, s56
	v_mov_b32_e32 v3, v105
	s_wait_alu 0xfffe
	s_xor_b32 exec_lo, exec_lo, s56
	s_cbranch_execz .LBB4_71
.LBB4_168:                              ;   in Loop: Header=BB4_4 Depth=1
	v_dual_mov_b32 v2, 0 :: v_dual_mov_b32 v3, v103
	s_and_not1_b32 s22, s22, exec_lo
	s_and_b32 s57, s9, exec_lo
	s_wait_alu 0xfffe
	s_or_b32 s22, s22, s57
	s_or_b32 exec_lo, exec_lo, s56
	s_wait_alu 0xfffe
	s_and_saveexec_b32 s56, s22
	s_cbranch_execnz .LBB4_72
	s_branch .LBB4_73
.LBB4_169:                              ;   in Loop: Header=BB4_4 Depth=1
	global_load_b64 v[4:5], v[0:1], off
	s_wait_loadcnt 0x0
	ds_store_b64 v170, v[4:5]
	s_or_b32 exec_lo, exec_lo, s22
	s_and_saveexec_b32 s22, s3
	s_wait_alu 0xfffe
	s_xor_b32 s22, exec_lo, s22
	s_cbranch_execz .LBB4_16
.LBB4_170:                              ;   in Loop: Header=BB4_4 Depth=1
	v_mov_b32_e32 v57, v56
	ds_store_b64 v170, v[56:57] offset:2112
	s_wait_alu 0xfffe
	s_and_not1_saveexec_b32 s22, s22
	s_cbranch_execz .LBB4_17
.LBB4_171:                              ;   in Loop: Header=BB4_4 Depth=1
	v_add_co_u32 v4, vcc_lo, v0, s36
	s_wait_alu 0xfffd
	v_add_co_ci_u32_e64 v5, null, s37, v1, vcc_lo
	global_load_b64 v[4:5], v[4:5], off
	s_wait_loadcnt 0x0
	ds_store_b64 v170, v[4:5] offset:2112
	s_wait_alu 0xfffe
	s_or_b32 exec_lo, exec_lo, s22
	s_and_saveexec_b32 s22, s4
	s_wait_alu 0xfffe
	s_xor_b32 s22, exec_lo, s22
	s_cbranch_execz .LBB4_18
.LBB4_172:                              ;   in Loop: Header=BB4_4 Depth=1
	v_mov_b32_e32 v57, v56
	ds_store_b64 v170, v[56:57] offset:4224
	s_wait_alu 0xfffe
	s_and_not1_saveexec_b32 s22, s22
	s_cbranch_execz .LBB4_19
.LBB4_173:                              ;   in Loop: Header=BB4_4 Depth=1
	v_add_co_u32 v4, vcc_lo, v0, s38
	s_wait_alu 0xfffd
	v_add_co_ci_u32_e64 v5, null, s39, v1, vcc_lo
	global_load_b64 v[4:5], v[4:5], off
	s_wait_loadcnt 0x0
	ds_store_b64 v170, v[4:5] offset:4224
	s_wait_alu 0xfffe
	s_or_b32 exec_lo, exec_lo, s22
	s_and_saveexec_b32 s22, s5
	s_wait_alu 0xfffe
	s_xor_b32 s22, exec_lo, s22
	s_cbranch_execz .LBB4_20
.LBB4_174:                              ;   in Loop: Header=BB4_4 Depth=1
	v_mov_b32_e32 v57, v56
	ds_store_b64 v170, v[56:57] offset:6336
	s_wait_alu 0xfffe
	s_and_not1_saveexec_b32 s22, s22
	s_cbranch_execnz .LBB4_21
	s_branch .LBB4_22
.LBB4_175:                              ;   in Loop: Header=BB4_4 Depth=1
	global_load_b64 v[6:7], v[0:1], off
	s_wait_loadcnt 0x0
	ds_store_b64 v170, v[6:7]
	s_or_b32 exec_lo, exec_lo, s22
	s_and_saveexec_b32 s22, s17
	s_wait_alu 0xfffe
	s_xor_b32 s22, exec_lo, s22
	s_cbranch_execz .LBB4_54
.LBB4_176:                              ;   in Loop: Header=BB4_4 Depth=1
	v_mov_b32_e32 v57, v56
	ds_store_b64 v170, v[56:57] offset:2112
	s_wait_alu 0xfffe
	s_and_not1_saveexec_b32 s22, s22
	s_cbranch_execz .LBB4_55
.LBB4_177:                              ;   in Loop: Header=BB4_4 Depth=1
	v_add_co_u32 v6, vcc_lo, v0, s36
	s_wait_alu 0xfffd
	v_add_co_ci_u32_e64 v7, null, s37, v1, vcc_lo
	global_load_b64 v[6:7], v[6:7], off
	s_wait_loadcnt 0x0
	ds_store_b64 v170, v[6:7] offset:2112
	s_wait_alu 0xfffe
	s_or_b32 exec_lo, exec_lo, s22
	s_and_saveexec_b32 s22, s18
	s_wait_alu 0xfffe
	s_xor_b32 s22, exec_lo, s22
	s_cbranch_execz .LBB4_56
.LBB4_178:                              ;   in Loop: Header=BB4_4 Depth=1
	v_mov_b32_e32 v57, v56
	ds_store_b64 v170, v[56:57] offset:4224
	s_wait_alu 0xfffe
	s_and_not1_saveexec_b32 s22, s22
	s_cbranch_execz .LBB4_57
.LBB4_179:                              ;   in Loop: Header=BB4_4 Depth=1
	v_add_co_u32 v6, vcc_lo, v0, s38
	s_wait_alu 0xfffd
	v_add_co_ci_u32_e64 v7, null, s39, v1, vcc_lo
	global_load_b64 v[6:7], v[6:7], off
	s_wait_loadcnt 0x0
	ds_store_b64 v170, v[6:7] offset:4224
	s_wait_alu 0xfffe
	s_or_b32 exec_lo, exec_lo, s22
	s_and_saveexec_b32 s22, s19
	s_wait_alu 0xfffe
	s_xor_b32 s22, exec_lo, s22
	s_cbranch_execz .LBB4_58
.LBB4_180:                              ;   in Loop: Header=BB4_4 Depth=1
	v_mov_b32_e32 v57, v56
	ds_store_b64 v170, v[56:57] offset:6336
	s_wait_alu 0xfffe
	s_and_not1_saveexec_b32 s22, s22
	s_cbranch_execnz .LBB4_59
	s_branch .LBB4_60
.LBB4_181:                              ;   in Loop: Header=BB4_4 Depth=1
	global_load_b64 v[6:7], v[4:5], off
	s_wait_loadcnt 0x0
	ds_store_b64 v170, v[6:7]
	s_or_b32 exec_lo, exec_lo, s22
	s_and_saveexec_b32 s22, s17
	s_wait_alu 0xfffe
	s_xor_b32 s22, exec_lo, s22
	s_cbranch_execz .LBB4_92
.LBB4_182:                              ;   in Loop: Header=BB4_4 Depth=1
	v_mov_b32_e32 v57, v56
	ds_store_b64 v170, v[56:57] offset:2112
	s_wait_alu 0xfffe
	s_and_not1_saveexec_b32 s22, s22
	s_cbranch_execz .LBB4_93
.LBB4_183:                              ;   in Loop: Header=BB4_4 Depth=1
	v_add_co_u32 v6, vcc_lo, v4, s36
	s_wait_alu 0xfffd
	v_add_co_ci_u32_e64 v7, null, s37, v5, vcc_lo
	global_load_b64 v[6:7], v[6:7], off
	s_wait_loadcnt 0x0
	ds_store_b64 v170, v[6:7] offset:2112
	s_wait_alu 0xfffe
	s_or_b32 exec_lo, exec_lo, s22
	s_and_saveexec_b32 s22, s18
	s_wait_alu 0xfffe
	s_xor_b32 s22, exec_lo, s22
	s_cbranch_execz .LBB4_94
.LBB4_184:                              ;   in Loop: Header=BB4_4 Depth=1
	v_mov_b32_e32 v57, v56
	ds_store_b64 v170, v[56:57] offset:4224
	s_wait_alu 0xfffe
	s_and_not1_saveexec_b32 s22, s22
	s_cbranch_execz .LBB4_95
.LBB4_185:                              ;   in Loop: Header=BB4_4 Depth=1
	v_add_co_u32 v6, vcc_lo, v4, s38
	s_wait_alu 0xfffd
	v_add_co_ci_u32_e64 v7, null, s39, v5, vcc_lo
	global_load_b64 v[6:7], v[6:7], off
	s_wait_loadcnt 0x0
	ds_store_b64 v170, v[6:7] offset:4224
	s_wait_alu 0xfffe
	s_or_b32 exec_lo, exec_lo, s22
	s_and_saveexec_b32 s22, s19
	s_wait_alu 0xfffe
	s_xor_b32 s22, exec_lo, s22
	s_cbranch_execz .LBB4_96
.LBB4_186:                              ;   in Loop: Header=BB4_4 Depth=1
	v_mov_b32_e32 v57, v56
	ds_store_b64 v170, v[56:57] offset:6336
	s_wait_alu 0xfffe
	s_and_not1_saveexec_b32 s22, s22
	s_cbranch_execnz .LBB4_97
	s_branch .LBB4_98
.LBB4_187:
	s_nop 0
	s_sendmsg sendmsg(MSG_DEALLOC_VGPRS)
	s_endpgm
	.section	.rodata,"a",@progbits
	.p2align	6, 0x0
	.amdhsa_kernel _ZL26rocblas_hemvn_kernel_upperILb1ELi64ELi4ELi33ELi32ELi16El19rocblas_complex_numIfEPKS1_PS1_EviT6_lT7_lT5_lS6_lS7_lS5_lT8_i
		.amdhsa_group_segment_fixed_size 9600
		.amdhsa_private_segment_fixed_size 0
		.amdhsa_kernarg_size 376
		.amdhsa_user_sgpr_count 2
		.amdhsa_user_sgpr_dispatch_ptr 0
		.amdhsa_user_sgpr_queue_ptr 0
		.amdhsa_user_sgpr_kernarg_segment_ptr 1
		.amdhsa_user_sgpr_dispatch_id 0
		.amdhsa_user_sgpr_private_segment_size 0
		.amdhsa_wavefront_size32 1
		.amdhsa_uses_dynamic_stack 0
		.amdhsa_enable_private_segment 0
		.amdhsa_system_sgpr_workgroup_id_x 1
		.amdhsa_system_sgpr_workgroup_id_y 0
		.amdhsa_system_sgpr_workgroup_id_z 1
		.amdhsa_system_sgpr_workgroup_info 0
		.amdhsa_system_vgpr_workitem_id 1
		.amdhsa_next_free_vgpr 216
		.amdhsa_next_free_sgpr 70
		.amdhsa_reserve_vcc 1
		.amdhsa_float_round_mode_32 0
		.amdhsa_float_round_mode_16_64 0
		.amdhsa_float_denorm_mode_32 3
		.amdhsa_float_denorm_mode_16_64 3
		.amdhsa_fp16_overflow 0
		.amdhsa_workgroup_processor_mode 1
		.amdhsa_memory_ordered 1
		.amdhsa_forward_progress 1
		.amdhsa_inst_pref_size 93
		.amdhsa_round_robin_scheduling 0
		.amdhsa_exception_fp_ieee_invalid_op 0
		.amdhsa_exception_fp_denorm_src 0
		.amdhsa_exception_fp_ieee_div_zero 0
		.amdhsa_exception_fp_ieee_overflow 0
		.amdhsa_exception_fp_ieee_underflow 0
		.amdhsa_exception_fp_ieee_inexact 0
		.amdhsa_exception_int_div_zero 0
	.end_amdhsa_kernel
	.section	.text._ZL26rocblas_hemvn_kernel_upperILb1ELi64ELi4ELi33ELi32ELi16El19rocblas_complex_numIfEPKS1_PS1_EviT6_lT7_lT5_lS6_lS7_lS5_lT8_i,"axG",@progbits,_ZL26rocblas_hemvn_kernel_upperILb1ELi64ELi4ELi33ELi32ELi16El19rocblas_complex_numIfEPKS1_PS1_EviT6_lT7_lT5_lS6_lS7_lS5_lT8_i,comdat
.Lfunc_end4:
	.size	_ZL26rocblas_hemvn_kernel_upperILb1ELi64ELi4ELi33ELi32ELi16El19rocblas_complex_numIfEPKS1_PS1_EviT6_lT7_lT5_lS6_lS7_lS5_lT8_i, .Lfunc_end4-_ZL26rocblas_hemvn_kernel_upperILb1ELi64ELi4ELi33ELi32ELi16El19rocblas_complex_numIfEPKS1_PS1_EviT6_lT7_lT5_lS6_lS7_lS5_lT8_i
                                        ; -- End function
	.set _ZL26rocblas_hemvn_kernel_upperILb1ELi64ELi4ELi33ELi32ELi16El19rocblas_complex_numIfEPKS1_PS1_EviT6_lT7_lT5_lS6_lS7_lS5_lT8_i.num_vgpr, 216
	.set _ZL26rocblas_hemvn_kernel_upperILb1ELi64ELi4ELi33ELi32ELi16El19rocblas_complex_numIfEPKS1_PS1_EviT6_lT7_lT5_lS6_lS7_lS5_lT8_i.num_agpr, 0
	.set _ZL26rocblas_hemvn_kernel_upperILb1ELi64ELi4ELi33ELi32ELi16El19rocblas_complex_numIfEPKS1_PS1_EviT6_lT7_lT5_lS6_lS7_lS5_lT8_i.numbered_sgpr, 70
	.set _ZL26rocblas_hemvn_kernel_upperILb1ELi64ELi4ELi33ELi32ELi16El19rocblas_complex_numIfEPKS1_PS1_EviT6_lT7_lT5_lS6_lS7_lS5_lT8_i.num_named_barrier, 0
	.set _ZL26rocblas_hemvn_kernel_upperILb1ELi64ELi4ELi33ELi32ELi16El19rocblas_complex_numIfEPKS1_PS1_EviT6_lT7_lT5_lS6_lS7_lS5_lT8_i.private_seg_size, 0
	.set _ZL26rocblas_hemvn_kernel_upperILb1ELi64ELi4ELi33ELi32ELi16El19rocblas_complex_numIfEPKS1_PS1_EviT6_lT7_lT5_lS6_lS7_lS5_lT8_i.uses_vcc, 1
	.set _ZL26rocblas_hemvn_kernel_upperILb1ELi64ELi4ELi33ELi32ELi16El19rocblas_complex_numIfEPKS1_PS1_EviT6_lT7_lT5_lS6_lS7_lS5_lT8_i.uses_flat_scratch, 0
	.set _ZL26rocblas_hemvn_kernel_upperILb1ELi64ELi4ELi33ELi32ELi16El19rocblas_complex_numIfEPKS1_PS1_EviT6_lT7_lT5_lS6_lS7_lS5_lT8_i.has_dyn_sized_stack, 0
	.set _ZL26rocblas_hemvn_kernel_upperILb1ELi64ELi4ELi33ELi32ELi16El19rocblas_complex_numIfEPKS1_PS1_EviT6_lT7_lT5_lS6_lS7_lS5_lT8_i.has_recursion, 0
	.set _ZL26rocblas_hemvn_kernel_upperILb1ELi64ELi4ELi33ELi32ELi16El19rocblas_complex_numIfEPKS1_PS1_EviT6_lT7_lT5_lS6_lS7_lS5_lT8_i.has_indirect_call, 0
	.section	.AMDGPU.csdata,"",@progbits
; Kernel info:
; codeLenInByte = 11888
; TotalNumSgprs: 72
; NumVgprs: 216
; ScratchSize: 0
; MemoryBound: 1
; FloatMode: 240
; IeeeMode: 1
; LDSByteSize: 9600 bytes/workgroup (compile time only)
; SGPRBlocks: 0
; VGPRBlocks: 26
; NumSGPRsForWavesPerEU: 72
; NumVGPRsForWavesPerEU: 216
; Occupancy: 7
; WaveLimiterHint : 1
; COMPUTE_PGM_RSRC2:SCRATCH_EN: 0
; COMPUTE_PGM_RSRC2:USER_SGPR: 2
; COMPUTE_PGM_RSRC2:TRAP_HANDLER: 0
; COMPUTE_PGM_RSRC2:TGID_X_EN: 1
; COMPUTE_PGM_RSRC2:TGID_Y_EN: 0
; COMPUTE_PGM_RSRC2:TGID_Z_EN: 1
; COMPUTE_PGM_RSRC2:TIDIG_COMP_CNT: 1
	.section	.text._ZL36rocblas_hemvn_kernel_upper_block_sumILi64El19rocblas_complex_numIfEPS1_S1_EviT1_lS3_lT2_lT0_lPT3_i,"axG",@progbits,_ZL36rocblas_hemvn_kernel_upper_block_sumILi64El19rocblas_complex_numIfEPS1_S1_EviT1_lS3_lT2_lT0_lPT3_i,comdat
	.globl	_ZL36rocblas_hemvn_kernel_upper_block_sumILi64El19rocblas_complex_numIfEPS1_S1_EviT1_lS3_lT2_lT0_lPT3_i ; -- Begin function _ZL36rocblas_hemvn_kernel_upper_block_sumILi64El19rocblas_complex_numIfEPS1_S1_EviT1_lS3_lT2_lT0_lPT3_i
	.p2align	8
	.type	_ZL36rocblas_hemvn_kernel_upper_block_sumILi64El19rocblas_complex_numIfEPS1_S1_EviT1_lS3_lT2_lT0_lPT3_i,@function
_ZL36rocblas_hemvn_kernel_upper_block_sumILi64El19rocblas_complex_numIfEPS1_S1_EviT1_lS3_lT2_lT0_lPT3_i: ; @_ZL36rocblas_hemvn_kernel_upper_block_sumILi64El19rocblas_complex_numIfEPS1_S1_EviT1_lS3_lT2_lT0_lPT3_i
; %bb.0:
	s_load_b32 s3, s[0:1], 0x50
	s_lshr_b32 s12, ttmp7, 16
	s_wait_kmcnt 0x0
	s_cmp_ge_u32 s12, s3
	s_cbranch_scc1 .LBB5_21
; %bb.1:
	s_clause 0x3
	s_load_b64 s[14:15], s[0:1], 0x4
	s_load_b256 s[4:11], s[0:1], 0x30
	s_load_b32 s24, s[0:1], 0x0
	s_load_b64 s[16:17], s[0:1], 0x18
	v_lshl_or_b32 v0, ttmp9, 6, v0
	s_load_b64 s[20:21], s[0:1], 0x28
	s_mov_b32 s13, 0
	s_add_nc_u64 s[0:1], s[0:1], 0x58
	s_delay_alu instid0(VALU_DEP_1) | instskip(NEXT) | instid1(VALU_DEP_1)
	v_ashrrev_i32_e32 v1, 31, v0
	v_lshlrev_b64_e32 v[2:3], 3, v[0:1]
	s_wait_kmcnt 0x0
	s_or_b32 s2, s14, s15
	s_lshl_b64 s[4:5], s[4:5], 3
	s_and_b32 s19, s2, 0x7fffffff
	v_mul_lo_u32 v6, s6, v1
	s_cmp_eq_u32 s19, 0
	v_mul_lo_u32 v7, s7, v0
	s_cselect_b32 s18, -1, 0
	s_cmp_lg_u32 s19, 0
	v_mad_co_u64_u32 v[4:5], null, s6, v0, 0
	s_cselect_b32 s22, -1, 0
	s_cmp_neq_f32 s16, 1.0
	v_cmp_gt_i32_e64 s2, s24, v0
	v_add_co_u32 v0, vcc_lo, s10, v2
	s_cselect_b32 s6, -1, 0
	s_cmp_neq_f32 s17, 0
	v_add3_u32 v5, v5, v6, v7
	v_add_co_ci_u32_e64 v1, null, s11, v3, vcc_lo
	s_cselect_b32 s7, -1, 0
	s_cmp_neq_f32 s16, 0
	v_add_co_u32 v0, vcc_lo, v0, 4
	v_lshlrev_b64_e32 v[2:3], 3, v[4:5]
	s_cselect_b32 s10, -1, 0
	s_ashr_i32 s25, s24, 31
	s_wait_alu 0xfffe
	s_or_b32 s10, s10, s7
	s_wait_alu 0xfffd
	v_add_co_ci_u32_e64 v1, null, 0, v1, vcc_lo
	s_wait_alu 0xfffe
	s_xor_b32 s19, s10, -1
	s_cmp_gt_i32 ttmp9, -1
	v_cndmask_b32_e64 v6, 0, 1, s10
	s_add_nc_u64 s[4:5], s[20:21], s[4:5]
	s_cselect_b32 s20, -1, 0
	s_or_b32 s6, s6, s7
	s_wait_alu 0xfffe
	s_or_b32 s21, s6, s22
	s_add_co_i32 s22, ttmp9, 1
	s_lshl_b64 s[6:7], s[24:25], 3
	s_branch .LBB5_5
.LBB5_2:                                ;   in Loop: Header=BB5_5 Depth=1
	v_add_co_u32 v7, vcc_lo, s10, v2
	s_wait_alu 0xfffd
	v_add_co_ci_u32_e64 v8, null, s11, v3, vcc_lo
	global_store_b64 v[7:8], v[4:5], off
.LBB5_3:                                ;   in Loop: Header=BB5_5 Depth=1
	s_or_b32 exec_lo, exec_lo, s23
.LBB5_4:                                ;   in Loop: Header=BB5_5 Depth=1
	s_add_co_i32 s12, s12, 0x10000
	s_wait_alu 0xfffe
	s_cmp_lt_u32 s12, s3
	s_cbranch_scc0 .LBB5_21
.LBB5_5:                                ; =>This Loop Header: Depth=1
                                        ;     Child Loop BB5_16 Depth 2
	s_and_not1_b32 vcc_lo, exec_lo, s21
	s_wait_alu 0xfffe
	s_cbranch_vccnz .LBB5_4
; %bb.6:                                ;   in Loop: Header=BB5_5 Depth=1
	s_mul_u64 s[10:11], s[8:9], s[12:13]
	s_and_not1_b32 vcc_lo, exec_lo, s18
	s_wait_alu 0xfffe
	s_lshl_b64 s[10:11], s[10:11], 3
	s_mov_b32 s23, -1
	s_wait_alu 0xfffe
	s_add_nc_u64 s[10:11], s[4:5], s[10:11]
	s_cbranch_vccnz .LBB5_12
; %bb.7:                                ;   in Loop: Header=BB5_5 Depth=1
	s_and_saveexec_b32 s23, s2
	s_cbranch_execz .LBB5_11
; %bb.8:                                ;   in Loop: Header=BB5_5 Depth=1
	v_cmp_ne_u32_e32 vcc_lo, 1, v6
	v_dual_mov_b32 v4, 0 :: v_dual_mov_b32 v5, 0
	s_cbranch_vccnz .LBB5_10
; %bb.9:                                ;   in Loop: Header=BB5_5 Depth=1
	s_wait_alu 0xfffe
	v_add_co_u32 v4, vcc_lo, s10, v2
	s_wait_alu 0xfffd
	v_add_co_ci_u32_e64 v5, null, s11, v3, vcc_lo
	global_load_b64 v[7:8], v[4:5], off
	s_wait_loadcnt 0x0
	v_mul_f32_e32 v5, s16, v8
	s_delay_alu instid0(VALU_DEP_1) | instskip(NEXT) | instid1(VALU_DEP_1)
	v_dual_mul_f32 v4, s17, v8 :: v_dual_fmac_f32 v5, s17, v7
	v_fma_f32 v4, v7, s16, -v4
.LBB5_10:                               ;   in Loop: Header=BB5_5 Depth=1
	s_wait_alu 0xfffe
	v_add_co_u32 v7, vcc_lo, s10, v2
	s_wait_alu 0xfffd
	v_add_co_ci_u32_e64 v8, null, s11, v3, vcc_lo
	global_store_b64 v[7:8], v[4:5], off
.LBB5_11:                               ;   in Loop: Header=BB5_5 Depth=1
	s_or_b32 exec_lo, exec_lo, s23
	s_mov_b32 s23, 0
.LBB5_12:                               ;   in Loop: Header=BB5_5 Depth=1
	s_delay_alu instid0(SALU_CYCLE_1)
	s_and_not1_b32 vcc_lo, exec_lo, s23
	s_wait_alu 0xfffe
	s_cbranch_vccnz .LBB5_4
; %bb.13:                               ;   in Loop: Header=BB5_5 Depth=1
	s_and_saveexec_b32 s23, s2
	s_cbranch_execz .LBB5_3
; %bb.14:                               ;   in Loop: Header=BB5_5 Depth=1
	v_dual_mov_b32 v7, 0 :: v_dual_mov_b32 v8, 0
	s_and_not1_b32 vcc_lo, exec_lo, s20
	s_wait_alu 0xfffe
	s_cbranch_vccnz .LBB5_17
; %bb.15:                               ;   in Loop: Header=BB5_5 Depth=1
	s_load_b32 s24, s[0:1], 0x0
	s_mov_b32 s25, s13
	v_mov_b32_e32 v7, 0
	s_wait_kmcnt 0x0
	s_wait_alu 0xfffe
	s_mul_u64 s[24:25], s[6:7], s[24:25]
	s_wait_alu 0xfffe
	v_mad_co_u64_u32 v[4:5], null, s24, s12, v[0:1]
	s_mov_b32 s24, s22
	v_mad_co_u64_u32 v[8:9], null, s25, s12, v[5:6]
	s_delay_alu instid0(VALU_DEP_1)
	v_dual_mov_b32 v5, v8 :: v_dual_mov_b32 v8, 0
.LBB5_16:                               ;   Parent Loop BB5_5 Depth=1
                                        ; =>  This Inner Loop Header: Depth=2
	global_load_b64 v[9:10], v[4:5], off offset:-4
	v_add_co_u32 v4, vcc_lo, v4, s6
	s_wait_alu 0xfffd
	v_add_co_ci_u32_e64 v5, null, s7, v5, vcc_lo
	s_wait_alu 0xfffe
	s_add_co_i32 s24, s24, -1
	s_wait_alu 0xfffe
	s_cmp_eq_u32 s24, 0
	s_wait_loadcnt 0x0
	v_dual_add_f32 v8, v8, v9 :: v_dual_add_f32 v7, v7, v10
	s_cbranch_scc0 .LBB5_16
.LBB5_17:                               ;   in Loop: Header=BB5_5 Depth=1
	s_delay_alu instid0(VALU_DEP_1) | instskip(SKIP_3) | instid1(VALU_DEP_2)
	v_mul_f32_e32 v5, s14, v7
	v_mul_f32_e32 v4, s15, v7
	s_and_b32 vcc_lo, exec_lo, s19
	s_mov_b32 s24, -1
	v_fmac_f32_e32 v5, s15, v8
	s_delay_alu instid0(VALU_DEP_2)
	v_fma_f32 v4, v8, s14, -v4
	s_wait_alu 0xfffe
	s_cbranch_vccz .LBB5_19
; %bb.18:                               ;   in Loop: Header=BB5_5 Depth=1
	s_mov_b32 s24, 0
.LBB5_19:                               ;   in Loop: Header=BB5_5 Depth=1
	s_wait_alu 0xfffe
	s_and_not1_b32 vcc_lo, exec_lo, s24
	s_wait_alu 0xfffe
	s_cbranch_vccnz .LBB5_2
; %bb.20:                               ;   in Loop: Header=BB5_5 Depth=1
	v_add_co_u32 v7, vcc_lo, s10, v2
	s_wait_alu 0xfffd
	v_add_co_ci_u32_e64 v8, null, s11, v3, vcc_lo
	global_load_b64 v[7:8], v[7:8], off
	s_wait_loadcnt 0x0
	v_mul_f32_e32 v9, s17, v8
	v_mul_f32_e32 v8, s16, v8
	s_delay_alu instid0(VALU_DEP_1) | instskip(NEXT) | instid1(VALU_DEP_3)
	v_fmac_f32_e32 v8, s17, v7
	v_fma_f32 v9, v7, s16, -v9
	s_delay_alu instid0(VALU_DEP_1)
	v_dual_add_f32 v5, v5, v8 :: v_dual_add_f32 v4, v4, v9
	s_branch .LBB5_2
.LBB5_21:
	s_endpgm
	.section	.rodata,"a",@progbits
	.p2align	6, 0x0
	.amdhsa_kernel _ZL36rocblas_hemvn_kernel_upper_block_sumILi64El19rocblas_complex_numIfEPS1_S1_EviT1_lS3_lT2_lT0_lPT3_i
		.amdhsa_group_segment_fixed_size 0
		.amdhsa_private_segment_fixed_size 0
		.amdhsa_kernarg_size 344
		.amdhsa_user_sgpr_count 2
		.amdhsa_user_sgpr_dispatch_ptr 0
		.amdhsa_user_sgpr_queue_ptr 0
		.amdhsa_user_sgpr_kernarg_segment_ptr 1
		.amdhsa_user_sgpr_dispatch_id 0
		.amdhsa_user_sgpr_private_segment_size 0
		.amdhsa_wavefront_size32 1
		.amdhsa_uses_dynamic_stack 0
		.amdhsa_enable_private_segment 0
		.amdhsa_system_sgpr_workgroup_id_x 1
		.amdhsa_system_sgpr_workgroup_id_y 0
		.amdhsa_system_sgpr_workgroup_id_z 1
		.amdhsa_system_sgpr_workgroup_info 0
		.amdhsa_system_vgpr_workitem_id 0
		.amdhsa_next_free_vgpr 11
		.amdhsa_next_free_sgpr 26
		.amdhsa_reserve_vcc 1
		.amdhsa_float_round_mode_32 0
		.amdhsa_float_round_mode_16_64 0
		.amdhsa_float_denorm_mode_32 3
		.amdhsa_float_denorm_mode_16_64 3
		.amdhsa_fp16_overflow 0
		.amdhsa_workgroup_processor_mode 1
		.amdhsa_memory_ordered 1
		.amdhsa_forward_progress 1
		.amdhsa_inst_pref_size 7
		.amdhsa_round_robin_scheduling 0
		.amdhsa_exception_fp_ieee_invalid_op 0
		.amdhsa_exception_fp_denorm_src 0
		.amdhsa_exception_fp_ieee_div_zero 0
		.amdhsa_exception_fp_ieee_overflow 0
		.amdhsa_exception_fp_ieee_underflow 0
		.amdhsa_exception_fp_ieee_inexact 0
		.amdhsa_exception_int_div_zero 0
	.end_amdhsa_kernel
	.section	.text._ZL36rocblas_hemvn_kernel_upper_block_sumILi64El19rocblas_complex_numIfEPS1_S1_EviT1_lS3_lT2_lT0_lPT3_i,"axG",@progbits,_ZL36rocblas_hemvn_kernel_upper_block_sumILi64El19rocblas_complex_numIfEPS1_S1_EviT1_lS3_lT2_lT0_lPT3_i,comdat
.Lfunc_end5:
	.size	_ZL36rocblas_hemvn_kernel_upper_block_sumILi64El19rocblas_complex_numIfEPS1_S1_EviT1_lS3_lT2_lT0_lPT3_i, .Lfunc_end5-_ZL36rocblas_hemvn_kernel_upper_block_sumILi64El19rocblas_complex_numIfEPS1_S1_EviT1_lS3_lT2_lT0_lPT3_i
                                        ; -- End function
	.set _ZL36rocblas_hemvn_kernel_upper_block_sumILi64El19rocblas_complex_numIfEPS1_S1_EviT1_lS3_lT2_lT0_lPT3_i.num_vgpr, 11
	.set _ZL36rocblas_hemvn_kernel_upper_block_sumILi64El19rocblas_complex_numIfEPS1_S1_EviT1_lS3_lT2_lT0_lPT3_i.num_agpr, 0
	.set _ZL36rocblas_hemvn_kernel_upper_block_sumILi64El19rocblas_complex_numIfEPS1_S1_EviT1_lS3_lT2_lT0_lPT3_i.numbered_sgpr, 26
	.set _ZL36rocblas_hemvn_kernel_upper_block_sumILi64El19rocblas_complex_numIfEPS1_S1_EviT1_lS3_lT2_lT0_lPT3_i.num_named_barrier, 0
	.set _ZL36rocblas_hemvn_kernel_upper_block_sumILi64El19rocblas_complex_numIfEPS1_S1_EviT1_lS3_lT2_lT0_lPT3_i.private_seg_size, 0
	.set _ZL36rocblas_hemvn_kernel_upper_block_sumILi64El19rocblas_complex_numIfEPS1_S1_EviT1_lS3_lT2_lT0_lPT3_i.uses_vcc, 1
	.set _ZL36rocblas_hemvn_kernel_upper_block_sumILi64El19rocblas_complex_numIfEPS1_S1_EviT1_lS3_lT2_lT0_lPT3_i.uses_flat_scratch, 0
	.set _ZL36rocblas_hemvn_kernel_upper_block_sumILi64El19rocblas_complex_numIfEPS1_S1_EviT1_lS3_lT2_lT0_lPT3_i.has_dyn_sized_stack, 0
	.set _ZL36rocblas_hemvn_kernel_upper_block_sumILi64El19rocblas_complex_numIfEPS1_S1_EviT1_lS3_lT2_lT0_lPT3_i.has_recursion, 0
	.set _ZL36rocblas_hemvn_kernel_upper_block_sumILi64El19rocblas_complex_numIfEPS1_S1_EviT1_lS3_lT2_lT0_lPT3_i.has_indirect_call, 0
	.section	.AMDGPU.csdata,"",@progbits
; Kernel info:
; codeLenInByte = 852
; TotalNumSgprs: 28
; NumVgprs: 11
; ScratchSize: 0
; MemoryBound: 0
; FloatMode: 240
; IeeeMode: 1
; LDSByteSize: 0 bytes/workgroup (compile time only)
; SGPRBlocks: 0
; VGPRBlocks: 1
; NumSGPRsForWavesPerEU: 28
; NumVGPRsForWavesPerEU: 11
; Occupancy: 16
; WaveLimiterHint : 0
; COMPUTE_PGM_RSRC2:SCRATCH_EN: 0
; COMPUTE_PGM_RSRC2:USER_SGPR: 2
; COMPUTE_PGM_RSRC2:TRAP_HANDLER: 0
; COMPUTE_PGM_RSRC2:TGID_X_EN: 1
; COMPUTE_PGM_RSRC2:TGID_Y_EN: 0
; COMPUTE_PGM_RSRC2:TGID_Z_EN: 1
; COMPUTE_PGM_RSRC2:TIDIG_COMP_CNT: 0
	.section	.text._ZL26rocblas_hemvn_kernel_upperILb1ELi64ELi4ELi33ELi32ELi16Ei19rocblas_complex_numIfEPKS1_PS1_EviT6_lT7_lT5_lS6_lS7_lS5_lT8_i,"axG",@progbits,_ZL26rocblas_hemvn_kernel_upperILb1ELi64ELi4ELi33ELi32ELi16Ei19rocblas_complex_numIfEPKS1_PS1_EviT6_lT7_lT5_lS6_lS7_lS5_lT8_i,comdat
	.globl	_ZL26rocblas_hemvn_kernel_upperILb1ELi64ELi4ELi33ELi32ELi16Ei19rocblas_complex_numIfEPKS1_PS1_EviT6_lT7_lT5_lS6_lS7_lS5_lT8_i ; -- Begin function _ZL26rocblas_hemvn_kernel_upperILb1ELi64ELi4ELi33ELi32ELi16Ei19rocblas_complex_numIfEPKS1_PS1_EviT6_lT7_lT5_lS6_lS7_lS5_lT8_i
	.p2align	8
	.type	_ZL26rocblas_hemvn_kernel_upperILb1ELi64ELi4ELi33ELi32ELi16Ei19rocblas_complex_numIfEPKS1_PS1_EviT6_lT7_lT5_lS6_lS7_lS5_lT8_i,@function
_ZL26rocblas_hemvn_kernel_upperILb1ELi64ELi4ELi33ELi32ELi16Ei19rocblas_complex_numIfEPKS1_PS1_EviT6_lT7_lT5_lS6_lS7_lS5_lT8_i: ; @_ZL26rocblas_hemvn_kernel_upperILb1ELi64ELi4ELi33ELi32ELi16Ei19rocblas_complex_numIfEPKS1_PS1_EviT6_lT7_lT5_lS6_lS7_lS5_lT8_i
; %bb.0:
	s_clause 0x1
	s_load_b64 s[2:3], s[0:1], 0x84
	s_load_b32 s23, s[0:1], 0x70
	s_lshr_b32 s34, ttmp7, 16
	s_wait_kmcnt 0x0
	s_lshr_b32 s4, s2, 16
	s_and_b32 s2, s2, 0xffff
	s_and_b32 s3, s3, 0xffff
	s_mul_i32 s2, s4, s2
	s_delay_alu instid0(SALU_CYCLE_1) | instskip(NEXT) | instid1(SALU_CYCLE_1)
	s_mul_i32 s2, s2, s3
	s_cmp_lg_u32 s2, 0x100
	s_cselect_b32 s2, -1, 0
	s_cmp_ge_u32 s34, s23
	s_cselect_b32 s3, -1, 0
	s_delay_alu instid0(SALU_CYCLE_1) | instskip(NEXT) | instid1(SALU_CYCLE_1)
	s_or_b32 s2, s2, s3
	s_and_b32 vcc_lo, exec_lo, s2
	s_cbranch_vccnz .LBB6_187
; %bb.1:
	s_clause 0x6
	s_load_b32 s2, s[0:1], 0x0
	s_load_b32 s50, s[0:1], 0x28
	s_load_b64 s[12:13], s[0:1], 0x4
	s_load_b96 s[20:22], s[0:1], 0x40
	s_load_b128 s[4:7], s[0:1], 0x18
	s_load_b128 s[24:27], s[0:1], 0x50
	;; [unrolled: 1-line block ×3, first 2 shown]
	s_add_nc_u64 s[14:15], s[0:1], 0x78
	s_load_b64 s[10:11], s[0:1], 0x68
	s_load_b32 s36, s[14:15], 0x0
	v_dual_mov_b32 v63, 0 :: v_dual_and_b32 v56, 0x3ff, v0
	v_bfe_u32 v10, v0, 10, 10
	v_and_b32_e32 v1, 31, v0
	s_mov_b32 s35, 0
	s_mov_b32 s8, ttmp9
	s_mov_b32 s37, s35
	v_lshl_add_u32 v11, v10, 6, v56
	v_lshlrev_b32_e32 v12, 3, v1
	v_lshlrev_b32_e32 v115, 2, v10
	s_wait_kmcnt 0x0
	s_ashr_i32 s3, s2, 31
	s_ashr_i32 s51, s50, 31
	s_or_b32 s0, s12, s13
	s_lshl_b64 s[12:13], s[20:21], 3
	s_bitset0_b32 s0, 31
	s_lshl_b64 s[6:7], s[6:7], 3
	s_cmp_lg_u32 s0, 0
	v_lshrrev_b32_e32 v8, 5, v11
	s_cselect_b32 s67, -1, 0
	s_cmp_neq_f32 s26, 1.0
	s_add_nc_u64 s[12:13], s[30:31], s[12:13]
	s_add_nc_u64 s[4:5], s[4:5], s[6:7]
	s_mul_u64 s[30:31], s[36:37], s[2:3]
	s_cselect_b32 s46, -1, 0
	s_cmp_neq_f32 s27, 0
	v_lshlrev_b32_e32 v15, 2, v8
	v_add_nc_u32_e32 v9, 16, v8
	v_lshl_or_b32 v16, v1, 8, v12
	s_cselect_b32 s47, -1, 0
	s_lshl_b32 s44, ttmp9, 6
	s_lshr_b32 s1, s3, 26
	v_add_nc_u32_e32 v2, s44, v56
	s_add_co_i32 s1, s2, s1
	s_add_co_i32 s9, s36, -1
	s_and_not1_b32 s1, s1, 63
	v_and_b32_e32 v17, 0x7fe0, v11
	v_mul_lo_u32 v3, s22, v2
	s_sub_co_i32 s33, s2, s1
	v_mad_co_u64_u32 v[5:6], null, s50, v8, v[1:2]
	s_cmp_eq_u32 ttmp9, s9
	v_or_b32_e32 v19, 2, v15
	s_cselect_b32 s26, s33, 0
	v_mul_u32_u24_e32 v13, 0x108, v8
	v_ashrrev_i32_e32 v4, 31, v3
	s_cmp_lg_u32 s26, 0
	v_cmp_gt_i32_e32 vcc_lo, s26, v56
	s_cselect_b32 s62, -1, 0
	s_cmp_eq_u32 s26, 0
	v_lshlrev_b64_e32 v[3:4], 3, v[3:4]
	v_ashrrev_i32_e32 v6, 31, v5
	s_cselect_b32 s1, -1, 0
	s_ashr_i32 s9, ttmp9, 31
	s_or_b32 s48, s1, vcc_lo
	s_ashr_i32 s45, s44, 31
	v_add_co_u32 v103, vcc_lo, s12, v3
	s_delay_alu instid0(VALU_DEP_1)
	v_add_co_ci_u32_e64 v104, null, s13, v4, vcc_lo
	v_lshlrev_b64_e32 v[4:5], 3, v[5:6]
	s_mul_u64 s[6:7], s[2:3], s[8:9]
	s_wait_alu 0xfffe
	s_lshl_b64 s[2:3], s[44:45], 3
	s_lshl_b64 s[6:7], s[6:7], 3
	s_add_nc_u64 s[2:3], s[4:5], s[2:3]
	s_add_nc_u64 s[38:39], s[10:11], s[6:7]
	s_mul_i32 s6, s50, s44
	v_add_co_u32 v3, vcc_lo, s2, v4
	s_ashr_i32 s7, s6, 31
	s_wait_alu 0xfffd
	v_add_co_ci_u32_e64 v6, null, s3, v5, vcc_lo
	s_lshl_b64 s[2:3], s[6:7], 3
	s_sub_co_i32 s19, s26, 32
	s_wait_alu 0xfffe
	v_add_co_u32 v105, vcc_lo, v3, s2
	s_wait_alu 0xfffd
	v_add_co_ci_u32_e64 v106, null, s3, v6, vcc_lo
	v_sub_co_u32 v6, s2, 0, v1
	s_wait_alu 0xf1ff
	v_sub_co_ci_u32_e64 v7, null, 0, 0, s2
	v_add_nc_u32_e32 v3, 8, v8
	v_cmp_le_i32_e64 s2, s26, v8
	v_add_nc_u32_e32 v14, 24, v8
	v_cmp_le_i32_e64 s4, s26, v9
	v_add_nc_u32_e32 v108, v16, v17
	v_mul_u32_u24_e32 v16, 0x420, v8
	v_cmp_le_u32_e64 s10, v19, v1
	v_cmp_eq_u32_e64 s11, v19, v1
	v_lshlrev_b32_e32 v19, 3, v8
	v_cmp_le_i32_e64 s16, s19, v8
	v_cmp_le_i32_e64 s18, s19, v9
	v_cmp_eq_u32_e64 s20, 1, v8
	v_mul_i32_i24_e32 v116, 0xffffffe8, v8
	v_mad_co_u64_u32 v[8:9], null, s50, v115, v[56:57]
	v_lshlrev_b32_e32 v101, 3, v56
	s_lshl_b32 s40, s50, 3
	s_lshl_b32 s52, s50, 4
	s_mul_i32 s42, s50, 24
	s_lshl_b32 s56, s50, 5
	s_mul_i32 s44, s22, s44
	s_delay_alu instid0(VALU_DEP_2)
	v_ashrrev_i32_e32 v9, 31, v8
	s_add_co_i32 s49, ttmp9, 1
	s_xor_b32 s63, s48, -1
	s_ashr_i32 s27, s26, 31
	s_ashr_i32 s41, s40, 31
	;; [unrolled: 1-line block ×5, first 2 shown]
	s_wait_alu 0xfffe
	s_ashr_i32 s45, s44, 31
	v_cmp_le_i32_e64 s5, s26, v14
	v_cmp_le_i32_e64 s17, s19, v3
	;; [unrolled: 1-line block ×3, first 2 shown]
	s_cmp_lt_u32 s49, s36
	v_and_b32_e32 v14, 15, v0
	v_and_b32_e32 v0, 48, v0
	v_cmp_eq_u32_e64 s0, 0, v10
	v_cmp_le_i32_e64 s3, s26, v3
	v_cmp_gt_u32_e64 s14, 32, v11
	s_cselect_b32 s37, -1, 0
	v_lshrrev_b32_e32 v3, 4, v11
	s_lshl_b32 s65, s22, 6
	v_lshl_add_u32 v118, v10, 5, 0x2180
	v_mad_u32_u24 v119, 0x860, v10, v101
	v_cmp_gt_u32_e64 s21, 64, v11
	v_mad_u32_u24 v138, 0x218, v10, v101
	v_lshlrev_b64_e32 v[10:11], 3, v[8:9]
	s_mul_i32 s69, s22, s49
	v_add_co_u32 v8, s22, s56, v8
	s_wait_alu 0xf1ff
	v_add_co_ci_u32_e64 v9, null, s57, v9, s22
	v_lshlrev_b32_e32 v0, 3, v0
	v_sub_co_u32 v142, s22, 0, v4
	s_and_b32 s66, s0, s48
	s_lshl_b64 s[48:49], s[56:57], 3
	s_lshl_b32 s58, s50, 1
	s_mul_i32 s60, s50, 3
	s_or_b32 s68, s46, s47
	s_lshl_b64 s[46:47], s[50:51], 6
	s_lshl_b64 s[70:71], s[50:51], 3
	v_sub_co_ci_u32_e64 v143, null, 0, v5, s22
	v_lshlrev_b64_e32 v[4:5], 3, v[8:9]
	s_lshl_b64 s[50:51], s[50:51], 4
	v_mad_u32_u24 v121, 0x218, v14, v0
	v_add_co_u32 v0, vcc_lo, s48, v10
	s_mul_u64 s[56:57], s[52:53], 24
	s_wait_alu 0xfffe
	s_add_nc_u64 s[72:73], s[50:51], s[48:49]
	s_ashr_i32 s59, s58, 31
	s_wait_alu 0xfffd
	v_add_co_ci_u32_e64 v144, null, s49, v11, vcc_lo
	v_add_co_u32 v146, vcc_lo, s72, v10
	s_add_nc_u64 s[50:51], s[56:57], s[50:51]
	v_or_b32_e32 v145, 4, v0
	s_wait_alu 0xfffd
	v_add_co_ci_u32_e64 v147, null, s73, v11, vcc_lo
	s_wait_alu 0xfffe
	v_add_co_u32 v0, vcc_lo, s50, v4
	s_add_nc_u64 s[56:57], s[70:71], s[48:49]
	s_lshl_b64 s[58:59], s[58:59], 3
	s_ashr_i32 s61, s60, 31
	v_mad_co_i64_i32 v[57:58], null, s52, 24, v[4:5]
	s_wait_alu 0xfffd
	v_add_co_ci_u32_e64 v148, null, s51, v5, vcc_lo
	s_wait_alu 0xfffe
	v_add_co_u32 v4, vcc_lo, s56, v10
	s_add_nc_u64 s[50:51], s[48:49], s[58:59]
	v_cmp_le_u32_e64 s6, v15, v1
	v_cmp_eq_u32_e64 s7, v15, v1
	v_or_b32_e32 v18, 1, v15
	v_cmp_ge_u32_e64 s8, v15, v1
	v_or_b32_e32 v15, 3, v15
	s_lshl_b64 s[60:61], s[60:61], 3
	s_wait_alu 0xfffd
	v_add_co_ci_u32_e64 v149, null, s57, v11, vcc_lo
	s_wait_alu 0xfffe
	v_add_co_u32 v5, vcc_lo, s50, v10
	s_wait_alu 0xfffd
	v_add_co_ci_u32_e64 v150, null, s51, v11, vcc_lo
	s_add_nc_u64 s[50:51], s[48:49], s[60:61]
	v_cmp_le_u32_e64 s12, v15, v1
	v_cmp_eq_u32_e64 s13, v15, v1
	v_or_b32_e32 v15, 32, v1
	s_wait_alu 0xfffe
	v_add_co_u32 v8, vcc_lo, s50, v10
	s_wait_alu 0xfffd
	v_add_co_ci_u32_e64 v151, null, s51, v11, vcc_lo
	s_lshl_b64 s[50:51], s[52:53], 3
	s_lshl_b64 s[74:75], s[52:53], 4
	s_wait_alu 0xfffe
	s_add_nc_u64 s[76:77], s[48:49], s[50:51]
	s_add_nc_u64 s[78:79], s[74:75], s[48:49]
	v_add_nc_u32_e32 v113, 0x2380, v17
	v_cmp_gt_i32_e64 s15, s26, v15
	v_lshlrev_b32_e32 v15, 5, v3
	v_or_b32_e32 v17, 0x78, v101
	v_add_co_u32 v9, vcc_lo, s76, v10
	s_add_nc_u64 s[80:81], s[78:79], s[60:61]
	s_wait_alu 0xfffd
	v_add_co_ci_u32_e64 v152, null, s77, v11, vcc_lo
	v_add_co_u32 v153, vcc_lo, s80, v10
	s_add_nc_u64 s[56:57], s[56:57], s[50:51]
	v_mad_u32_u24 v120, 0x218, v14, v15
	v_mad_u32_u24 v122, 0x218, v14, v17
	s_wait_alu 0xfffd
	v_add_co_ci_u32_e64 v154, null, s81, v11, vcc_lo
	s_wait_alu 0xfffe
	v_add_co_u32 v14, vcc_lo, s56, v10
	s_wait_alu 0xfffd
	v_add_co_ci_u32_e64 v155, null, s57, v11, vcc_lo
	s_add_nc_u64 s[56:57], s[72:73], s[74:75]
	v_mul_u32_u24_e32 v20, 0x108, v18
	v_cmp_eq_u32_e64 s9, v18, v1
	v_mul_u32_u24_e32 v18, 33, v1
	s_wait_alu 0xfffe
	v_add_co_u32 v17, vcc_lo, s56, v10
	s_wait_alu 0xfffd
	v_add_co_ci_u32_e64 v156, null, s57, v11, vcc_lo
	s_add_nc_u64 s[56:57], s[76:77], s[58:59]
	v_lshlrev_b32_e32 v111, 3, v18
	s_wait_alu 0xfffe
	v_add_co_u32 v18, vcc_lo, s56, v10
	s_wait_alu 0xfffd
	v_add_co_ci_u32_e64 v157, null, s57, v11, vcc_lo
	s_add_nc_u64 s[56:57], s[78:79], s[58:59]
	v_add_nc_u32_e32 v114, v111, v19
	s_wait_alu 0xfffe
	v_add_co_u32 v158, vcc_lo, s56, v10
	s_wait_alu 0xfffd
	v_add_co_ci_u32_e64 v159, null, s57, v11, vcc_lo
	s_add_nc_u64 s[56:57], s[72:73], s[50:51]
	v_add_nc_u32_e32 v140, 0x2380, v19
	s_wait_alu 0xfffe
	v_add_co_u32 v160, vcc_lo, s56, v10
	s_wait_alu 0xfffd
	v_add_co_ci_u32_e64 v161, null, s57, v11, vcc_lo
	s_add_nc_u64 s[56:57], s[78:79], s[70:71]
	v_mul_i32_i24_e32 v15, 0xffffffe8, v3
	s_wait_alu 0xfffe
	v_add_co_u32 v162, vcc_lo, s56, v10
	s_wait_alu 0xfffd
	v_add_co_ci_u32_e64 v163, null, s57, v11, vcc_lo
	s_add_nc_u64 s[56:57], s[76:77], s[60:61]
	v_ashrrev_i32_e32 v3, 31, v2
	s_wait_alu 0xfffe
	v_add_co_u32 v19, vcc_lo, s56, v10
	s_wait_alu 0xfffd
	v_add_co_ci_u32_e64 v164, null, s57, v11, vcc_lo
	v_add_co_u32 v10, vcc_lo, s78, v10
	s_wait_alu 0xfffd
	v_add_co_ci_u32_e64 v165, null, s79, v11, vcc_lo
	;; [unrolled: 3-line block ×4, first 2 shown]
	v_add_co_u32 v185, vcc_lo, v57, s70
	v_lshlrev_b64_e32 v[59:60], 3, v[6:7]
	v_lshlrev_b64_e32 v[61:62], 3, v[2:3]
	v_add_nc_u32_e32 v102, 0x2380, v101
	v_cmp_gt_i32_e64 s1, s26, v1
	v_mad_u32_u24 v107, 0x108, v1, v12
	v_add_nc_u32_e32 v109, 8, v108
	v_add_nc_u32_e32 v110, 16, v108
	;; [unrolled: 1-line block ×4, first 2 shown]
	v_or_b32_e32 v123, 1, v115
	v_or_b32_e32 v124, 2, v115
	;; [unrolled: 1-line block ×3, first 2 shown]
	v_add_nc_u32_e32 v126, 16, v115
	v_add_nc_u32_e32 v127, 17, v115
	;; [unrolled: 1-line block ×12, first 2 shown]
	v_cndmask_b32_e64 v139, 0, 1, s67
	v_add_nc_u32_e32 v141, 64, v2
	v_or_b32_e32 v168, 4, v0
	v_or_b32_e32 v169, 4, v4
	v_add_nc_u32_e32 v170, v12, v13
	v_add_nc_u32_e32 v171, v12, v16
	;; [unrolled: 1-line block ×3, first 2 shown]
	v_lshlrev_b32_e32 v173, 3, v1
	v_or_b32_e32 v176, 4, v5
	v_or_b32_e32 v177, 4, v8
	v_or_b32_e32 v178, 4, v9
	v_or_b32_e32 v179, 4, v14
	v_or_b32_e32 v180, 4, v17
	v_or_b32_e32 v181, 4, v18
	v_or_b32_e32 v182, 4, v19
	v_or_b32_e32 v183, 4, v10
	v_add_nc_u32_e32 v184, v120, v15
	s_wait_alu 0xfffd
	v_add_co_ci_u32_e64 v186, null, s71, v58, vcc_lo
	s_sub_nc_u64 s[54:55], 0, s[44:45]
	s_add_co_i32 s64, s36, -2
	s_sub_nc_u64 s[44:45], 0, s[26:27]
	s_or_b32 s60, s68, s67
	s_lshl_b32 s61, s69, 6
	s_lshl_b64 s[52:53], s[52:53], 5
	s_lshl_b64 s[54:55], s[54:55], 3
	s_branch .LBB6_4
.LBB6_2:                                ;   in Loop: Header=BB6_4 Depth=1
	s_wait_alu 0xfffe
	s_or_b32 exec_lo, exec_lo, s22
.LBB6_3:                                ;   in Loop: Header=BB6_4 Depth=1
	s_add_co_i32 s34, s34, 0x10000
	s_delay_alu instid0(SALU_CYCLE_1)
	s_cmp_lt_u32 s34, s23
	s_cbranch_scc0 .LBB6_187
.LBB6_4:                                ; =>This Loop Header: Depth=1
                                        ;     Child Loop BB6_111 Depth 2
	s_wait_alu 0xfffe
	s_and_not1_b32 vcc_lo, exec_lo, s60
	s_wait_alu 0xfffe
	s_cbranch_vccnz .LBB6_3
; %bb.5:                                ;   in Loop: Header=BB6_4 Depth=1
	v_cmp_ne_u32_e32 vcc_lo, 1, v139
	s_cbranch_vccnz .LBB6_3
; %bb.6:                                ;   in Loop: Header=BB6_4 Depth=1
	s_mul_u64 s[56:57], s[24:25], s[34:35]
	s_wait_alu 0xfffe
	s_lshl_b64 s[56:57], s[56:57], 3
	s_wait_alu 0xfffe
	v_add_co_u32 v12, vcc_lo, v103, s56
	s_wait_alu 0xfffd
	v_add_co_ci_u32_e64 v13, null, s57, v104, vcc_lo
	s_and_saveexec_b32 s22, s0
	s_cbranch_execz .LBB6_11
; %bb.7:                                ;   in Loop: Header=BB6_4 Depth=1
	s_and_saveexec_b32 s56, s63
	s_wait_alu 0xfffe
	s_xor_b32 s56, exec_lo, s56
; %bb.8:                                ;   in Loop: Header=BB6_4 Depth=1
	v_mov_b32_e32 v64, v63
	ds_store_b64 v102, v[63:64]
; %bb.9:                                ;   in Loop: Header=BB6_4 Depth=1
	s_wait_alu 0xfffe
	s_and_not1_saveexec_b32 s56, s56
	s_cbranch_execz .LBB6_11
; %bb.10:                               ;   in Loop: Header=BB6_4 Depth=1
	global_load_b64 v[0:1], v[12:13], off
	s_wait_loadcnt 0x0
	ds_store_b64 v102, v[0:1]
.LBB6_11:                               ;   in Loop: Header=BB6_4 Depth=1
	s_wait_alu 0xfffe
	s_or_b32 exec_lo, exec_lo, s22
	s_mul_u64 s[56:57], s[28:29], s[34:35]
	s_mov_b32 s22, -1
	s_wait_alu 0xfffe
	s_lshl_b64 s[56:57], s[56:57], 3
                                        ; implicit-def: $vgpr0_vgpr1
	s_wait_alu 0xfffe
	v_add_co_u32 v2, vcc_lo, v105, s56
	s_wait_alu 0xfffd
	v_add_co_ci_u32_e64 v3, null, s57, v106, vcc_lo
	s_and_b32 vcc_lo, exec_lo, s62
	s_wait_alu 0xfffe
	s_cbranch_vccz .LBB6_23
; %bb.12:                               ;   in Loop: Header=BB6_4 Depth=1
	s_and_saveexec_b32 s22, s2
	s_wait_alu 0xfffe
	s_xor_b32 s22, exec_lo, s22
; %bb.13:                               ;   in Loop: Header=BB6_4 Depth=1
	v_mov_b32_e32 v64, v63
	ds_store_b64 v170, v[63:64]
; %bb.14:                               ;   in Loop: Header=BB6_4 Depth=1
	s_wait_alu 0xfffe
	s_or_saveexec_b32 s22, s22
	v_add_co_u32 v0, vcc_lo, v2, v59
	s_wait_alu 0xfffd
	v_add_co_ci_u32_e64 v1, null, v3, v60, vcc_lo
	s_lshl_b64 s[56:57], s[26:27], 3
	s_wait_alu 0xfffe
	v_add_co_u32 v0, vcc_lo, v0, s56
	s_wait_alu 0xfffd
	v_add_co_ci_u32_e64 v1, null, s57, v1, vcc_lo
	s_delay_alu instid0(VALU_DEP_2) | instskip(SKIP_1) | instid1(VALU_DEP_2)
	v_add_co_u32 v0, vcc_lo, v0, -8
	s_wait_alu 0xfffd
	v_add_co_ci_u32_e64 v1, null, -1, v1, vcc_lo
	s_delay_alu instid0(VALU_DEP_2) | instskip(NEXT) | instid1(VALU_DEP_2)
	v_cndmask_b32_e64 v0, v0, v2, s1
	v_cndmask_b32_e64 v1, v1, v3, s1
	s_xor_b32 exec_lo, exec_lo, s22
	s_cbranch_execnz .LBB6_169
; %bb.15:                               ;   in Loop: Header=BB6_4 Depth=1
	s_or_b32 exec_lo, exec_lo, s22
	s_and_saveexec_b32 s22, s3
	s_wait_alu 0xfffe
	s_xor_b32 s22, exec_lo, s22
	s_cbranch_execnz .LBB6_170
.LBB6_16:                               ;   in Loop: Header=BB6_4 Depth=1
	s_wait_alu 0xfffe
	s_and_not1_saveexec_b32 s22, s22
	s_cbranch_execnz .LBB6_171
.LBB6_17:                               ;   in Loop: Header=BB6_4 Depth=1
	s_wait_alu 0xfffe
	s_or_b32 exec_lo, exec_lo, s22
	s_and_saveexec_b32 s22, s4
	s_wait_alu 0xfffe
	s_xor_b32 s22, exec_lo, s22
	s_cbranch_execnz .LBB6_172
.LBB6_18:                               ;   in Loop: Header=BB6_4 Depth=1
	s_wait_alu 0xfffe
	s_and_not1_saveexec_b32 s22, s22
	s_cbranch_execnz .LBB6_173
.LBB6_19:                               ;   in Loop: Header=BB6_4 Depth=1
	s_wait_alu 0xfffe
	s_or_b32 exec_lo, exec_lo, s22
	s_and_saveexec_b32 s22, s5
	s_wait_alu 0xfffe
	s_xor_b32 s22, exec_lo, s22
	s_cbranch_execnz .LBB6_174
.LBB6_20:                               ;   in Loop: Header=BB6_4 Depth=1
	s_wait_alu 0xfffe
	s_and_not1_saveexec_b32 s22, s22
	s_cbranch_execz .LBB6_22
.LBB6_21:                               ;   in Loop: Header=BB6_4 Depth=1
	s_lshl_b64 s[56:57], s[42:43], 3
	s_wait_alu 0xfffe
	v_add_co_u32 v4, vcc_lo, v0, s56
	s_wait_alu 0xfffd
	v_add_co_ci_u32_e64 v5, null, s57, v1, vcc_lo
	global_load_b64 v[4:5], v[4:5], off
	s_wait_loadcnt 0x0
	ds_store_b64 v170, v[4:5] offset:6336
.LBB6_22:                               ;   in Loop: Header=BB6_4 Depth=1
	s_wait_alu 0xfffe
	s_or_b32 exec_lo, exec_lo, s22
	v_add_co_u32 v0, vcc_lo, v0, v173
	s_wait_alu 0xfffd
	v_add_co_ci_u32_e64 v1, null, 0, v1, vcc_lo
	s_lshl_b64 s[56:57], s[44:45], 3
	s_mov_b32 s22, 0
	s_wait_alu 0xfffe
	v_add_co_u32 v0, vcc_lo, v0, s56
	s_wait_alu 0xfffd
	v_add_co_ci_u32_e64 v1, null, s57, v1, vcc_lo
	s_delay_alu instid0(VALU_DEP_2) | instskip(SKIP_1) | instid1(VALU_DEP_2)
	v_add_co_u32 v0, vcc_lo, v0, 8
	s_wait_alu 0xfffd
	v_add_co_ci_u32_e64 v1, null, 0, v1, vcc_lo
	s_delay_alu instid0(VALU_DEP_2) | instskip(NEXT) | instid1(VALU_DEP_2)
	v_cndmask_b32_e64 v0, v0, v2, s1
	v_cndmask_b32_e64 v1, v1, v3, s1
.LBB6_23:                               ;   in Loop: Header=BB6_4 Depth=1
	s_and_b32 vcc_lo, exec_lo, s22
	s_wait_alu 0xfffe
	s_cbranch_vccz .LBB6_25
; %bb.24:                               ;   in Loop: Header=BB6_4 Depth=1
	s_lshl_b64 s[56:57], s[40:41], 3
	s_wait_alu 0xfffe
	v_add_co_u32 v0, vcc_lo, v2, s56
	s_wait_alu 0xfffd
	v_add_co_ci_u32_e64 v1, null, s57, v3, vcc_lo
	s_delay_alu instid0(VALU_DEP_2) | instskip(SKIP_1) | instid1(VALU_DEP_2)
	v_add_co_u32 v4, vcc_lo, v0, s46
	s_wait_alu 0xfffd
	v_add_co_ci_u32_e64 v5, null, s47, v1, vcc_lo
	s_delay_alu instid0(VALU_DEP_2) | instskip(SKIP_1) | instid1(VALU_DEP_2)
	v_add_co_u32 v6, vcc_lo, v4, s46
	s_wait_alu 0xfffd
	v_add_co_ci_u32_e64 v7, null, s47, v5, vcc_lo
	s_clause 0x3
	global_load_b64 v[8:9], v[2:3], off
	global_load_b64 v[10:11], v[0:1], off
	global_load_b64 v[4:5], v[4:5], off
	global_load_b64 v[6:7], v[6:7], off
	v_dual_mov_b32 v0, v2 :: v_dual_mov_b32 v1, v3
	s_wait_loadcnt 0x3
	ds_store_b64 v170, v[8:9]
	s_wait_loadcnt 0x2
	ds_store_b64 v170, v[10:11] offset:2112
	s_wait_loadcnt 0x1
	ds_store_b64 v170, v[4:5] offset:4224
	;; [unrolled: 2-line block ×3, first 2 shown]
.LBB6_25:                               ;   in Loop: Header=BB6_4 Depth=1
	s_mov_b32 s22, 0
	s_wait_dscnt 0x0
	s_barrier_signal -1
	s_barrier_wait -1
	global_inv scope:SCOPE_SE
	s_and_saveexec_b32 s56, s6
	s_wait_alu 0xfffe
	s_xor_b32 s56, exec_lo, s56
; %bb.26:                               ;   in Loop: Header=BB6_4 Depth=1
	s_and_b32 s22, s7, exec_lo
; %bb.27:                               ;   in Loop: Header=BB6_4 Depth=1
	s_wait_alu 0xfffe
	s_or_saveexec_b32 s56, s56
	v_dual_mov_b32 v2, 0 :: v_dual_mov_b32 v3, v107
	s_wait_alu 0xfffe
	s_xor_b32 exec_lo, exec_lo, s56
	s_cbranch_execz .LBB6_29
; %bb.28:                               ;   in Loop: Header=BB6_4 Depth=1
	ds_load_b64 v[4:5], v171
	v_mov_b32_e32 v3, v108
	s_or_b32 s22, s22, exec_lo
	s_wait_dscnt 0x0
	v_xor_b32_e32 v2, 0x80000000, v5
	ds_store_b32 v108, v4
.LBB6_29:                               ;   in Loop: Header=BB6_4 Depth=1
	s_or_b32 exec_lo, exec_lo, s56
	s_wait_alu 0xfffe
	s_and_saveexec_b32 s56, s22
; %bb.30:                               ;   in Loop: Header=BB6_4 Depth=1
	ds_store_b32 v3, v2 offset:4
; %bb.31:                               ;   in Loop: Header=BB6_4 Depth=1
	s_wait_alu 0xfffe
	s_or_b32 exec_lo, exec_lo, s56
	s_mov_b32 s22, 0
                                        ; implicit-def: $vgpr2
	s_and_saveexec_b32 s56, s8
	s_wait_alu 0xfffe
	s_xor_b32 s56, exec_lo, s56
	s_cbranch_execnz .LBB6_165
; %bb.32:                               ;   in Loop: Header=BB6_4 Depth=1
	s_wait_alu 0xfffe
	s_or_saveexec_b32 s56, s56
	v_mov_b32_e32 v3, v109
	s_wait_alu 0xfffe
	s_xor_b32 exec_lo, exec_lo, s56
	s_cbranch_execnz .LBB6_166
.LBB6_33:                               ;   in Loop: Header=BB6_4 Depth=1
	s_or_b32 exec_lo, exec_lo, s56
	s_and_saveexec_b32 s56, s22
.LBB6_34:                               ;   in Loop: Header=BB6_4 Depth=1
	ds_store_b32 v3, v2 offset:4
.LBB6_35:                               ;   in Loop: Header=BB6_4 Depth=1
	s_wait_alu 0xfffe
	s_or_b32 exec_lo, exec_lo, s56
	s_mov_b32 s22, 0
	s_and_saveexec_b32 s56, s10
	s_wait_alu 0xfffe
	s_xor_b32 s56, exec_lo, s56
; %bb.36:                               ;   in Loop: Header=BB6_4 Depth=1
	s_and_b32 s22, s11, exec_lo
; %bb.37:                               ;   in Loop: Header=BB6_4 Depth=1
	s_wait_alu 0xfffe
	s_or_saveexec_b32 s56, s56
	v_dual_mov_b32 v2, 0 :: v_dual_mov_b32 v3, v107
	s_wait_alu 0xfffe
	s_xor_b32 exec_lo, exec_lo, s56
	s_cbranch_execz .LBB6_39
; %bb.38:                               ;   in Loop: Header=BB6_4 Depth=1
	ds_load_b64 v[4:5], v172 offset:264
	v_mov_b32_e32 v3, v110
	s_or_b32 s22, s22, exec_lo
	s_wait_dscnt 0x0
	v_xor_b32_e32 v2, 0x80000000, v5
	ds_store_b32 v110, v4
.LBB6_39:                               ;   in Loop: Header=BB6_4 Depth=1
	s_or_b32 exec_lo, exec_lo, s56
	s_wait_alu 0xfffe
	s_and_saveexec_b32 s56, s22
; %bb.40:                               ;   in Loop: Header=BB6_4 Depth=1
	ds_store_b32 v3, v2 offset:4
; %bb.41:                               ;   in Loop: Header=BB6_4 Depth=1
	s_wait_alu 0xfffe
	s_or_b32 exec_lo, exec_lo, s56
	s_mov_b32 s22, 0
	s_and_saveexec_b32 s56, s12
	s_wait_alu 0xfffe
	s_xor_b32 s56, exec_lo, s56
; %bb.42:                               ;   in Loop: Header=BB6_4 Depth=1
	s_and_b32 s22, s13, exec_lo
; %bb.43:                               ;   in Loop: Header=BB6_4 Depth=1
	s_wait_alu 0xfffe
	s_or_saveexec_b32 s56, s56
	v_dual_mov_b32 v2, 0 :: v_dual_mov_b32 v3, v107
	s_wait_alu 0xfffe
	s_xor_b32 exec_lo, exec_lo, s56
	s_cbranch_execz .LBB6_45
; %bb.44:                               ;   in Loop: Header=BB6_4 Depth=1
	ds_load_b64 v[4:5], v172 offset:528
	v_mov_b32_e32 v3, v112
	s_or_b32 s22, s22, exec_lo
	s_wait_dscnt 0x0
	v_xor_b32_e32 v2, 0x80000000, v5
	ds_store_b32 v112, v4
.LBB6_45:                               ;   in Loop: Header=BB6_4 Depth=1
	s_or_b32 exec_lo, exec_lo, s56
	s_wait_alu 0xfffe
	s_and_saveexec_b32 s56, s22
; %bb.46:                               ;   in Loop: Header=BB6_4 Depth=1
	ds_store_b32 v3, v2 offset:4
; %bb.47:                               ;   in Loop: Header=BB6_4 Depth=1
	s_wait_alu 0xfffe
	s_or_b32 exec_lo, exec_lo, s56
	s_wait_loadcnt_dscnt 0x0
	s_barrier_signal -1
	s_barrier_wait -1
	global_inv scope:SCOPE_SE
	ds_load_b64 v[10:11], v171
	ds_load_b128 v[2:5], v113
	ds_load_2addr_b64 v[6:9], v172 offset1:33
	ds_load_b128 v[14:17], v113 offset:16
	ds_load_b64 v[18:19], v172 offset:528
	s_wait_loadcnt_dscnt 0x0
	s_barrier_signal -1
	s_barrier_wait -1
	global_inv scope:SCOPE_SE
	v_mov_b32_e32 v66, 0
	v_mul_f32_e32 v20, v3, v11
	v_dual_mul_f32 v11, v2, v11 :: v_dual_mul_f32 v22, v15, v9
	v_mul_f32_e32 v9, v14, v9
	s_delay_alu instid0(VALU_DEP_3) | instskip(SKIP_1) | instid1(VALU_DEP_4)
	v_fma_f32 v2, v2, v10, -v20
	v_mul_f32_e32 v21, v5, v7
	v_fmac_f32_e32 v11, v3, v10
	s_delay_alu instid0(VALU_DEP_4) | instskip(SKIP_3) | instid1(VALU_DEP_1)
	v_fmac_f32_e32 v9, v15, v8
	v_fma_f32 v10, v14, v8, -v22
	v_dual_add_f32 v2, 0, v2 :: v_dual_mul_f32 v7, v4, v7
	v_fma_f32 v4, v4, v6, -v21
	v_dual_add_f32 v2, v2, v4 :: v_dual_fmac_f32 v7, v5, v6
	v_mul_f32_e32 v6, v16, v19
	v_add_f32_e32 v5, 0, v11
	s_delay_alu instid0(VALU_DEP_3) | instskip(NEXT) | instid1(VALU_DEP_3)
	v_dual_mul_f32 v3, v17, v19 :: v_dual_add_f32 v2, v2, v10
	v_fmac_f32_e32 v6, v17, v18
	s_delay_alu instid0(VALU_DEP_3) | instskip(NEXT) | instid1(VALU_DEP_3)
	v_add_f32_e32 v4, v5, v7
	v_fma_f32 v3, v16, v18, -v3
	s_delay_alu instid0(VALU_DEP_2) | instskip(NEXT) | instid1(VALU_DEP_1)
	v_dual_mov_b32 v65, 0 :: v_dual_add_f32 v4, v4, v9
	v_dual_add_f32 v2, v2, v3 :: v_dual_add_f32 v3, v4, v6
	ds_store_b64 v114, v[2:3]
	s_wait_loadcnt_dscnt 0x0
	s_barrier_signal -1
	s_barrier_wait -1
	global_inv scope:SCOPE_SE
	s_and_saveexec_b32 s22, s14
	s_cbranch_execz .LBB6_49
; %bb.48:                               ;   in Loop: Header=BB6_4 Depth=1
	ds_load_2addr_b64 v[2:5], v111 offset1:7
	ds_load_2addr_b64 v[6:9], v111 offset0:1 offset1:2
	ds_load_2addr_b64 v[14:17], v111 offset0:3 offset1:4
	;; [unrolled: 1-line block ×3, first 2 shown]
	s_wait_dscnt 0x2
	v_dual_add_f32 v2, v6, v2 :: v_dual_add_f32 v3, v7, v3
	s_delay_alu instid0(VALU_DEP_1) | instskip(SKIP_1) | instid1(VALU_DEP_1)
	v_dual_add_f32 v2, v8, v2 :: v_dual_add_f32 v3, v9, v3
	s_wait_dscnt 0x1
	v_dual_add_f32 v2, v2, v14 :: v_dual_add_f32 v3, v3, v15
	s_delay_alu instid0(VALU_DEP_1) | instskip(SKIP_1) | instid1(VALU_DEP_1)
	v_dual_add_f32 v2, v2, v16 :: v_dual_add_f32 v3, v3, v17
	s_wait_dscnt 0x0
	v_dual_add_f32 v2, v2, v18 :: v_dual_add_f32 v3, v3, v19
	s_delay_alu instid0(VALU_DEP_1) | instskip(NEXT) | instid1(VALU_DEP_1)
	v_dual_add_f32 v2, v2, v20 :: v_dual_add_f32 v3, v3, v21
	v_dual_add_f32 v65, v2, v4 :: v_dual_add_f32 v66, v3, v5
.LBB6_49:                               ;   in Loop: Header=BB6_4 Depth=1
	s_wait_alu 0xfffe
	s_or_b32 exec_lo, exec_lo, s22
	v_add_co_u32 v4, vcc_lo, v0, s48
	s_wait_alu 0xfffd
	v_add_co_ci_u32_e64 v5, null, s49, v1, vcc_lo
	s_mov_b32 s22, -1
	v_add_co_u32 v2, vcc_lo, 0x100, v4
	s_wait_alu 0xfffd
	v_add_co_ci_u32_e64 v3, null, 0, v5, vcc_lo
	s_and_b32 vcc_lo, exec_lo, s62
	s_wait_loadcnt 0x0
	s_barrier_signal -1
	s_barrier_wait -1
	global_inv scope:SCOPE_SE
                                        ; implicit-def: $vgpr0_vgpr1
	s_wait_alu 0xfffe
	s_cbranch_vccz .LBB6_61
; %bb.50:                               ;   in Loop: Header=BB6_4 Depth=1
	s_and_saveexec_b32 s22, s16
	s_wait_alu 0xfffe
	s_xor_b32 s22, exec_lo, s22
; %bb.51:                               ;   in Loop: Header=BB6_4 Depth=1
	v_mov_b32_e32 v64, v63
	ds_store_b64 v170, v[63:64]
; %bb.52:                               ;   in Loop: Header=BB6_4 Depth=1
	s_wait_alu 0xfffe
	s_or_saveexec_b32 s22, s22
	v_add_co_u32 v0, vcc_lo, v4, v59
	s_wait_alu 0xfffd
	v_add_co_ci_u32_e64 v1, null, v5, v60, vcc_lo
	s_lshl_b64 s[56:57], s[26:27], 3
	s_wait_alu 0xfffe
	v_add_co_u32 v0, vcc_lo, v0, s56
	s_wait_alu 0xfffd
	v_add_co_ci_u32_e64 v1, null, s57, v1, vcc_lo
	s_delay_alu instid0(VALU_DEP_2) | instskip(SKIP_1) | instid1(VALU_DEP_2)
	v_add_co_u32 v0, vcc_lo, v0, -8
	s_wait_alu 0xfffd
	v_add_co_ci_u32_e64 v1, null, -1, v1, vcc_lo
	s_delay_alu instid0(VALU_DEP_2) | instskip(NEXT) | instid1(VALU_DEP_2)
	v_cndmask_b32_e64 v0, v0, v2, s15
	v_cndmask_b32_e64 v1, v1, v3, s15
	s_xor_b32 exec_lo, exec_lo, s22
	s_cbranch_execnz .LBB6_175
; %bb.53:                               ;   in Loop: Header=BB6_4 Depth=1
	s_or_b32 exec_lo, exec_lo, s22
	s_and_saveexec_b32 s22, s17
	s_wait_alu 0xfffe
	s_xor_b32 s22, exec_lo, s22
	s_cbranch_execnz .LBB6_176
.LBB6_54:                               ;   in Loop: Header=BB6_4 Depth=1
	s_wait_alu 0xfffe
	s_and_not1_saveexec_b32 s22, s22
	s_cbranch_execnz .LBB6_177
.LBB6_55:                               ;   in Loop: Header=BB6_4 Depth=1
	s_wait_alu 0xfffe
	s_or_b32 exec_lo, exec_lo, s22
	s_and_saveexec_b32 s22, s18
	s_wait_alu 0xfffe
	s_xor_b32 s22, exec_lo, s22
	s_cbranch_execnz .LBB6_178
.LBB6_56:                               ;   in Loop: Header=BB6_4 Depth=1
	s_wait_alu 0xfffe
	s_and_not1_saveexec_b32 s22, s22
	s_cbranch_execnz .LBB6_179
.LBB6_57:                               ;   in Loop: Header=BB6_4 Depth=1
	s_wait_alu 0xfffe
	s_or_b32 exec_lo, exec_lo, s22
	s_and_saveexec_b32 s22, s19
	s_wait_alu 0xfffe
	s_xor_b32 s22, exec_lo, s22
	s_cbranch_execnz .LBB6_180
.LBB6_58:                               ;   in Loop: Header=BB6_4 Depth=1
	s_wait_alu 0xfffe
	s_and_not1_saveexec_b32 s22, s22
	s_cbranch_execz .LBB6_60
.LBB6_59:                               ;   in Loop: Header=BB6_4 Depth=1
	s_lshl_b64 s[56:57], s[42:43], 3
	s_wait_alu 0xfffe
	v_add_co_u32 v6, vcc_lo, v0, s56
	s_wait_alu 0xfffd
	v_add_co_ci_u32_e64 v7, null, s57, v1, vcc_lo
	global_load_b64 v[6:7], v[6:7], off
	s_wait_loadcnt 0x0
	ds_store_b64 v170, v[6:7] offset:6336
.LBB6_60:                               ;   in Loop: Header=BB6_4 Depth=1
	s_wait_alu 0xfffe
	s_or_b32 exec_lo, exec_lo, s22
	v_add_co_u32 v0, vcc_lo, v0, v173
	s_wait_alu 0xfffd
	v_add_co_ci_u32_e64 v1, null, 0, v1, vcc_lo
	s_lshl_b64 s[56:57], s[44:45], 3
	s_mov_b32 s22, 0
	s_wait_alu 0xfffe
	v_add_co_u32 v0, vcc_lo, v0, s56
	s_wait_alu 0xfffd
	v_add_co_ci_u32_e64 v1, null, s57, v1, vcc_lo
	s_delay_alu instid0(VALU_DEP_2) | instskip(SKIP_1) | instid1(VALU_DEP_2)
	v_add_co_u32 v0, vcc_lo, 0x108, v0
	s_wait_alu 0xfffd
	v_add_co_ci_u32_e64 v1, null, 0, v1, vcc_lo
	s_delay_alu instid0(VALU_DEP_2) | instskip(NEXT) | instid1(VALU_DEP_2)
	v_cndmask_b32_e64 v0, v0, v2, s15
	v_cndmask_b32_e64 v1, v1, v3, s15
.LBB6_61:                               ;   in Loop: Header=BB6_4 Depth=1
	s_and_b32 vcc_lo, exec_lo, s22
	s_wait_alu 0xfffe
	s_cbranch_vccz .LBB6_63
; %bb.62:                               ;   in Loop: Header=BB6_4 Depth=1
	s_lshl_b64 s[56:57], s[40:41], 3
	s_wait_alu 0xfffe
	v_add_co_u32 v0, vcc_lo, v4, s56
	s_wait_alu 0xfffd
	v_add_co_ci_u32_e64 v1, null, s57, v5, vcc_lo
	s_delay_alu instid0(VALU_DEP_2) | instskip(SKIP_1) | instid1(VALU_DEP_2)
	v_add_co_u32 v6, vcc_lo, v0, s46
	s_wait_alu 0xfffd
	v_add_co_ci_u32_e64 v7, null, s47, v1, vcc_lo
	s_delay_alu instid0(VALU_DEP_2) | instskip(SKIP_1) | instid1(VALU_DEP_2)
	v_add_co_u32 v8, vcc_lo, v6, s46
	s_wait_alu 0xfffd
	v_add_co_ci_u32_e64 v9, null, s47, v7, vcc_lo
	s_clause 0x3
	global_load_b64 v[4:5], v[4:5], off offset:256
	global_load_b64 v[10:11], v[0:1], off offset:256
	;; [unrolled: 1-line block ×4, first 2 shown]
	v_dual_mov_b32 v0, v2 :: v_dual_mov_b32 v1, v3
	s_wait_loadcnt 0x3
	ds_store_b64 v170, v[4:5]
	s_wait_loadcnt 0x2
	ds_store_b64 v170, v[10:11] offset:2112
	s_wait_loadcnt 0x1
	ds_store_b64 v170, v[6:7] offset:4224
	;; [unrolled: 2-line block ×3, first 2 shown]
.LBB6_63:                               ;   in Loop: Header=BB6_4 Depth=1
	s_mov_b32 s22, 0
	s_wait_loadcnt_dscnt 0x0
	s_barrier_signal -1
	s_barrier_wait -1
	global_inv scope:SCOPE_SE
	s_and_saveexec_b32 s56, s6
	s_wait_alu 0xfffe
	s_xor_b32 s56, exec_lo, s56
; %bb.64:                               ;   in Loop: Header=BB6_4 Depth=1
	s_and_b32 s22, s7, exec_lo
; %bb.65:                               ;   in Loop: Header=BB6_4 Depth=1
	s_wait_alu 0xfffe
	s_or_saveexec_b32 s56, s56
	v_dual_mov_b32 v2, 0 :: v_dual_mov_b32 v3, v107
	s_wait_alu 0xfffe
	s_xor_b32 exec_lo, exec_lo, s56
	s_cbranch_execz .LBB6_67
; %bb.66:                               ;   in Loop: Header=BB6_4 Depth=1
	ds_load_b64 v[4:5], v171
	v_mov_b32_e32 v3, v108
	s_or_b32 s22, s22, exec_lo
	s_wait_dscnt 0x0
	v_xor_b32_e32 v2, 0x80000000, v5
	ds_store_b32 v108, v4
.LBB6_67:                               ;   in Loop: Header=BB6_4 Depth=1
	s_or_b32 exec_lo, exec_lo, s56
	s_wait_alu 0xfffe
	s_and_saveexec_b32 s56, s22
; %bb.68:                               ;   in Loop: Header=BB6_4 Depth=1
	ds_store_b32 v3, v2 offset:4
; %bb.69:                               ;   in Loop: Header=BB6_4 Depth=1
	s_wait_alu 0xfffe
	s_or_b32 exec_lo, exec_lo, s56
	s_mov_b32 s22, 0
                                        ; implicit-def: $vgpr2
	s_and_saveexec_b32 s56, s8
	s_wait_alu 0xfffe
	s_xor_b32 s56, exec_lo, s56
	s_cbranch_execnz .LBB6_167
; %bb.70:                               ;   in Loop: Header=BB6_4 Depth=1
	s_wait_alu 0xfffe
	s_or_saveexec_b32 s56, s56
	v_mov_b32_e32 v3, v109
	s_wait_alu 0xfffe
	s_xor_b32 exec_lo, exec_lo, s56
	s_cbranch_execnz .LBB6_168
.LBB6_71:                               ;   in Loop: Header=BB6_4 Depth=1
	s_or_b32 exec_lo, exec_lo, s56
	s_and_saveexec_b32 s56, s22
.LBB6_72:                               ;   in Loop: Header=BB6_4 Depth=1
	ds_store_b32 v3, v2 offset:4
.LBB6_73:                               ;   in Loop: Header=BB6_4 Depth=1
	s_wait_alu 0xfffe
	s_or_b32 exec_lo, exec_lo, s56
	s_mov_b32 s22, 0
	s_and_saveexec_b32 s56, s10
	s_wait_alu 0xfffe
	s_xor_b32 s56, exec_lo, s56
; %bb.74:                               ;   in Loop: Header=BB6_4 Depth=1
	s_and_b32 s22, s11, exec_lo
; %bb.75:                               ;   in Loop: Header=BB6_4 Depth=1
	s_wait_alu 0xfffe
	s_or_saveexec_b32 s56, s56
	v_dual_mov_b32 v2, 0 :: v_dual_mov_b32 v3, v107
	s_wait_alu 0xfffe
	s_xor_b32 exec_lo, exec_lo, s56
	s_cbranch_execz .LBB6_77
; %bb.76:                               ;   in Loop: Header=BB6_4 Depth=1
	ds_load_b64 v[4:5], v172 offset:264
	v_mov_b32_e32 v3, v110
	s_or_b32 s22, s22, exec_lo
	s_wait_dscnt 0x0
	v_xor_b32_e32 v2, 0x80000000, v5
	ds_store_b32 v110, v4
.LBB6_77:                               ;   in Loop: Header=BB6_4 Depth=1
	s_or_b32 exec_lo, exec_lo, s56
	s_wait_alu 0xfffe
	s_and_saveexec_b32 s56, s22
; %bb.78:                               ;   in Loop: Header=BB6_4 Depth=1
	ds_store_b32 v3, v2 offset:4
; %bb.79:                               ;   in Loop: Header=BB6_4 Depth=1
	s_wait_alu 0xfffe
	s_or_b32 exec_lo, exec_lo, s56
	s_mov_b32 s22, 0
	s_and_saveexec_b32 s56, s12
	s_wait_alu 0xfffe
	s_xor_b32 s56, exec_lo, s56
; %bb.80:                               ;   in Loop: Header=BB6_4 Depth=1
	s_and_b32 s22, s13, exec_lo
; %bb.81:                               ;   in Loop: Header=BB6_4 Depth=1
	s_wait_alu 0xfffe
	s_or_saveexec_b32 s56, s56
	v_dual_mov_b32 v2, 0 :: v_dual_mov_b32 v3, v107
	s_wait_alu 0xfffe
	s_xor_b32 exec_lo, exec_lo, s56
	s_cbranch_execz .LBB6_83
; %bb.82:                               ;   in Loop: Header=BB6_4 Depth=1
	ds_load_b64 v[4:5], v172 offset:528
	v_mov_b32_e32 v3, v112
	s_or_b32 s22, s22, exec_lo
	s_wait_dscnt 0x0
	v_xor_b32_e32 v2, 0x80000000, v5
	ds_store_b32 v112, v4
.LBB6_83:                               ;   in Loop: Header=BB6_4 Depth=1
	s_or_b32 exec_lo, exec_lo, s56
	s_wait_alu 0xfffe
	s_and_saveexec_b32 s56, s22
; %bb.84:                               ;   in Loop: Header=BB6_4 Depth=1
	ds_store_b32 v3, v2 offset:4
; %bb.85:                               ;   in Loop: Header=BB6_4 Depth=1
	s_wait_alu 0xfffe
	s_or_b32 exec_lo, exec_lo, s56
	s_wait_loadcnt_dscnt 0x0
	s_barrier_signal -1
	s_barrier_wait -1
	global_inv scope:SCOPE_SE
	ds_load_b64 v[10:11], v171
	ds_load_b128 v[2:5], v113 offset:256
	ds_load_2addr_b64 v[6:9], v172 offset1:33
	ds_load_b128 v[14:17], v113 offset:272
	ds_load_b64 v[18:19], v172 offset:528
	s_wait_loadcnt_dscnt 0x0
	s_barrier_signal -1
	s_barrier_wait -1
	global_inv scope:SCOPE_SE
	v_mul_f32_e32 v20, v3, v11
	v_dual_mul_f32 v11, v2, v11 :: v_dual_mul_f32 v22, v15, v9
	v_mul_f32_e32 v9, v14, v9
	s_delay_alu instid0(VALU_DEP_3) | instskip(SKIP_1) | instid1(VALU_DEP_4)
	v_fma_f32 v2, v2, v10, -v20
	v_mul_f32_e32 v21, v5, v7
	v_fmac_f32_e32 v11, v3, v10
	s_delay_alu instid0(VALU_DEP_4) | instskip(SKIP_3) | instid1(VALU_DEP_1)
	v_fmac_f32_e32 v9, v15, v8
	v_fma_f32 v10, v14, v8, -v22
	v_dual_add_f32 v2, 0, v2 :: v_dual_mul_f32 v7, v4, v7
	v_fma_f32 v4, v4, v6, -v21
	v_dual_add_f32 v2, v2, v4 :: v_dual_fmac_f32 v7, v5, v6
	v_mul_f32_e32 v6, v16, v19
	v_add_f32_e32 v5, 0, v11
	s_delay_alu instid0(VALU_DEP_3) | instskip(NEXT) | instid1(VALU_DEP_3)
	v_dual_mul_f32 v3, v17, v19 :: v_dual_add_f32 v2, v2, v10
	v_fmac_f32_e32 v6, v17, v18
	s_delay_alu instid0(VALU_DEP_3) | instskip(NEXT) | instid1(VALU_DEP_3)
	v_add_f32_e32 v4, v5, v7
	v_fma_f32 v3, v16, v18, -v3
	s_delay_alu instid0(VALU_DEP_2) | instskip(NEXT) | instid1(VALU_DEP_1)
	v_add_f32_e32 v4, v4, v9
	v_dual_add_f32 v2, v2, v3 :: v_dual_add_f32 v3, v4, v6
	ds_store_b64 v114, v[2:3]
	s_wait_loadcnt_dscnt 0x0
	s_barrier_signal -1
	s_barrier_wait -1
	global_inv scope:SCOPE_SE
	s_and_saveexec_b32 s22, s20
	s_cbranch_execz .LBB6_87
; %bb.86:                               ;   in Loop: Header=BB6_4 Depth=1
	ds_load_2addr_b64 v[2:5], v111 offset1:7
	ds_load_2addr_b64 v[6:9], v111 offset0:1 offset1:2
	ds_load_2addr_b64 v[14:17], v111 offset0:3 offset1:4
	;; [unrolled: 1-line block ×3, first 2 shown]
	s_wait_dscnt 0x2
	v_dual_add_f32 v2, v6, v2 :: v_dual_add_f32 v3, v7, v3
	s_delay_alu instid0(VALU_DEP_1) | instskip(SKIP_1) | instid1(VALU_DEP_1)
	v_dual_add_f32 v2, v8, v2 :: v_dual_add_f32 v3, v9, v3
	s_wait_dscnt 0x1
	v_dual_add_f32 v2, v2, v14 :: v_dual_add_f32 v3, v3, v15
	s_delay_alu instid0(VALU_DEP_1) | instskip(SKIP_1) | instid1(VALU_DEP_1)
	v_dual_add_f32 v2, v2, v16 :: v_dual_add_f32 v3, v3, v17
	s_wait_dscnt 0x0
	v_dual_add_f32 v2, v2, v18 :: v_dual_add_f32 v3, v3, v19
	s_delay_alu instid0(VALU_DEP_1) | instskip(NEXT) | instid1(VALU_DEP_1)
	v_dual_add_f32 v2, v2, v20 :: v_dual_add_f32 v3, v3, v21
	v_dual_add_f32 v65, v2, v4 :: v_dual_add_f32 v66, v3, v5
.LBB6_87:                               ;   in Loop: Header=BB6_4 Depth=1
	s_wait_alu 0xfffe
	s_or_b32 exec_lo, exec_lo, s22
	v_add_co_u32 v2, vcc_lo, 0xffffff00, v0
	s_wait_alu 0xfffd
	v_add_co_ci_u32_e64 v3, null, -1, v1, vcc_lo
	s_and_b32 vcc_lo, exec_lo, s62
	s_mov_b32 s22, -1
	s_wait_loadcnt 0x0
	s_barrier_signal -1
	s_barrier_wait -1
	global_inv scope:SCOPE_SE
                                        ; implicit-def: $vgpr14_vgpr15
	s_wait_alu 0xfffe
	s_cbranch_vccz .LBB6_99
; %bb.88:                               ;   in Loop: Header=BB6_4 Depth=1
	s_and_saveexec_b32 s22, s16
	s_wait_alu 0xfffe
	s_xor_b32 s22, exec_lo, s22
; %bb.89:                               ;   in Loop: Header=BB6_4 Depth=1
	v_mov_b32_e32 v64, v63
	ds_store_b64 v170, v[63:64]
; %bb.90:                               ;   in Loop: Header=BB6_4 Depth=1
	s_wait_alu 0xfffe
	s_or_saveexec_b32 s22, s22
	v_add_co_u32 v4, vcc_lo, v0, v59
	s_wait_alu 0xfffd
	v_add_co_ci_u32_e64 v5, null, v1, v60, vcc_lo
	s_lshl_b64 s[56:57], s[26:27], 3
	s_wait_alu 0xfffe
	v_add_co_u32 v4, vcc_lo, v4, s56
	s_wait_alu 0xfffd
	v_add_co_ci_u32_e64 v5, null, s57, v5, vcc_lo
	s_delay_alu instid0(VALU_DEP_2) | instskip(SKIP_1) | instid1(VALU_DEP_2)
	v_add_co_u32 v4, vcc_lo, 0xfffffef8, v4
	s_wait_alu 0xfffd
	v_add_co_ci_u32_e64 v5, null, -1, v5, vcc_lo
	s_delay_alu instid0(VALU_DEP_2) | instskip(NEXT) | instid1(VALU_DEP_2)
	v_cndmask_b32_e64 v4, v4, v2, s1
	v_cndmask_b32_e64 v5, v5, v3, s1
	s_xor_b32 exec_lo, exec_lo, s22
	s_cbranch_execnz .LBB6_181
; %bb.91:                               ;   in Loop: Header=BB6_4 Depth=1
	s_or_b32 exec_lo, exec_lo, s22
	s_and_saveexec_b32 s22, s17
	s_wait_alu 0xfffe
	s_xor_b32 s22, exec_lo, s22
	s_cbranch_execnz .LBB6_182
.LBB6_92:                               ;   in Loop: Header=BB6_4 Depth=1
	s_wait_alu 0xfffe
	s_and_not1_saveexec_b32 s22, s22
	s_cbranch_execnz .LBB6_183
.LBB6_93:                               ;   in Loop: Header=BB6_4 Depth=1
	s_wait_alu 0xfffe
	s_or_b32 exec_lo, exec_lo, s22
	s_and_saveexec_b32 s22, s18
	s_wait_alu 0xfffe
	s_xor_b32 s22, exec_lo, s22
	s_cbranch_execnz .LBB6_184
.LBB6_94:                               ;   in Loop: Header=BB6_4 Depth=1
	s_wait_alu 0xfffe
	s_and_not1_saveexec_b32 s22, s22
	s_cbranch_execnz .LBB6_185
.LBB6_95:                               ;   in Loop: Header=BB6_4 Depth=1
	s_wait_alu 0xfffe
	s_or_b32 exec_lo, exec_lo, s22
	s_and_saveexec_b32 s22, s19
	s_wait_alu 0xfffe
	s_xor_b32 s22, exec_lo, s22
	s_cbranch_execnz .LBB6_186
.LBB6_96:                               ;   in Loop: Header=BB6_4 Depth=1
	s_wait_alu 0xfffe
	s_and_not1_saveexec_b32 s22, s22
	s_cbranch_execz .LBB6_98
.LBB6_97:                               ;   in Loop: Header=BB6_4 Depth=1
	s_lshl_b64 s[56:57], s[42:43], 3
	s_wait_alu 0xfffe
	v_add_co_u32 v6, vcc_lo, v4, s56
	s_wait_alu 0xfffd
	v_add_co_ci_u32_e64 v7, null, s57, v5, vcc_lo
	global_load_b64 v[6:7], v[6:7], off
	s_wait_loadcnt 0x0
	ds_store_b64 v170, v[6:7] offset:6336
.LBB6_98:                               ;   in Loop: Header=BB6_4 Depth=1
	s_wait_alu 0xfffe
	s_or_b32 exec_lo, exec_lo, s22
	v_add_co_u32 v4, vcc_lo, v4, v173
	s_wait_alu 0xfffd
	v_add_co_ci_u32_e64 v5, null, 0, v5, vcc_lo
	s_lshl_b64 s[56:57], s[44:45], 3
	s_mov_b32 s22, 0
	s_wait_alu 0xfffe
	v_add_co_u32 v4, vcc_lo, v4, s56
	s_wait_alu 0xfffd
	v_add_co_ci_u32_e64 v5, null, s57, v5, vcc_lo
	s_delay_alu instid0(VALU_DEP_2) | instskip(SKIP_1) | instid1(VALU_DEP_2)
	v_add_co_u32 v4, vcc_lo, v4, 8
	s_wait_alu 0xfffd
	v_add_co_ci_u32_e64 v5, null, 0, v5, vcc_lo
	s_delay_alu instid0(VALU_DEP_2) | instskip(NEXT) | instid1(VALU_DEP_2)
	v_cndmask_b32_e64 v14, v4, v2, s1
	v_cndmask_b32_e64 v15, v5, v3, s1
.LBB6_99:                               ;   in Loop: Header=BB6_4 Depth=1
	s_and_b32 vcc_lo, exec_lo, s22
	s_wait_alu 0xfffe
	s_cbranch_vccz .LBB6_101
; %bb.100:                              ;   in Loop: Header=BB6_4 Depth=1
	s_lshl_b64 s[56:57], s[40:41], 3
	v_dual_mov_b32 v15, v3 :: v_dual_mov_b32 v14, v2
	s_wait_alu 0xfffe
	v_add_co_u32 v4, vcc_lo, v0, s56
	s_wait_alu 0xfffd
	v_add_co_ci_u32_e64 v5, null, s57, v1, vcc_lo
	s_delay_alu instid0(VALU_DEP_2) | instskip(SKIP_1) | instid1(VALU_DEP_2)
	v_add_co_u32 v6, vcc_lo, v4, s46
	s_wait_alu 0xfffd
	v_add_co_ci_u32_e64 v7, null, s47, v5, vcc_lo
	s_delay_alu instid0(VALU_DEP_2) | instskip(SKIP_1) | instid1(VALU_DEP_2)
	v_add_co_u32 v8, vcc_lo, v6, s46
	s_wait_alu 0xfffd
	v_add_co_ci_u32_e64 v9, null, s47, v7, vcc_lo
	s_clause 0x3
	global_load_b64 v[0:1], v[0:1], off offset:-256
	global_load_b64 v[4:5], v[4:5], off offset:-256
	;; [unrolled: 1-line block ×4, first 2 shown]
	s_wait_loadcnt 0x3
	ds_store_b64 v170, v[0:1]
	s_wait_loadcnt 0x2
	ds_store_b64 v170, v[4:5] offset:2112
	s_wait_loadcnt 0x1
	ds_store_b64 v170, v[6:7] offset:4224
	;; [unrolled: 2-line block ×3, first 2 shown]
.LBB6_101:                              ;   in Loop: Header=BB6_4 Depth=1
	v_add_nc_u32_e32 v0, v108, v116
	v_add_nc_u32_e32 v1, v113, v116
	s_wait_loadcnt_dscnt 0x0
	s_barrier_signal -1
	s_barrier_wait -1
	global_inv scope:SCOPE_SE
	ds_load_2addr_b64 v[20:23], v114 offset0:8 offset1:16
	ds_load_2addr_b64 v[24:27], v140 offset0:8 offset1:16
	ds_load_b64 v[28:29], v0
	ds_load_b64 v[30:31], v1
	ds_load_b64 v[32:33], v114 offset:192
	ds_load_b64 v[34:35], v140 offset:192
	ds_load_b128 v[8:11], v113 offset:256
	ds_load_b128 v[0:3], v113 offset:272
	ds_load_2addr_b64 v[4:7], v172 offset1:33
	ds_load_b64 v[18:19], v171
	ds_load_b64 v[16:17], v172 offset:528
	s_wait_loadcnt_dscnt 0x0
	s_barrier_signal -1
	s_barrier_wait -1
	global_inv scope:SCOPE_SE
	v_mul_f32_e32 v36, v21, v25
	v_mul_f32_e32 v38, v23, v27
	;; [unrolled: 1-line block ×4, first 2 shown]
	s_delay_alu instid0(VALU_DEP_4) | instskip(NEXT) | instid1(VALU_DEP_4)
	v_dual_mul_f32 v29, v29, v30 :: v_dual_fmac_f32 v36, v20, v24
	v_dual_mul_f32 v21, v21, v24 :: v_dual_fmac_f32 v38, v22, v26
	s_delay_alu instid0(VALU_DEP_4) | instskip(NEXT) | instid1(VALU_DEP_3)
	v_fmac_f32_e32 v37, v28, v30
	v_fma_f32 v28, v28, v31, -v29
	v_fma_f32 v22, v22, v27, -v23
	s_delay_alu instid0(VALU_DEP_4) | instskip(NEXT) | instid1(VALU_DEP_3)
	v_fma_f32 v20, v20, v25, -v21
	v_dual_mul_f32 v25, v33, v34 :: v_dual_add_f32 v24, 0, v28
	v_mul_f32_e32 v29, v33, v35
	s_delay_alu instid0(VALU_DEP_2) | instskip(NEXT) | instid1(VALU_DEP_3)
	v_fma_f32 v23, v32, v35, -v25
	v_dual_add_f32 v20, v24, v20 :: v_dual_add_f32 v21, 0, v37
	s_delay_alu instid0(VALU_DEP_3) | instskip(NEXT) | instid1(VALU_DEP_2)
	v_fmac_f32_e32 v29, v32, v34
	v_dual_add_f32 v22, v20, v22 :: v_dual_add_f32 v21, v21, v36
	s_delay_alu instid0(VALU_DEP_1) | instskip(NEXT) | instid1(VALU_DEP_1)
	v_add_f32_e32 v21, v21, v38
	v_dual_add_f32 v20, v21, v29 :: v_dual_add_f32 v21, v22, v23
	ds_store_b64 v114, v[20:21]
	s_wait_loadcnt_dscnt 0x0
	s_barrier_signal -1
	s_barrier_wait -1
	global_inv scope:SCOPE_SE
	s_and_saveexec_b32 s22, s20
	s_cbranch_execz .LBB6_103
; %bb.102:                              ;   in Loop: Header=BB6_4 Depth=1
	ds_load_2addr_b64 v[20:23], v111 offset1:1
	ds_load_2addr_b64 v[24:27], v111 offset0:2 offset1:3
	ds_load_2addr_b64 v[28:31], v111 offset0:4 offset1:5
	s_wait_dscnt 0x2
	v_dual_add_f32 v20, v65, v20 :: v_dual_add_f32 v21, v66, v21
	s_delay_alu instid0(VALU_DEP_1) | instskip(SKIP_3) | instid1(VALU_DEP_1)
	v_dual_add_f32 v32, v20, v22 :: v_dual_add_f32 v33, v21, v23
	ds_load_2addr_b64 v[20:23], v111 offset0:6 offset1:7
	s_wait_dscnt 0x2
	v_dual_add_f32 v24, v32, v24 :: v_dual_add_f32 v25, v33, v25
	v_dual_add_f32 v24, v24, v26 :: v_dual_add_f32 v25, v25, v27
	s_wait_dscnt 0x1
	s_delay_alu instid0(VALU_DEP_1) | instskip(NEXT) | instid1(VALU_DEP_1)
	v_dual_add_f32 v24, v24, v28 :: v_dual_add_f32 v25, v25, v29
	v_dual_add_f32 v24, v24, v30 :: v_dual_add_f32 v25, v25, v31
	s_wait_dscnt 0x0
	s_delay_alu instid0(VALU_DEP_1) | instskip(NEXT) | instid1(VALU_DEP_1)
	v_dual_add_f32 v20, v24, v20 :: v_dual_add_f32 v21, v25, v21
	v_dual_add_f32 v65, v20, v22 :: v_dual_add_f32 v66, v21, v23
.LBB6_103:                              ;   in Loop: Header=BB6_4 Depth=1
	s_wait_alu 0xfffe
	s_or_b32 exec_lo, exec_lo, s22
	v_dual_mul_f32 v20, v9, v19 :: v_dual_mul_f32 v21, v11, v5
	v_mul_f32_e32 v19, v8, v19
	v_dual_mul_f32 v5, v10, v5 :: v_dual_mul_f32 v22, v1, v7
	s_delay_alu instid0(VALU_DEP_3) | instskip(NEXT) | instid1(VALU_DEP_4)
	v_fma_f32 v8, v8, v18, -v20
	v_fma_f32 v10, v10, v4, -v21
	v_mul_f32_e32 v7, v0, v7
	s_wait_loadcnt 0x0
	v_fma_f32 v0, v0, v6, -v22
	v_add_f32_e32 v8, 0, v8
	v_fmac_f32_e32 v5, v11, v4
	v_fmac_f32_e32 v7, v1, v6
	s_barrier_signal -1
	s_barrier_wait -1
	v_add_f32_e32 v8, v8, v10
	v_fmac_f32_e32 v19, v9, v18
	global_inv scope:SCOPE_SE
	v_dual_add_f32 v0, v8, v0 :: v_dual_mul_f32 v9, v3, v17
	v_dual_add_f32 v4, 0, v19 :: v_dual_mul_f32 v11, v2, v17
	s_delay_alu instid0(VALU_DEP_2) | instskip(NEXT) | instid1(VALU_DEP_2)
	v_fma_f32 v2, v2, v16, -v9
	v_add_f32_e32 v1, v4, v5
	s_delay_alu instid0(VALU_DEP_2) | instskip(NEXT) | instid1(VALU_DEP_2)
	v_dual_add_f32 v0, v0, v2 :: v_dual_fmac_f32 v11, v3, v16
	v_add_f32_e32 v1, v1, v7
	s_delay_alu instid0(VALU_DEP_1)
	v_add_f32_e32 v1, v1, v11
	ds_store_b64 v114, v[0:1]
	s_wait_loadcnt_dscnt 0x0
	s_barrier_signal -1
	s_barrier_wait -1
	global_inv scope:SCOPE_SE
	s_and_saveexec_b32 s22, s14
	s_cbranch_execz .LBB6_105
; %bb.104:                              ;   in Loop: Header=BB6_4 Depth=1
	ds_load_2addr_b64 v[0:3], v111 offset1:1
	ds_load_2addr_b64 v[4:7], v111 offset0:2 offset1:3
	ds_load_2addr_b64 v[8:11], v111 offset0:4 offset1:5
	s_wait_dscnt 0x2
	v_dual_add_f32 v0, v65, v0 :: v_dual_add_f32 v1, v66, v1
	s_delay_alu instid0(VALU_DEP_1) | instskip(SKIP_3) | instid1(VALU_DEP_1)
	v_dual_add_f32 v16, v0, v2 :: v_dual_add_f32 v17, v1, v3
	ds_load_2addr_b64 v[0:3], v111 offset0:6 offset1:7
	s_wait_dscnt 0x2
	v_dual_add_f32 v4, v16, v4 :: v_dual_add_f32 v5, v17, v5
	v_dual_add_f32 v4, v4, v6 :: v_dual_add_f32 v5, v5, v7
	s_wait_dscnt 0x1
	s_delay_alu instid0(VALU_DEP_1) | instskip(NEXT) | instid1(VALU_DEP_1)
	v_dual_add_f32 v4, v4, v8 :: v_dual_add_f32 v5, v5, v9
	v_dual_add_f32 v4, v4, v10 :: v_dual_add_f32 v5, v5, v11
	s_wait_dscnt 0x0
	s_delay_alu instid0(VALU_DEP_1) | instskip(NEXT) | instid1(VALU_DEP_1)
	v_dual_add_f32 v0, v4, v0 :: v_dual_add_f32 v1, v5, v1
	v_dual_add_f32 v65, v0, v2 :: v_dual_add_f32 v66, v1, v3
.LBB6_105:                              ;   in Loop: Header=BB6_4 Depth=1
	s_wait_alu 0xfffe
	s_or_b32 exec_lo, exec_lo, s22
	s_mul_u64 s[56:57], s[30:31], s[34:35]
	s_and_not1_b32 vcc_lo, exec_lo, s37
	s_wait_alu 0xfffe
	s_lshl_b64 s[56:57], s[56:57], 3
	s_wait_loadcnt 0x0
	s_wait_alu 0xfffe
	s_add_nc_u64 s[56:57], s[38:39], s[56:57]
	s_barrier_signal -1
	s_barrier_wait -1
	global_inv scope:SCOPE_SE
	s_cbranch_vccnz .LBB6_163
; %bb.106:                              ;   in Loop: Header=BB6_4 Depth=1
	v_add_co_u32 v187, vcc_lo, v12, s54
	s_wait_alu 0xfffd
	v_add_co_ci_u32_e64 v188, null, s55, v13, vcc_lo
	v_add_co_u32 v189, vcc_lo, v14, v145
	s_wait_alu 0xfffd
	v_add_co_ci_u32_e64 v190, null, v15, v144, vcc_lo
	;; [unrolled: 3-line block ×21, first 2 shown]
	v_mov_b32_e32 v67, v141
	s_mov_b32 s67, ttmp9
	s_mov_b32 s58, s61
	s_wait_alu 0xfffe
	s_cmp_eq_u32 s64, s67
	s_cselect_b32 s68, s33, 0
	s_and_saveexec_b32 s22, s0
	s_cbranch_execz .LBB6_111
.LBB6_107:                              ;   in Loop: Header=BB6_4 Depth=1
	s_wait_alu 0xfffe
	v_cmp_le_i32_e32 vcc_lo, s68, v56
	s_cmp_lg_u32 s68, 0
	s_cselect_b32 s59, -1, 0
	s_wait_alu 0xfffe
	s_and_b32 s59, s59, vcc_lo
	s_wait_alu 0xfffe
	s_and_saveexec_b32 s69, s59
	s_wait_alu 0xfffe
	s_xor_b32 s59, exec_lo, s69
; %bb.108:                              ;   in Loop: Header=BB6_4 Depth=1
	v_mov_b32_e32 v64, v63
	ds_store_b64 v117, v[63:64]
; %bb.109:                              ;   in Loop: Header=BB6_4 Depth=1
	s_wait_alu 0xfffe
	s_and_not1_saveexec_b32 s59, s59
	s_cbranch_execz .LBB6_111
; %bb.110:                              ;   in Loop: Header=BB6_4 Depth=1
	s_ashr_i32 s59, s58, 31
	s_wait_alu 0xfffe
	s_lshl_b64 s[70:71], s[58:59], 3
	s_wait_alu 0xfffe
	v_add_co_u32 v0, vcc_lo, v187, s70
	s_wait_alu 0xfffd
	v_add_co_ci_u32_e64 v1, null, s71, v188, vcc_lo
	global_load_b64 v[0:1], v[0:1], off
	s_wait_loadcnt 0x0
	ds_store_b64 v117, v[0:1]
.LBB6_111:                              ;   Parent Loop BB6_4 Depth=1
                                        ; =>  This Inner Loop Header: Depth=2
	s_wait_alu 0xfffe
	s_or_b32 exec_lo, exec_lo, s22
	s_cmp_eq_u32 s68, 0
	v_add_co_u32 v0, vcc_lo, v189, v142
	s_cselect_b32 s59, -1, 0
	s_cmp_lg_u32 s68, 0
	s_wait_alu 0xfffd
	v_add_co_ci_u32_e64 v1, null, v190, v143, vcc_lo
	s_cselect_b32 s22, -1, 0
	s_wait_loadcnt_dscnt 0x0
	s_wait_alu 0xfffe
	s_and_b32 vcc_lo, exec_lo, s22
	s_barrier_signal -1
	s_barrier_wait -1
	global_inv scope:SCOPE_SE
	s_wait_alu 0xfffe
	s_cbranch_vccz .LBB6_119
; %bb.112:                              ;   in Loop: Header=BB6_111 Depth=2
	v_dual_mov_b32 v71, 0 :: v_dual_mov_b32 v70, 0
	v_mov_b32_e32 v69, 0
	s_mov_b32 s69, exec_lo
	v_cmpx_gt_i32_e64 s68, v115
	s_cbranch_execz .LBB6_114
; %bb.113:                              ;   in Loop: Header=BB6_111 Depth=2
	global_load_b64 v[69:70], v[0:1], off offset:-4
.LBB6_114:                              ;   in Loop: Header=BB6_111 Depth=2
	s_wait_alu 0xfffe
	s_or_b32 exec_lo, exec_lo, s69
	v_mov_b32_e32 v72, 0
	s_mov_b32 s69, exec_lo
	v_cmpx_gt_i32_e64 s68, v123
	s_cbranch_execz .LBB6_116
; %bb.115:                              ;   in Loop: Header=BB6_111 Depth=2
	v_add_co_u32 v2, vcc_lo, v197, v142
	s_wait_alu 0xfffd
	v_add_co_ci_u32_e64 v3, null, v198, v143, vcc_lo
	global_load_b64 v[71:72], v[2:3], off offset:-4
.LBB6_116:                              ;   in Loop: Header=BB6_111 Depth=2
	s_wait_alu 0xfffe
	s_or_b32 exec_lo, exec_lo, s69
	v_dual_mov_b32 v73, 0 :: v_dual_mov_b32 v74, 0
	s_mov_b32 s69, exec_lo
	v_cmpx_gt_i32_e64 s68, v124
	s_cbranch_execz .LBB6_118
; %bb.117:                              ;   in Loop: Header=BB6_111 Depth=2
	v_add_co_u32 v2, vcc_lo, v201, v142
	s_wait_alu 0xfffd
	v_add_co_ci_u32_e64 v3, null, v202, v143, vcc_lo
	global_load_b64 v[73:74], v[2:3], off offset:-4
.LBB6_118:                              ;   in Loop: Header=BB6_111 Depth=2
	s_wait_alu 0xfffe
	s_or_b32 exec_lo, exec_lo, s69
	v_cmp_gt_i32_e64 s69, s68, v125
	s_branch .LBB6_121
.LBB6_119:                              ;   in Loop: Header=BB6_111 Depth=2
	s_mov_b32 s69, 0
                                        ; implicit-def: $vgpr70
                                        ; implicit-def: $vgpr72
                                        ; implicit-def: $vgpr74
	s_cbranch_execz .LBB6_121
; %bb.120:                              ;   in Loop: Header=BB6_111 Depth=2
	v_add_co_u32 v2, vcc_lo, v197, v142
	s_wait_alu 0xfffd
	v_add_co_ci_u32_e64 v3, null, v198, v143, vcc_lo
	v_add_co_u32 v4, vcc_lo, v193, v142
	s_wait_alu 0xfffd
	v_add_co_ci_u32_e64 v5, null, v194, v143, vcc_lo
	s_wait_loadcnt 0x0
	global_load_b64 v[69:70], v[0:1], off offset:-4
	global_load_b64 v[71:72], v[2:3], off offset:-4
	global_load_b64 v[73:74], v[4:5], off
	s_wait_alu 0xfffe
	s_or_b32 s69, s69, exec_lo
.LBB6_121:                              ;   in Loop: Header=BB6_111 Depth=2
	v_dual_mov_b32 v75, 0 :: v_dual_mov_b32 v76, 0
	s_wait_alu 0xfffe
	s_delay_alu instid0(VALU_DEP_2)
	s_and_saveexec_b32 s70, s69
	s_cbranch_execz .LBB6_123
; %bb.122:                              ;   in Loop: Header=BB6_111 Depth=2
	v_add_co_u32 v0, vcc_lo, v205, v142
	s_wait_alu 0xfffd
	v_add_co_ci_u32_e64 v1, null, v206, v143, vcc_lo
	global_load_b64 v[75:76], v[0:1], off offset:-4
.LBB6_123:                              ;   in Loop: Header=BB6_111 Depth=2
	s_wait_alu 0xfffe
	s_or_b32 exec_lo, exec_lo, s70
	ds_load_b64 v[4:5], v102
	ds_load_b128 v[0:3], v118
	v_cndmask_b32_e64 v40, 0, 1, s22
	s_wait_loadcnt_dscnt 0x1
	v_dual_mul_f32 v8, v70, v5 :: v_dual_mul_f32 v7, v72, v4
	v_mul_f32_e32 v6, v70, v4
	v_dual_mul_f32 v10, v72, v5 :: v_dual_mul_f32 v13, v74, v4
	v_dual_mul_f32 v12, v74, v5 :: v_dual_mul_f32 v15, v76, v4
	v_mul_f32_e32 v14, v76, v5
	v_fmac_f32_e32 v8, v69, v4
	v_fma_f32 v9, v69, v5, -v6
	v_fmac_f32_e32 v10, v71, v4
	v_fma_f32 v11, v71, v5, -v7
	;; [unrolled: 2-line block ×4, first 2 shown]
	ds_load_b128 v[4:7], v118 offset:16
	ds_store_2addr_b64 v119, v[8:9], v[10:11] offset1:67
	ds_store_2addr_b64 v119, v[12:13], v[14:15] offset0:134 offset1:201
	s_wait_dscnt 0x0
	s_barrier_signal -1
	s_barrier_wait -1
	global_inv scope:SCOPE_SE
	ds_load_2addr_b64 v[16:19], v120 offset1:1
	ds_load_2addr_b64 v[8:11], v120 offset0:2 offset1:3
	v_add_co_u32 v12, vcc_lo, v209, v142
	s_wait_alu 0xfffd
	v_add_co_ci_u32_e64 v13, null, v210, v143, vcc_lo
	s_and_not1_b32 vcc_lo, exec_lo, s22
	s_wait_loadcnt_dscnt 0x0
	s_barrier_signal -1
	s_barrier_wait -1
	global_inv scope:SCOPE_SE
	s_wait_alu 0xfffe
	s_cbranch_vccnz .LBB6_131
; %bb.124:                              ;   in Loop: Header=BB6_111 Depth=2
	v_dual_mov_b32 v77, 0 :: v_dual_mov_b32 v80, 0
	v_mov_b32_e32 v79, 0
	s_mov_b32 s22, exec_lo
	v_cmpx_gt_i32_e64 s68, v126
	s_cbranch_execz .LBB6_126
; %bb.125:                              ;   in Loop: Header=BB6_111 Depth=2
	global_load_b64 v[79:80], v[12:13], off offset:-4
.LBB6_126:                              ;   in Loop: Header=BB6_111 Depth=2
	s_wait_alu 0xfffe
	s_or_b32 exec_lo, exec_lo, s22
	v_mov_b32_e32 v78, 0
	s_mov_b32 s22, exec_lo
	v_cmpx_gt_i32_e64 s68, v127
	s_cbranch_execz .LBB6_128
; %bb.127:                              ;   in Loop: Header=BB6_111 Depth=2
	v_add_co_u32 v14, vcc_lo, v213, v142
	s_wait_alu 0xfffd
	v_add_co_ci_u32_e64 v15, null, v214, v143, vcc_lo
	global_load_b64 v[77:78], v[14:15], off offset:-4
.LBB6_128:                              ;   in Loop: Header=BB6_111 Depth=2
	s_wait_alu 0xfffe
	s_or_b32 exec_lo, exec_lo, s22
	v_dual_mov_b32 v81, 0 :: v_dual_mov_b32 v82, 0
	s_mov_b32 s22, exec_lo
	v_cmpx_gt_i32_e64 s68, v128
	s_cbranch_execz .LBB6_130
; %bb.129:                              ;   in Loop: Header=BB6_111 Depth=2
	v_add_co_u32 v14, vcc_lo, v217, v142
	s_wait_alu 0xfffd
	v_add_co_ci_u32_e64 v15, null, v218, v143, vcc_lo
	global_load_b64 v[81:82], v[14:15], off offset:-4
.LBB6_130:                              ;   in Loop: Header=BB6_111 Depth=2
	s_wait_alu 0xfffe
	s_or_b32 exec_lo, exec_lo, s22
	v_cmp_gt_i32_e64 s22, s68, v129
	s_branch .LBB6_133
.LBB6_131:                              ;   in Loop: Header=BB6_111 Depth=2
	s_mov_b32 s22, 0
                                        ; implicit-def: $vgpr80
                                        ; implicit-def: $vgpr78
                                        ; implicit-def: $vgpr82
	s_cbranch_execz .LBB6_133
; %bb.132:                              ;   in Loop: Header=BB6_111 Depth=2
	v_add_co_u32 v14, vcc_lo, v213, v142
	s_wait_alu 0xfffd
	v_add_co_ci_u32_e64 v15, null, v214, v143, vcc_lo
	v_add_co_u32 v20, vcc_lo, v221, v142
	s_wait_alu 0xfffd
	v_add_co_ci_u32_e64 v21, null, v222, v143, vcc_lo
	s_wait_loadcnt 0x0
	global_load_b64 v[79:80], v[12:13], off offset:-4
	global_load_b64 v[77:78], v[14:15], off offset:-4
	global_load_b64 v[81:82], v[20:21], off
	s_wait_alu 0xfffe
	s_or_b32 s22, s22, exec_lo
.LBB6_133:                              ;   in Loop: Header=BB6_111 Depth=2
	v_dual_mov_b32 v83, 0 :: v_dual_mov_b32 v84, 0
	s_wait_alu 0xfffe
	s_delay_alu instid0(VALU_DEP_2)
	s_and_saveexec_b32 s69, s22
	s_cbranch_execz .LBB6_135
; %bb.134:                              ;   in Loop: Header=BB6_111 Depth=2
	v_add_co_u32 v12, vcc_lo, v225, v142
	s_wait_alu 0xfffd
	v_add_co_ci_u32_e64 v13, null, v226, v143, vcc_lo
	global_load_b64 v[83:84], v[12:13], off offset:-4
.LBB6_135:                              ;   in Loop: Header=BB6_111 Depth=2
	s_wait_alu 0xfffe
	s_or_b32 exec_lo, exec_lo, s69
	ds_load_b64 v[20:21], v102
	ds_load_b128 v[12:15], v118 offset:128
	v_cmp_ne_u32_e32 vcc_lo, 1, v40
	s_and_b32 vcc_lo, exec_lo, vcc_lo
	s_wait_loadcnt_dscnt 0x1
	v_dual_mul_f32 v24, v80, v21 :: v_dual_mul_f32 v23, v78, v20
	v_mul_f32_e32 v22, v80, v20
	v_dual_mul_f32 v26, v78, v21 :: v_dual_mul_f32 v31, v84, v20
	v_mul_f32_e32 v28, v82, v21
	v_dual_mul_f32 v29, v82, v20 :: v_dual_mul_f32 v30, v84, v21
	v_fmac_f32_e32 v24, v79, v20
	v_fma_f32 v25, v79, v21, -v22
	v_fmac_f32_e32 v26, v77, v20
	v_fma_f32 v27, v77, v21, -v23
	;; [unrolled: 2-line block ×4, first 2 shown]
	ds_load_b128 v[20:23], v118 offset:144
	ds_store_2addr_b64 v119, v[24:25], v[26:27] offset1:67
	ds_store_2addr_b64 v119, v[28:29], v[30:31] offset0:134 offset1:201
	s_wait_dscnt 0x0
	s_barrier_signal -1
	s_barrier_wait -1
	global_inv scope:SCOPE_SE
	ds_load_2addr_b64 v[36:39], v120 offset1:1
	ds_load_2addr_b64 v[32:35], v120 offset0:2 offset1:3
	v_add_co_u32 v24, s22, v227, v142
	s_wait_alu 0xf1ff
	v_add_co_ci_u32_e64 v25, null, v228, v143, s22
	s_wait_loadcnt_dscnt 0x0
	s_barrier_signal -1
	s_barrier_wait -1
	global_inv scope:SCOPE_SE
	s_wait_alu 0xfffe
	s_cbranch_vccnz .LBB6_143
; %bb.136:                              ;   in Loop: Header=BB6_111 Depth=2
	v_dual_mov_b32 v85, 0 :: v_dual_mov_b32 v88, 0
	v_mov_b32_e32 v87, 0
	s_mov_b32 s22, exec_lo
	v_cmpx_gt_i32_e64 s68, v130
	s_cbranch_execz .LBB6_138
; %bb.137:                              ;   in Loop: Header=BB6_111 Depth=2
	global_load_b64 v[87:88], v[24:25], off offset:-4
.LBB6_138:                              ;   in Loop: Header=BB6_111 Depth=2
	s_wait_alu 0xfffe
	s_or_b32 exec_lo, exec_lo, s22
	v_mov_b32_e32 v86, 0
	s_mov_b32 s22, exec_lo
	v_cmpx_gt_i32_e64 s68, v131
	s_cbranch_execz .LBB6_140
; %bb.139:                              ;   in Loop: Header=BB6_111 Depth=2
	v_add_co_u32 v26, vcc_lo, v223, v142
	s_wait_alu 0xfffd
	v_add_co_ci_u32_e64 v27, null, v224, v143, vcc_lo
	global_load_b64 v[85:86], v[26:27], off
.LBB6_140:                              ;   in Loop: Header=BB6_111 Depth=2
	s_wait_alu 0xfffe
	s_or_b32 exec_lo, exec_lo, s22
	v_dual_mov_b32 v89, 0 :: v_dual_mov_b32 v90, 0
	s_mov_b32 s22, exec_lo
	v_cmpx_gt_i32_e64 s68, v132
	s_cbranch_execz .LBB6_142
; %bb.141:                              ;   in Loop: Header=BB6_111 Depth=2
	v_add_co_u32 v26, vcc_lo, v219, v142
	s_wait_alu 0xfffd
	v_add_co_ci_u32_e64 v27, null, v220, v143, vcc_lo
	global_load_b64 v[89:90], v[26:27], off
.LBB6_142:                              ;   in Loop: Header=BB6_111 Depth=2
	s_wait_alu 0xfffe
	s_or_b32 exec_lo, exec_lo, s22
	v_cmp_gt_i32_e64 s22, s68, v133
	s_branch .LBB6_145
.LBB6_143:                              ;   in Loop: Header=BB6_111 Depth=2
	s_mov_b32 s22, 0
                                        ; implicit-def: $vgpr88
                                        ; implicit-def: $vgpr86
                                        ; implicit-def: $vgpr90
	s_cbranch_execz .LBB6_145
; %bb.144:                              ;   in Loop: Header=BB6_111 Depth=2
	v_add_co_u32 v26, vcc_lo, v223, v142
	s_wait_alu 0xfffd
	v_add_co_ci_u32_e64 v27, null, v224, v143, vcc_lo
	v_add_co_u32 v28, vcc_lo, v215, v142
	s_wait_alu 0xfffd
	v_add_co_ci_u32_e64 v29, null, v216, v143, vcc_lo
	s_wait_loadcnt 0x0
	global_load_b64 v[87:88], v[24:25], off offset:-4
	global_load_b64 v[85:86], v[26:27], off
	global_load_b64 v[89:90], v[28:29], off offset:-4
	s_wait_alu 0xfffe
	s_or_b32 s22, s22, exec_lo
.LBB6_145:                              ;   in Loop: Header=BB6_111 Depth=2
	v_dual_mov_b32 v91, 0 :: v_dual_mov_b32 v92, 0
	s_wait_alu 0xfffe
	s_delay_alu instid0(VALU_DEP_2)
	s_and_saveexec_b32 s69, s22
	s_cbranch_execz .LBB6_147
; %bb.146:                              ;   in Loop: Header=BB6_111 Depth=2
	v_add_co_u32 v24, vcc_lo, v211, v142
	s_wait_alu 0xfffd
	v_add_co_ci_u32_e64 v25, null, v212, v143, vcc_lo
	global_load_b64 v[91:92], v[24:25], off
.LBB6_147:                              ;   in Loop: Header=BB6_111 Depth=2
	s_wait_alu 0xfffe
	s_or_b32 exec_lo, exec_lo, s69
	ds_load_b64 v[28:29], v102
	ds_load_b128 v[24:27], v118 offset:256
	v_cmp_ne_u32_e32 vcc_lo, 1, v40
	v_add_co_u32 v40, s22, v207, v142
	s_and_b32 vcc_lo, exec_lo, vcc_lo
	s_wait_loadcnt_dscnt 0x1
	v_dual_mul_f32 v41, v88, v29 :: v_dual_mul_f32 v46, v90, v28
	v_dual_mul_f32 v30, v88, v28 :: v_dual_mul_f32 v43, v86, v29
	v_mul_f32_e32 v31, v86, v28
	v_dual_mul_f32 v45, v90, v29 :: v_dual_mul_f32 v48, v92, v28
	v_mul_f32_e32 v47, v92, v29
	v_fmac_f32_e32 v41, v87, v28
	v_fma_f32 v42, v87, v29, -v30
	v_fmac_f32_e32 v43, v85, v28
	v_fma_f32 v44, v85, v29, -v31
	;; [unrolled: 2-line block ×4, first 2 shown]
	ds_load_b128 v[28:31], v118 offset:272
	ds_store_2addr_b64 v119, v[41:42], v[43:44] offset1:67
	ds_store_2addr_b64 v119, v[45:46], v[47:48] offset0:134 offset1:201
	s_wait_dscnt 0x0
	s_barrier_signal -1
	s_barrier_wait -1
	global_inv scope:SCOPE_SE
	ds_load_2addr_b64 v[52:55], v120 offset1:1
	ds_load_2addr_b64 v[48:51], v120 offset0:2 offset1:3
	s_wait_alu 0xf1ff
	v_add_co_ci_u32_e64 v41, null, v208, v143, s22
	s_wait_loadcnt_dscnt 0x0
	s_barrier_signal -1
	s_barrier_wait -1
	global_inv scope:SCOPE_SE
	s_wait_alu 0xfffe
	s_cbranch_vccnz .LBB6_155
; %bb.148:                              ;   in Loop: Header=BB6_111 Depth=2
	v_dual_mov_b32 v95, 0 :: v_dual_mov_b32 v94, 0
	v_mov_b32_e32 v93, 0
	s_mov_b32 s22, exec_lo
	v_cmpx_gt_i32_e64 s68, v134
	s_cbranch_execz .LBB6_150
; %bb.149:                              ;   in Loop: Header=BB6_111 Depth=2
	global_load_b64 v[93:94], v[40:41], off
.LBB6_150:                              ;   in Loop: Header=BB6_111 Depth=2
	s_wait_alu 0xfffe
	s_or_b32 exec_lo, exec_lo, s22
	v_mov_b32_e32 v96, 0
	s_mov_b32 s22, exec_lo
	v_cmpx_gt_i32_e64 s68, v135
	s_cbranch_execz .LBB6_152
; %bb.151:                              ;   in Loop: Header=BB6_111 Depth=2
	v_add_co_u32 v42, vcc_lo, v203, v142
	s_wait_alu 0xfffd
	v_add_co_ci_u32_e64 v43, null, v204, v143, vcc_lo
	global_load_b64 v[95:96], v[42:43], off
.LBB6_152:                              ;   in Loop: Header=BB6_111 Depth=2
	s_wait_alu 0xfffe
	s_or_b32 exec_lo, exec_lo, s22
	v_dual_mov_b32 v97, 0 :: v_dual_mov_b32 v98, 0
	s_mov_b32 s22, exec_lo
	v_cmpx_gt_i32_e64 s68, v136
	s_cbranch_execz .LBB6_154
; %bb.153:                              ;   in Loop: Header=BB6_111 Depth=2
	v_add_co_u32 v42, vcc_lo, v199, v142
	s_wait_alu 0xfffd
	v_add_co_ci_u32_e64 v43, null, v200, v143, vcc_lo
	global_load_b64 v[97:98], v[42:43], off
.LBB6_154:                              ;   in Loop: Header=BB6_111 Depth=2
	s_wait_alu 0xfffe
	s_or_b32 exec_lo, exec_lo, s22
	v_cmp_gt_i32_e64 s22, s68, v137
	s_branch .LBB6_157
.LBB6_155:                              ;   in Loop: Header=BB6_111 Depth=2
	s_mov_b32 s22, 0
                                        ; implicit-def: $vgpr94
                                        ; implicit-def: $vgpr96
                                        ; implicit-def: $vgpr98
	s_cbranch_execz .LBB6_157
; %bb.156:                              ;   in Loop: Header=BB6_111 Depth=2
	v_add_co_u32 v42, vcc_lo, v203, v142
	s_wait_alu 0xfffd
	v_add_co_ci_u32_e64 v43, null, v204, v143, vcc_lo
	v_add_co_u32 v44, vcc_lo, v195, v142
	s_wait_alu 0xfffd
	v_add_co_ci_u32_e64 v45, null, v196, v143, vcc_lo
	s_wait_loadcnt 0x0
	global_load_b64 v[93:94], v[40:41], off
	global_load_b64 v[95:96], v[42:43], off
	global_load_b64 v[97:98], v[44:45], off offset:-4
	s_wait_alu 0xfffe
	s_or_b32 s22, s22, exec_lo
.LBB6_157:                              ;   in Loop: Header=BB6_111 Depth=2
	v_dual_mov_b32 v99, 0 :: v_dual_mov_b32 v100, 0
	s_wait_alu 0xfffe
	s_delay_alu instid0(VALU_DEP_2)
	s_and_saveexec_b32 s69, s22
	s_cbranch_execz .LBB6_159
; %bb.158:                              ;   in Loop: Header=BB6_111 Depth=2
	v_add_co_u32 v40, vcc_lo, v191, v142
	s_wait_alu 0xfffd
	v_add_co_ci_u32_e64 v41, null, v192, v143, vcc_lo
	global_load_b64 v[99:100], v[40:41], off
.LBB6_159:                              ;   in Loop: Header=BB6_111 Depth=2
	s_wait_alu 0xfffe
	s_or_b32 exec_lo, exec_lo, s69
	ds_load_b64 v[44:45], v102
	ds_load_b128 v[40:43], v118 offset:384
	v_dual_add_f32 v53, 0, v53 :: v_dual_add_f32 v36, 0, v36
	v_dual_add_f32 v37, 0, v37 :: v_dual_add_f32 v16, 0, v16
	v_cmp_gt_i32_e32 vcc_lo, s68, v56
	v_add_f32_e32 v52, 0, v52
	s_delay_alu instid0(VALU_DEP_3) | instskip(NEXT) | instid1(VALU_DEP_4)
	v_dual_add_f32 v36, v36, v38 :: v_dual_add_f32 v37, v37, v39
	v_add_f32_e32 v16, v16, v18
	s_or_b32 s22, s59, vcc_lo
	s_wait_alu 0xfffe
	s_and_b32 s59, s21, s22
	v_add_f32_e32 v32, v36, v32
	v_add_f32_e32 v38, v16, v8
	s_wait_loadcnt_dscnt 0x1
	s_delay_alu instid0(VALU_DEP_2)
	v_dual_add_f32 v16, v32, v34 :: v_dual_mul_f32 v229, v94, v45
	v_mul_f32_e32 v68, v100, v44
	v_dual_mul_f32 v46, v94, v44 :: v_dual_mul_f32 v231, v96, v45
	v_mul_f32_e32 v47, v96, v44
	v_mul_f32_e32 v233, v98, v45
	v_dual_mul_f32 v64, v98, v44 :: v_dual_mul_f32 v235, v100, v45
	v_fmac_f32_e32 v229, v93, v44
	v_fma_f32 v230, v93, v45, -v46
	v_fmac_f32_e32 v231, v95, v44
	v_fma_f32 v236, v99, v45, -v68
	v_add_f32_e32 v68, v53, v55
	v_fma_f32 v232, v95, v45, -v47
	v_fmac_f32_e32 v233, v97, v44
	v_fma_f32 v234, v97, v45, -v64
	v_fmac_f32_e32 v235, v99, v44
	ds_load_b128 v[44:47], v118 offset:400
	v_add_f32_e32 v64, v52, v54
	ds_store_2addr_b64 v119, v[229:230], v[231:232] offset1:67
	ds_store_2addr_b64 v119, v[233:234], v[235:236] offset0:134 offset1:201
	s_wait_dscnt 0x0
	s_barrier_signal -1
	s_barrier_wait -1
	global_inv scope:SCOPE_SE
	ds_load_2addr_b64 v[229:232], v120 offset1:1
	ds_load_2addr_b64 v[52:55], v120 offset0:2 offset1:3
	v_dual_add_f32 v17, 0, v17 :: v_dual_add_f32 v18, v64, v48
	s_wait_loadcnt_dscnt 0x0
	s_barrier_signal -1
	s_barrier_wait -1
	s_delay_alu instid0(VALU_DEP_1)
	v_add_f32_e32 v17, v17, v19
	v_dual_add_f32 v19, v68, v49 :: v_dual_add_f32 v8, v18, v50
	v_add_f32_e32 v10, v38, v10
	global_inv scope:SCOPE_SE
	v_add_f32_e32 v39, v17, v9
	v_add_f32_e32 v9, v19, v51
	s_delay_alu instid0(VALU_DEP_2) | instskip(NEXT) | instid1(VALU_DEP_1)
	v_dual_add_f32 v11, v39, v11 :: v_dual_add_f32 v36, 0, v229
	v_dual_add_f32 v33, v37, v33 :: v_dual_add_f32 v18, v36, v231
	v_add_f32_e32 v37, 0, v230
	s_delay_alu instid0(VALU_DEP_2) | instskip(NEXT) | instid1(VALU_DEP_2)
	v_dual_add_f32 v17, v33, v35 :: v_dual_add_f32 v18, v18, v52
	v_add_f32_e32 v36, v37, v232
	s_delay_alu instid0(VALU_DEP_1) | instskip(NEXT) | instid1(VALU_DEP_1)
	v_dual_add_f32 v18, v18, v54 :: v_dual_add_f32 v19, v36, v53
	v_add_f32_e32 v19, v19, v55
	ds_store_2addr_b64 v184, v[10:11], v[16:17] offset1:16
	ds_store_2addr_b64 v184, v[8:9], v[18:19] offset0:32 offset1:48
	s_wait_loadcnt_dscnt 0x0
	s_barrier_signal -1
	s_barrier_wait -1
	global_inv scope:SCOPE_SE
	s_wait_alu 0xfffe
	s_and_saveexec_b32 s22, s59
	s_cbranch_execz .LBB6_161
; %bb.160:                              ;   in Loop: Header=BB6_111 Depth=2
	ds_load_b64 v[36:37], v121
	ds_load_2addr_b64 v[8:11], v121 offset0:1 offset1:2
	ds_load_2addr_b64 v[16:19], v121 offset0:3 offset1:4
	;; [unrolled: 1-line block ×3, first 2 shown]
	v_ashrrev_i32_e32 v68, 31, v67
	s_wait_dscnt 0x2
	v_dual_add_f32 v8, v8, v36 :: v_dual_add_f32 v9, v9, v37
	s_delay_alu instid0(VALU_DEP_1) | instskip(SKIP_3) | instid1(VALU_DEP_1)
	v_dual_add_f32 v36, v10, v8 :: v_dual_add_f32 v37, v11, v9
	ds_load_2addr_b64 v[8:11], v121 offset0:7 offset1:8
	s_wait_dscnt 0x2
	v_dual_add_f32 v16, v36, v16 :: v_dual_add_f32 v17, v37, v17
	v_dual_add_f32 v36, v16, v18 :: v_dual_add_f32 v37, v17, v19
	ds_load_2addr_b64 v[16:19], v121 offset0:9 offset1:10
	s_wait_dscnt 0x2
	v_dual_add_f32 v32, v36, v32 :: v_dual_add_f32 v33, v37, v33
	s_delay_alu instid0(VALU_DEP_1) | instskip(SKIP_3) | instid1(VALU_DEP_1)
	v_dual_add_f32 v36, v32, v34 :: v_dual_add_f32 v37, v33, v35
	ds_load_2addr_b64 v[32:35], v121 offset0:11 offset1:12
	s_wait_dscnt 0x2
	v_dual_add_f32 v8, v36, v8 :: v_dual_add_f32 v9, v37, v9
	v_dual_add_f32 v36, v8, v10 :: v_dual_add_f32 v37, v9, v11
	ds_load_2addr_b64 v[8:11], v121 offset0:13 offset1:14
	s_wait_dscnt 0x2
	v_dual_add_f32 v16, v36, v16 :: v_dual_add_f32 v17, v37, v17
	s_delay_alu instid0(VALU_DEP_1) | instskip(SKIP_3) | instid1(VALU_DEP_1)
	v_dual_add_f32 v18, v16, v18 :: v_dual_add_f32 v19, v17, v19
	ds_load_b64 v[16:17], v122
	s_wait_dscnt 0x2
	v_dual_add_f32 v18, v18, v32 :: v_dual_add_f32 v19, v19, v33
	v_dual_add_f32 v18, v18, v34 :: v_dual_add_f32 v19, v19, v35
	s_wait_dscnt 0x1
	s_delay_alu instid0(VALU_DEP_1) | instskip(NEXT) | instid1(VALU_DEP_1)
	v_dual_add_f32 v8, v18, v8 :: v_dual_add_f32 v9, v19, v9
	v_dual_add_f32 v10, v8, v10 :: v_dual_add_f32 v11, v9, v11
	v_lshlrev_b64_e32 v[8:9], 3, v[67:68]
	s_wait_dscnt 0x0
	s_delay_alu instid0(VALU_DEP_2) | instskip(NEXT) | instid1(VALU_DEP_2)
	v_dual_add_f32 v10, v10, v16 :: v_dual_add_f32 v11, v11, v17
	v_add_co_u32 v8, vcc_lo, s56, v8
	s_wait_alu 0xfffd
	s_delay_alu instid0(VALU_DEP_3)
	v_add_co_ci_u32_e64 v9, null, s57, v9, vcc_lo
	global_store_b64 v[8:9], v[10:11], off
.LBB6_161:                              ;   in Loop: Header=BB6_111 Depth=2
	s_wait_alu 0xfffe
	s_or_b32 exec_lo, exec_lo, s22
	v_dual_mul_f32 v8, v70, v1 :: v_dual_mul_f32 v9, v72, v3
	v_dual_mul_f32 v3, v71, v3 :: v_dual_mul_f32 v10, v74, v5
	v_add_co_u32 v189, vcc_lo, v189, s52
	s_delay_alu instid0(VALU_DEP_3)
	v_fma_f32 v8, v69, v0, -v8
	v_mul_f32_e32 v11, v76, v7
	v_fma_f32 v9, v71, v2, -v9
	v_fmac_f32_e32 v3, v72, v2
	v_dual_mul_f32 v7, v75, v7 :: v_dual_mul_f32 v16, v80, v13
	v_add_f32_e32 v8, v65, v8
	v_fma_f32 v2, v75, v6, -v11
	v_mul_f32_e32 v13, v79, v13
	s_wait_alu 0xfffd
	v_add_co_ci_u32_e64 v190, null, s53, v190, vcc_lo
	v_dual_add_f32 v8, v8, v9 :: v_dual_mul_f32 v9, v78, v15
	v_mul_f32_e32 v1, v69, v1
	v_add_co_u32 v191, vcc_lo, v191, s52
	s_wait_alu 0xfffd
	v_add_co_ci_u32_e64 v192, null, s53, v192, vcc_lo
	s_delay_alu instid0(VALU_DEP_3) | instskip(SKIP_4) | instid1(VALU_DEP_3)
	v_fmac_f32_e32 v1, v70, v0
	v_fma_f32 v0, v73, v4, -v10
	v_add_co_u32 v193, vcc_lo, v193, s52
	s_wait_alu 0xfffd
	v_add_co_ci_u32_e64 v194, null, s53, v194, vcc_lo
	v_dual_add_f32 v0, v8, v0 :: v_dual_mul_f32 v5, v73, v5
	v_dual_mul_f32 v8, v77, v15 :: v_dual_fmac_f32 v13, v80, v12
	v_add_co_u32 v195, vcc_lo, v195, s52
	s_delay_alu instid0(VALU_DEP_3)
	v_dual_add_f32 v0, v0, v2 :: v_dual_fmac_f32 v5, v74, v4
	v_fma_f32 v4, v77, v14, -v9
	v_add_f32_e32 v1, v66, v1
	v_mul_f32_e32 v2, v82, v21
	v_fmac_f32_e32 v8, v78, v14
	s_wait_alu 0xfffd
	v_add_co_ci_u32_e64 v196, null, s53, v196, vcc_lo
	v_add_f32_e32 v1, v1, v3
	v_fma_f32 v3, v79, v12, -v16
	v_fma_f32 v2, v81, v20, -v2
	v_add_co_u32 v197, vcc_lo, v197, s52
	s_wait_alu 0xfffd
	v_add_co_ci_u32_e64 v198, null, s53, v198, vcc_lo
	v_add_f32_e32 v0, v0, v3
	v_mul_f32_e32 v3, v84, v23
	v_add_co_u32 v199, vcc_lo, v199, s52
	s_wait_alu 0xfffd
	v_add_co_ci_u32_e64 v200, null, s53, v200, vcc_lo
	v_add_f32_e32 v0, v0, v4
	v_dual_mul_f32 v4, v81, v21 :: v_dual_fmac_f32 v7, v76, v6
	v_add_f32_e32 v1, v1, v5
	v_add_co_u32 v201, vcc_lo, v201, s52
	s_delay_alu instid0(VALU_DEP_4) | instskip(NEXT) | instid1(VALU_DEP_3)
	v_add_f32_e32 v0, v0, v2
	v_dual_fmac_f32 v4, v82, v20 :: v_dual_add_f32 v1, v1, v7
	v_mul_f32_e32 v2, v88, v25
	s_wait_alu 0xfffd
	v_add_co_ci_u32_e64 v202, null, s53, v202, vcc_lo
	v_add_co_u32 v203, vcc_lo, v203, s52
	v_add_f32_e32 v1, v1, v13
	v_fma_f32 v2, v87, v24, -v2
	s_wait_alu 0xfffd
	v_add_co_ci_u32_e64 v204, null, s53, v204, vcc_lo
	v_add_co_u32 v205, vcc_lo, v205, s52
	v_add_f32_e32 v1, v1, v8
	s_wait_alu 0xfffd
	v_add_co_ci_u32_e64 v206, null, s53, v206, vcc_lo
	v_add_co_u32 v207, vcc_lo, v207, s52
	s_delay_alu instid0(VALU_DEP_3)
	v_dual_add_f32 v1, v1, v4 :: v_dual_mul_f32 v4, v87, v25
	v_fma_f32 v3, v83, v22, -v3
	v_mul_f32_e32 v5, v83, v23
	s_wait_alu 0xfffd
	v_add_co_ci_u32_e64 v208, null, s53, v208, vcc_lo
	v_fmac_f32_e32 v4, v88, v24
	v_add_f32_e32 v0, v0, v3
	v_fmac_f32_e32 v5, v84, v22
	v_add_co_u32 v209, vcc_lo, v209, s52
	s_wait_alu 0xfffd
	v_add_co_ci_u32_e64 v210, null, s53, v210, vcc_lo
	v_dual_add_f32 v0, v0, v2 :: v_dual_mul_f32 v3, v86, v27
	v_add_co_u32 v211, vcc_lo, v211, s52
	s_wait_alu 0xfffd
	v_add_co_ci_u32_e64 v212, null, s53, v212, vcc_lo
	s_delay_alu instid0(VALU_DEP_3) | instskip(SKIP_3) | instid1(VALU_DEP_4)
	v_fma_f32 v2, v85, v26, -v3
	v_mul_f32_e32 v3, v90, v29
	v_add_co_u32 v213, vcc_lo, v213, s52
	v_mul_f32_e32 v6, v99, v47
	v_add_f32_e32 v0, v0, v2
	s_delay_alu instid0(VALU_DEP_4)
	v_fma_f32 v2, v89, v28, -v3
	v_mul_f32_e32 v3, v92, v31
	s_wait_alu 0xfffd
	v_add_co_ci_u32_e64 v214, null, s53, v214, vcc_lo
	v_fmac_f32_e32 v6, v100, v46
	v_add_f32_e32 v0, v0, v2
	v_fma_f32 v2, v91, v30, -v3
	v_mul_f32_e32 v3, v94, v41
	v_add_co_u32 v215, vcc_lo, v215, s52
	s_wait_alu 0xfffd
	v_add_co_ci_u32_e64 v216, null, s53, v216, vcc_lo
	v_add_f32_e32 v0, v0, v2
	v_fma_f32 v2, v93, v40, -v3
	v_add_f32_e32 v1, v1, v5
	v_mul_f32_e32 v5, v85, v27
	v_mul_f32_e32 v3, v96, v43
	v_add_co_u32 v217, vcc_lo, v217, s52
	v_add_f32_e32 v0, v0, v2
	s_delay_alu instid0(VALU_DEP_4) | instskip(NEXT) | instid1(VALU_DEP_4)
	v_fmac_f32_e32 v5, v86, v26
	v_fma_f32 v2, v95, v42, -v3
	v_add_f32_e32 v1, v1, v4
	v_dual_mul_f32 v4, v89, v29 :: v_dual_mul_f32 v3, v95, v43
	s_wait_alu 0xfffd
	v_add_co_ci_u32_e64 v218, null, s53, v218, vcc_lo
	v_add_f32_e32 v0, v0, v2
	s_delay_alu instid0(VALU_DEP_3)
	v_fmac_f32_e32 v4, v90, v28
	v_mul_f32_e32 v2, v97, v45
	v_add_f32_e32 v1, v1, v5
	v_mul_f32_e32 v5, v91, v31
	v_fmac_f32_e32 v3, v96, v42
	v_add_co_u32 v219, vcc_lo, v219, s52
	s_delay_alu instid0(VALU_DEP_4) | instskip(SKIP_4) | instid1(VALU_DEP_3)
	v_add_f32_e32 v1, v1, v4
	v_mul_f32_e32 v4, v93, v41
	v_dual_fmac_f32 v2, v98, v44 :: v_dual_fmac_f32 v5, v92, v30
	s_wait_alu 0xfffd
	v_add_co_ci_u32_e64 v220, null, s53, v220, vcc_lo
	v_fmac_f32_e32 v4, v94, v40
	v_add_co_u32 v221, vcc_lo, v221, s52
	v_add_f32_e32 v1, v1, v5
	v_mul_f32_e32 v5, v98, v45
	s_wait_alu 0xfffd
	v_add_co_ci_u32_e64 v222, null, s53, v222, vcc_lo
	v_add_co_u32 v223, vcc_lo, v223, s52
	v_add_f32_e32 v1, v1, v4
	v_fma_f32 v4, v97, v44, -v5
	v_mul_f32_e32 v5, v100, v47
	s_wait_alu 0xfffd
	v_add_co_ci_u32_e64 v224, null, s53, v224, vcc_lo
	s_delay_alu instid0(VALU_DEP_3) | instskip(NEXT) | instid1(VALU_DEP_3)
	v_dual_add_f32 v1, v1, v3 :: v_dual_add_f32 v0, v0, v4
	v_fma_f32 v3, v99, v46, -v5
	v_add_co_u32 v225, vcc_lo, v225, s52
	s_delay_alu instid0(VALU_DEP_3) | instskip(SKIP_3) | instid1(VALU_DEP_3)
	v_add_f32_e32 v1, v1, v2
	s_wait_alu 0xfffd
	v_add_co_ci_u32_e64 v226, null, s53, v226, vcc_lo
	v_add_co_u32 v227, vcc_lo, v227, s52
	v_dual_add_f32 v65, v0, v3 :: v_dual_add_f32 v66, v1, v6
	v_add_nc_u32_e32 v67, 64, v67
	s_wait_alu 0xfffd
	v_add_co_ci_u32_e64 v228, null, s53, v228, vcc_lo
	s_add_co_i32 s59, s67, 2
	s_add_co_i32 s22, s67, 1
	;; [unrolled: 1-line block ×3, first 2 shown]
	s_wait_alu 0xfffe
	s_cmp_ge_u32 s59, s36
	s_wait_loadcnt 0x0
	s_wait_storecnt 0x0
	s_barrier_signal -1
	s_barrier_wait -1
	global_inv scope:SCOPE_SE
	s_cbranch_scc1 .LBB6_163
; %bb.162:                              ;   in Loop: Header=BB6_111 Depth=2
	s_mov_b32 s67, s22
	s_wait_alu 0xfffe
	s_cmp_eq_u32 s64, s67
	s_cselect_b32 s68, s33, 0
	s_and_saveexec_b32 s22, s0
	s_cbranch_execnz .LBB6_107
	s_branch .LBB6_111
.LBB6_163:                              ;   in Loop: Header=BB6_4 Depth=1
	ds_store_b64 v138, v[65:66]
	s_wait_loadcnt_dscnt 0x0
	s_barrier_signal -1
	s_barrier_wait -1
	global_inv scope:SCOPE_SE
	s_and_saveexec_b32 s22, s66
	s_cbranch_execz .LBB6_2
; %bb.164:                              ;   in Loop: Header=BB6_4 Depth=1
	ds_load_2addr_b64 v[0:3], v101 offset1:67
	ds_load_2addr_b64 v[4:7], v101 offset0:134 offset1:201
	s_wait_dscnt 0x1
	v_dual_add_f32 v0, v2, v0 :: v_dual_add_f32 v1, v3, v1
	s_wait_alu 0xfffe
	v_add_co_u32 v2, vcc_lo, s56, v61
	s_wait_alu 0xfffd
	v_add_co_ci_u32_e64 v3, null, s57, v62, vcc_lo
	s_wait_dscnt 0x0
	v_dual_add_f32 v0, v4, v0 :: v_dual_add_f32 v1, v5, v1
	s_delay_alu instid0(VALU_DEP_1)
	v_dual_add_f32 v0, v0, v6 :: v_dual_add_f32 v1, v1, v7
	global_store_b64 v[2:3], v[0:1], off
	s_branch .LBB6_2
.LBB6_165:                              ;   in Loop: Header=BB6_4 Depth=1
	ds_load_b64 v[3:4], v172
	s_mov_b32 s22, exec_lo
	s_wait_dscnt 0x0
	v_xor_b32_e32 v2, 0x80000000, v4
	ds_store_b32 v109, v3
	s_wait_alu 0xfffe
	s_or_saveexec_b32 s56, s56
	v_mov_b32_e32 v3, v109
	s_wait_alu 0xfffe
	s_xor_b32 exec_lo, exec_lo, s56
	s_cbranch_execz .LBB6_33
.LBB6_166:                              ;   in Loop: Header=BB6_4 Depth=1
	v_dual_mov_b32 v2, 0 :: v_dual_mov_b32 v3, v107
	s_and_not1_b32 s22, s22, exec_lo
	s_and_b32 s57, s9, exec_lo
	s_wait_alu 0xfffe
	s_or_b32 s22, s22, s57
	s_or_b32 exec_lo, exec_lo, s56
	s_wait_alu 0xfffe
	s_and_saveexec_b32 s56, s22
	s_cbranch_execnz .LBB6_34
	s_branch .LBB6_35
.LBB6_167:                              ;   in Loop: Header=BB6_4 Depth=1
	ds_load_b64 v[3:4], v172
	s_mov_b32 s22, exec_lo
	s_wait_dscnt 0x0
	v_xor_b32_e32 v2, 0x80000000, v4
	ds_store_b32 v109, v3
	s_wait_alu 0xfffe
	s_or_saveexec_b32 s56, s56
	v_mov_b32_e32 v3, v109
	s_wait_alu 0xfffe
	s_xor_b32 exec_lo, exec_lo, s56
	s_cbranch_execz .LBB6_71
.LBB6_168:                              ;   in Loop: Header=BB6_4 Depth=1
	v_dual_mov_b32 v2, 0 :: v_dual_mov_b32 v3, v107
	s_and_not1_b32 s22, s22, exec_lo
	s_and_b32 s57, s9, exec_lo
	s_wait_alu 0xfffe
	s_or_b32 s22, s22, s57
	s_or_b32 exec_lo, exec_lo, s56
	s_wait_alu 0xfffe
	s_and_saveexec_b32 s56, s22
	s_cbranch_execnz .LBB6_72
	s_branch .LBB6_73
.LBB6_169:                              ;   in Loop: Header=BB6_4 Depth=1
	global_load_b64 v[4:5], v[0:1], off
	s_wait_loadcnt 0x0
	ds_store_b64 v170, v[4:5]
	s_or_b32 exec_lo, exec_lo, s22
	s_and_saveexec_b32 s22, s3
	s_wait_alu 0xfffe
	s_xor_b32 s22, exec_lo, s22
	s_cbranch_execz .LBB6_16
.LBB6_170:                              ;   in Loop: Header=BB6_4 Depth=1
	v_mov_b32_e32 v64, v63
	ds_store_b64 v170, v[63:64] offset:2112
	s_wait_alu 0xfffe
	s_and_not1_saveexec_b32 s22, s22
	s_cbranch_execz .LBB6_17
.LBB6_171:                              ;   in Loop: Header=BB6_4 Depth=1
	s_lshl_b64 s[56:57], s[40:41], 3
	s_wait_alu 0xfffe
	v_add_co_u32 v4, vcc_lo, v0, s56
	s_wait_alu 0xfffd
	v_add_co_ci_u32_e64 v5, null, s57, v1, vcc_lo
	global_load_b64 v[4:5], v[4:5], off
	s_wait_loadcnt 0x0
	ds_store_b64 v170, v[4:5] offset:2112
	s_or_b32 exec_lo, exec_lo, s22
	s_and_saveexec_b32 s22, s4
	s_wait_alu 0xfffe
	s_xor_b32 s22, exec_lo, s22
	s_cbranch_execz .LBB6_18
.LBB6_172:                              ;   in Loop: Header=BB6_4 Depth=1
	v_mov_b32_e32 v64, v63
	ds_store_b64 v170, v[63:64] offset:4224
	s_wait_alu 0xfffe
	s_and_not1_saveexec_b32 s22, s22
	s_cbranch_execz .LBB6_19
.LBB6_173:                              ;   in Loop: Header=BB6_4 Depth=1
	v_add_co_u32 v4, vcc_lo, v0, s50
	s_wait_alu 0xfffd
	v_add_co_ci_u32_e64 v5, null, s51, v1, vcc_lo
	global_load_b64 v[4:5], v[4:5], off
	s_wait_loadcnt 0x0
	ds_store_b64 v170, v[4:5] offset:4224
	s_wait_alu 0xfffe
	s_or_b32 exec_lo, exec_lo, s22
	s_and_saveexec_b32 s22, s5
	s_wait_alu 0xfffe
	s_xor_b32 s22, exec_lo, s22
	s_cbranch_execz .LBB6_20
.LBB6_174:                              ;   in Loop: Header=BB6_4 Depth=1
	v_mov_b32_e32 v64, v63
	ds_store_b64 v170, v[63:64] offset:6336
	s_wait_alu 0xfffe
	s_and_not1_saveexec_b32 s22, s22
	s_cbranch_execnz .LBB6_21
	s_branch .LBB6_22
.LBB6_175:                              ;   in Loop: Header=BB6_4 Depth=1
	global_load_b64 v[6:7], v[0:1], off
	s_wait_loadcnt 0x0
	ds_store_b64 v170, v[6:7]
	s_or_b32 exec_lo, exec_lo, s22
	s_and_saveexec_b32 s22, s17
	s_wait_alu 0xfffe
	s_xor_b32 s22, exec_lo, s22
	s_cbranch_execz .LBB6_54
.LBB6_176:                              ;   in Loop: Header=BB6_4 Depth=1
	v_mov_b32_e32 v64, v63
	ds_store_b64 v170, v[63:64] offset:2112
	s_wait_alu 0xfffe
	s_and_not1_saveexec_b32 s22, s22
	s_cbranch_execz .LBB6_55
.LBB6_177:                              ;   in Loop: Header=BB6_4 Depth=1
	s_lshl_b64 s[56:57], s[40:41], 3
	s_wait_alu 0xfffe
	v_add_co_u32 v6, vcc_lo, v0, s56
	s_wait_alu 0xfffd
	v_add_co_ci_u32_e64 v7, null, s57, v1, vcc_lo
	global_load_b64 v[6:7], v[6:7], off
	s_wait_loadcnt 0x0
	ds_store_b64 v170, v[6:7] offset:2112
	s_or_b32 exec_lo, exec_lo, s22
	s_and_saveexec_b32 s22, s18
	s_wait_alu 0xfffe
	s_xor_b32 s22, exec_lo, s22
	s_cbranch_execz .LBB6_56
.LBB6_178:                              ;   in Loop: Header=BB6_4 Depth=1
	v_mov_b32_e32 v64, v63
	ds_store_b64 v170, v[63:64] offset:4224
	s_wait_alu 0xfffe
	s_and_not1_saveexec_b32 s22, s22
	s_cbranch_execz .LBB6_57
.LBB6_179:                              ;   in Loop: Header=BB6_4 Depth=1
	v_add_co_u32 v6, vcc_lo, v0, s50
	s_wait_alu 0xfffd
	v_add_co_ci_u32_e64 v7, null, s51, v1, vcc_lo
	global_load_b64 v[6:7], v[6:7], off
	s_wait_loadcnt 0x0
	ds_store_b64 v170, v[6:7] offset:4224
	s_wait_alu 0xfffe
	s_or_b32 exec_lo, exec_lo, s22
	s_and_saveexec_b32 s22, s19
	s_wait_alu 0xfffe
	s_xor_b32 s22, exec_lo, s22
	s_cbranch_execz .LBB6_58
.LBB6_180:                              ;   in Loop: Header=BB6_4 Depth=1
	v_mov_b32_e32 v64, v63
	ds_store_b64 v170, v[63:64] offset:6336
	s_wait_alu 0xfffe
	s_and_not1_saveexec_b32 s22, s22
	s_cbranch_execnz .LBB6_59
	s_branch .LBB6_60
.LBB6_181:                              ;   in Loop: Header=BB6_4 Depth=1
	global_load_b64 v[6:7], v[4:5], off
	s_wait_loadcnt 0x0
	ds_store_b64 v170, v[6:7]
	s_or_b32 exec_lo, exec_lo, s22
	s_and_saveexec_b32 s22, s17
	s_wait_alu 0xfffe
	s_xor_b32 s22, exec_lo, s22
	s_cbranch_execz .LBB6_92
.LBB6_182:                              ;   in Loop: Header=BB6_4 Depth=1
	v_mov_b32_e32 v64, v63
	ds_store_b64 v170, v[63:64] offset:2112
	s_wait_alu 0xfffe
	s_and_not1_saveexec_b32 s22, s22
	s_cbranch_execz .LBB6_93
.LBB6_183:                              ;   in Loop: Header=BB6_4 Depth=1
	s_lshl_b64 s[56:57], s[40:41], 3
	s_wait_alu 0xfffe
	v_add_co_u32 v6, vcc_lo, v4, s56
	s_wait_alu 0xfffd
	v_add_co_ci_u32_e64 v7, null, s57, v5, vcc_lo
	global_load_b64 v[6:7], v[6:7], off
	s_wait_loadcnt 0x0
	ds_store_b64 v170, v[6:7] offset:2112
	s_or_b32 exec_lo, exec_lo, s22
	s_and_saveexec_b32 s22, s18
	s_wait_alu 0xfffe
	s_xor_b32 s22, exec_lo, s22
	s_cbranch_execz .LBB6_94
.LBB6_184:                              ;   in Loop: Header=BB6_4 Depth=1
	v_mov_b32_e32 v64, v63
	ds_store_b64 v170, v[63:64] offset:4224
	s_wait_alu 0xfffe
	s_and_not1_saveexec_b32 s22, s22
	s_cbranch_execz .LBB6_95
.LBB6_185:                              ;   in Loop: Header=BB6_4 Depth=1
	v_add_co_u32 v6, vcc_lo, v4, s50
	s_wait_alu 0xfffd
	v_add_co_ci_u32_e64 v7, null, s51, v5, vcc_lo
	global_load_b64 v[6:7], v[6:7], off
	s_wait_loadcnt 0x0
	ds_store_b64 v170, v[6:7] offset:4224
	s_wait_alu 0xfffe
	s_or_b32 exec_lo, exec_lo, s22
	s_and_saveexec_b32 s22, s19
	s_wait_alu 0xfffe
	s_xor_b32 s22, exec_lo, s22
	s_cbranch_execz .LBB6_96
.LBB6_186:                              ;   in Loop: Header=BB6_4 Depth=1
	v_mov_b32_e32 v64, v63
	ds_store_b64 v170, v[63:64] offset:6336
	s_wait_alu 0xfffe
	s_and_not1_saveexec_b32 s22, s22
	s_cbranch_execnz .LBB6_97
	s_branch .LBB6_98
.LBB6_187:
	s_nop 0
	s_sendmsg sendmsg(MSG_DEALLOC_VGPRS)
	s_endpgm
	.section	.rodata,"a",@progbits
	.p2align	6, 0x0
	.amdhsa_kernel _ZL26rocblas_hemvn_kernel_upperILb1ELi64ELi4ELi33ELi32ELi16Ei19rocblas_complex_numIfEPKS1_PS1_EviT6_lT7_lT5_lS6_lS7_lS5_lT8_i
		.amdhsa_group_segment_fixed_size 9600
		.amdhsa_private_segment_fixed_size 0
		.amdhsa_kernarg_size 376
		.amdhsa_user_sgpr_count 2
		.amdhsa_user_sgpr_dispatch_ptr 0
		.amdhsa_user_sgpr_queue_ptr 0
		.amdhsa_user_sgpr_kernarg_segment_ptr 1
		.amdhsa_user_sgpr_dispatch_id 0
		.amdhsa_user_sgpr_private_segment_size 0
		.amdhsa_wavefront_size32 1
		.amdhsa_uses_dynamic_stack 0
		.amdhsa_enable_private_segment 0
		.amdhsa_system_sgpr_workgroup_id_x 1
		.amdhsa_system_sgpr_workgroup_id_y 0
		.amdhsa_system_sgpr_workgroup_id_z 1
		.amdhsa_system_sgpr_workgroup_info 0
		.amdhsa_system_vgpr_workitem_id 1
		.amdhsa_next_free_vgpr 237
		.amdhsa_next_free_sgpr 82
		.amdhsa_reserve_vcc 1
		.amdhsa_float_round_mode_32 0
		.amdhsa_float_round_mode_16_64 0
		.amdhsa_float_denorm_mode_32 3
		.amdhsa_float_denorm_mode_16_64 3
		.amdhsa_fp16_overflow 0
		.amdhsa_workgroup_processor_mode 1
		.amdhsa_memory_ordered 1
		.amdhsa_forward_progress 1
		.amdhsa_inst_pref_size 94
		.amdhsa_round_robin_scheduling 0
		.amdhsa_exception_fp_ieee_invalid_op 0
		.amdhsa_exception_fp_denorm_src 0
		.amdhsa_exception_fp_ieee_div_zero 0
		.amdhsa_exception_fp_ieee_overflow 0
		.amdhsa_exception_fp_ieee_underflow 0
		.amdhsa_exception_fp_ieee_inexact 0
		.amdhsa_exception_int_div_zero 0
	.end_amdhsa_kernel
	.section	.text._ZL26rocblas_hemvn_kernel_upperILb1ELi64ELi4ELi33ELi32ELi16Ei19rocblas_complex_numIfEPKS1_PS1_EviT6_lT7_lT5_lS6_lS7_lS5_lT8_i,"axG",@progbits,_ZL26rocblas_hemvn_kernel_upperILb1ELi64ELi4ELi33ELi32ELi16Ei19rocblas_complex_numIfEPKS1_PS1_EviT6_lT7_lT5_lS6_lS7_lS5_lT8_i,comdat
.Lfunc_end6:
	.size	_ZL26rocblas_hemvn_kernel_upperILb1ELi64ELi4ELi33ELi32ELi16Ei19rocblas_complex_numIfEPKS1_PS1_EviT6_lT7_lT5_lS6_lS7_lS5_lT8_i, .Lfunc_end6-_ZL26rocblas_hemvn_kernel_upperILb1ELi64ELi4ELi33ELi32ELi16Ei19rocblas_complex_numIfEPKS1_PS1_EviT6_lT7_lT5_lS6_lS7_lS5_lT8_i
                                        ; -- End function
	.set _ZL26rocblas_hemvn_kernel_upperILb1ELi64ELi4ELi33ELi32ELi16Ei19rocblas_complex_numIfEPKS1_PS1_EviT6_lT7_lT5_lS6_lS7_lS5_lT8_i.num_vgpr, 237
	.set _ZL26rocblas_hemvn_kernel_upperILb1ELi64ELi4ELi33ELi32ELi16Ei19rocblas_complex_numIfEPKS1_PS1_EviT6_lT7_lT5_lS6_lS7_lS5_lT8_i.num_agpr, 0
	.set _ZL26rocblas_hemvn_kernel_upperILb1ELi64ELi4ELi33ELi32ELi16Ei19rocblas_complex_numIfEPKS1_PS1_EviT6_lT7_lT5_lS6_lS7_lS5_lT8_i.numbered_sgpr, 82
	.set _ZL26rocblas_hemvn_kernel_upperILb1ELi64ELi4ELi33ELi32ELi16Ei19rocblas_complex_numIfEPKS1_PS1_EviT6_lT7_lT5_lS6_lS7_lS5_lT8_i.num_named_barrier, 0
	.set _ZL26rocblas_hemvn_kernel_upperILb1ELi64ELi4ELi33ELi32ELi16Ei19rocblas_complex_numIfEPKS1_PS1_EviT6_lT7_lT5_lS6_lS7_lS5_lT8_i.private_seg_size, 0
	.set _ZL26rocblas_hemvn_kernel_upperILb1ELi64ELi4ELi33ELi32ELi16Ei19rocblas_complex_numIfEPKS1_PS1_EviT6_lT7_lT5_lS6_lS7_lS5_lT8_i.uses_vcc, 1
	.set _ZL26rocblas_hemvn_kernel_upperILb1ELi64ELi4ELi33ELi32ELi16Ei19rocblas_complex_numIfEPKS1_PS1_EviT6_lT7_lT5_lS6_lS7_lS5_lT8_i.uses_flat_scratch, 0
	.set _ZL26rocblas_hemvn_kernel_upperILb1ELi64ELi4ELi33ELi32ELi16Ei19rocblas_complex_numIfEPKS1_PS1_EviT6_lT7_lT5_lS6_lS7_lS5_lT8_i.has_dyn_sized_stack, 0
	.set _ZL26rocblas_hemvn_kernel_upperILb1ELi64ELi4ELi33ELi32ELi16Ei19rocblas_complex_numIfEPKS1_PS1_EviT6_lT7_lT5_lS6_lS7_lS5_lT8_i.has_recursion, 0
	.set _ZL26rocblas_hemvn_kernel_upperILb1ELi64ELi4ELi33ELi32ELi16Ei19rocblas_complex_numIfEPKS1_PS1_EviT6_lT7_lT5_lS6_lS7_lS5_lT8_i.has_indirect_call, 0
	.section	.AMDGPU.csdata,"",@progbits
; Kernel info:
; codeLenInByte = 11948
; TotalNumSgprs: 84
; NumVgprs: 237
; ScratchSize: 0
; MemoryBound: 1
; FloatMode: 240
; IeeeMode: 1
; LDSByteSize: 9600 bytes/workgroup (compile time only)
; SGPRBlocks: 0
; VGPRBlocks: 29
; NumSGPRsForWavesPerEU: 84
; NumVGPRsForWavesPerEU: 237
; Occupancy: 6
; WaveLimiterHint : 1
; COMPUTE_PGM_RSRC2:SCRATCH_EN: 0
; COMPUTE_PGM_RSRC2:USER_SGPR: 2
; COMPUTE_PGM_RSRC2:TRAP_HANDLER: 0
; COMPUTE_PGM_RSRC2:TGID_X_EN: 1
; COMPUTE_PGM_RSRC2:TGID_Y_EN: 0
; COMPUTE_PGM_RSRC2:TGID_Z_EN: 1
; COMPUTE_PGM_RSRC2:TIDIG_COMP_CNT: 1
	.section	.text._ZL36rocblas_hemvn_kernel_upper_block_sumILi64Ei19rocblas_complex_numIfEPS1_S1_EviT1_lS3_lT2_lT0_lPT3_i,"axG",@progbits,_ZL36rocblas_hemvn_kernel_upper_block_sumILi64Ei19rocblas_complex_numIfEPS1_S1_EviT1_lS3_lT2_lT0_lPT3_i,comdat
	.globl	_ZL36rocblas_hemvn_kernel_upper_block_sumILi64Ei19rocblas_complex_numIfEPS1_S1_EviT1_lS3_lT2_lT0_lPT3_i ; -- Begin function _ZL36rocblas_hemvn_kernel_upper_block_sumILi64Ei19rocblas_complex_numIfEPS1_S1_EviT1_lS3_lT2_lT0_lPT3_i
	.p2align	8
	.type	_ZL36rocblas_hemvn_kernel_upper_block_sumILi64Ei19rocblas_complex_numIfEPS1_S1_EviT1_lS3_lT2_lT0_lPT3_i,@function
_ZL36rocblas_hemvn_kernel_upper_block_sumILi64Ei19rocblas_complex_numIfEPS1_S1_EviT1_lS3_lT2_lT0_lPT3_i: ; @_ZL36rocblas_hemvn_kernel_upper_block_sumILi64Ei19rocblas_complex_numIfEPS1_S1_EviT1_lS3_lT2_lT0_lPT3_i
; %bb.0:
	s_load_b32 s3, s[0:1], 0x50
	s_lshr_b32 s12, ttmp7, 16
	s_wait_kmcnt 0x0
	s_cmp_ge_u32 s12, s3
	s_cbranch_scc1 .LBB7_21
; %bb.1:
	s_clause 0x5
	s_load_b64 s[14:15], s[0:1], 0x4
	s_load_b128 s[8:11], s[0:1], 0x28
	s_load_b64 s[16:17], s[0:1], 0x18
	s_load_b32 s24, s[0:1], 0x0
	s_load_b32 s19, s[0:1], 0x38
	s_load_b128 s[4:7], s[0:1], 0x40
	v_lshl_or_b32 v0, ttmp9, 6, v0
	s_mov_b32 s13, 0
	s_add_nc_u64 s[0:1], s[0:1], 0x58
	s_delay_alu instid0(VALU_DEP_1) | instskip(NEXT) | instid1(VALU_DEP_1)
	v_ashrrev_i32_e32 v1, 31, v0
	v_lshlrev_b64_e32 v[1:2], 3, v[0:1]
	s_wait_kmcnt 0x0
	s_or_b32 s2, s14, s15
	s_lshl_b64 s[10:11], s[10:11], 3
	s_bitset0_b32 s2, 31
	s_delay_alu instid0(SALU_CYCLE_1)
	s_cmp_eq_u32 s2, 0
	v_mul_lo_u32 v3, s19, v0
	s_cselect_b32 s18, -1, 0
	s_cmp_lg_u32 s2, 0
	v_cmp_gt_i32_e64 s2, s24, v0
	s_cselect_b32 s21, -1, 0
	s_cmp_neq_f32 s16, 1.0
	v_add_co_u32 v0, vcc_lo, s6, v1
	s_delay_alu instid0(VALU_DEP_1)
	v_add_co_ci_u32_e64 v1, null, s7, v2, vcc_lo
	s_cselect_b32 s22, -1, 0
	s_cmp_neq_f32 s17, 0
	s_add_nc_u64 s[6:7], s[8:9], s[10:11]
	v_ashrrev_i32_e32 v4, 31, v3
	v_add_co_u32 v0, vcc_lo, v0, 4
	s_cselect_b32 s8, -1, 0
	s_cmp_neq_f32 s16, 0
	v_lshlrev_b64_e32 v[2:3], 3, v[3:4]
	s_wait_alu 0xfffd
	v_add_co_ci_u32_e64 v1, null, 0, v1, vcc_lo
	s_cselect_b32 s9, -1, 0
	s_ashr_i32 s25, s24, 31
	s_or_b32 s9, s9, s8
	s_delay_alu instid0(SALU_CYCLE_1)
	s_xor_b32 s19, s9, -1
	s_wait_alu 0xfffe
	s_cmp_gt_i32 ttmp9, -1
	v_cndmask_b32_e64 v6, 0, 1, s9
	s_cselect_b32 s20, -1, 0
	s_or_b32 s8, s22, s8
	s_add_co_i32 s22, ttmp9, 1
	s_wait_alu 0xfffe
	s_or_b32 s21, s8, s21
	s_lshl_b64 s[8:9], s[24:25], 3
	s_branch .LBB7_5
.LBB7_2:                                ;   in Loop: Header=BB7_5 Depth=1
	v_add_co_u32 v7, vcc_lo, s10, v2
	s_wait_alu 0xfffd
	v_add_co_ci_u32_e64 v8, null, s11, v3, vcc_lo
	global_store_b64 v[7:8], v[4:5], off
.LBB7_3:                                ;   in Loop: Header=BB7_5 Depth=1
	s_or_b32 exec_lo, exec_lo, s23
.LBB7_4:                                ;   in Loop: Header=BB7_5 Depth=1
	s_add_co_i32 s12, s12, 0x10000
	s_wait_alu 0xfffe
	s_cmp_lt_u32 s12, s3
	s_cbranch_scc0 .LBB7_21
.LBB7_5:                                ; =>This Loop Header: Depth=1
                                        ;     Child Loop BB7_16 Depth 2
	s_and_not1_b32 vcc_lo, exec_lo, s21
	s_wait_alu 0xfffe
	s_cbranch_vccnz .LBB7_4
; %bb.6:                                ;   in Loop: Header=BB7_5 Depth=1
	s_mul_u64 s[10:11], s[4:5], s[12:13]
	s_and_not1_b32 vcc_lo, exec_lo, s18
	s_wait_alu 0xfffe
	s_lshl_b64 s[10:11], s[10:11], 3
	s_mov_b32 s23, -1
	s_wait_alu 0xfffe
	s_add_nc_u64 s[10:11], s[6:7], s[10:11]
	s_cbranch_vccnz .LBB7_12
; %bb.7:                                ;   in Loop: Header=BB7_5 Depth=1
	s_and_saveexec_b32 s23, s2
	s_cbranch_execz .LBB7_11
; %bb.8:                                ;   in Loop: Header=BB7_5 Depth=1
	v_cmp_ne_u32_e32 vcc_lo, 1, v6
	v_dual_mov_b32 v4, 0 :: v_dual_mov_b32 v5, 0
	s_cbranch_vccnz .LBB7_10
; %bb.9:                                ;   in Loop: Header=BB7_5 Depth=1
	s_wait_alu 0xfffe
	v_add_co_u32 v4, vcc_lo, s10, v2
	s_wait_alu 0xfffd
	v_add_co_ci_u32_e64 v5, null, s11, v3, vcc_lo
	global_load_b64 v[7:8], v[4:5], off
	s_wait_loadcnt 0x0
	v_mul_f32_e32 v5, s16, v8
	s_delay_alu instid0(VALU_DEP_1) | instskip(NEXT) | instid1(VALU_DEP_1)
	v_dual_mul_f32 v4, s17, v8 :: v_dual_fmac_f32 v5, s17, v7
	v_fma_f32 v4, v7, s16, -v4
.LBB7_10:                               ;   in Loop: Header=BB7_5 Depth=1
	s_wait_alu 0xfffe
	v_add_co_u32 v7, vcc_lo, s10, v2
	s_wait_alu 0xfffd
	v_add_co_ci_u32_e64 v8, null, s11, v3, vcc_lo
	global_store_b64 v[7:8], v[4:5], off
.LBB7_11:                               ;   in Loop: Header=BB7_5 Depth=1
	s_or_b32 exec_lo, exec_lo, s23
	s_mov_b32 s23, 0
.LBB7_12:                               ;   in Loop: Header=BB7_5 Depth=1
	s_delay_alu instid0(SALU_CYCLE_1)
	s_and_not1_b32 vcc_lo, exec_lo, s23
	s_wait_alu 0xfffe
	s_cbranch_vccnz .LBB7_4
; %bb.13:                               ;   in Loop: Header=BB7_5 Depth=1
	s_and_saveexec_b32 s23, s2
	s_cbranch_execz .LBB7_3
; %bb.14:                               ;   in Loop: Header=BB7_5 Depth=1
	v_dual_mov_b32 v7, 0 :: v_dual_mov_b32 v8, 0
	s_and_not1_b32 vcc_lo, exec_lo, s20
	s_wait_alu 0xfffe
	s_cbranch_vccnz .LBB7_17
; %bb.15:                               ;   in Loop: Header=BB7_5 Depth=1
	s_load_b32 s24, s[0:1], 0x0
	s_mov_b32 s25, s13
	v_mov_b32_e32 v7, 0
	s_wait_kmcnt 0x0
	s_wait_alu 0xfffe
	s_mul_u64 s[24:25], s[8:9], s[24:25]
	s_wait_alu 0xfffe
	v_mad_co_u64_u32 v[4:5], null, s24, s12, v[0:1]
	s_mov_b32 s24, s22
	v_mad_co_u64_u32 v[8:9], null, s25, s12, v[5:6]
	s_delay_alu instid0(VALU_DEP_1)
	v_dual_mov_b32 v5, v8 :: v_dual_mov_b32 v8, 0
.LBB7_16:                               ;   Parent Loop BB7_5 Depth=1
                                        ; =>  This Inner Loop Header: Depth=2
	global_load_b64 v[9:10], v[4:5], off offset:-4
	v_add_co_u32 v4, vcc_lo, v4, s8
	s_wait_alu 0xfffd
	v_add_co_ci_u32_e64 v5, null, s9, v5, vcc_lo
	s_wait_alu 0xfffe
	s_add_co_i32 s24, s24, -1
	s_wait_alu 0xfffe
	s_cmp_eq_u32 s24, 0
	s_wait_loadcnt 0x0
	v_dual_add_f32 v8, v8, v9 :: v_dual_add_f32 v7, v7, v10
	s_cbranch_scc0 .LBB7_16
.LBB7_17:                               ;   in Loop: Header=BB7_5 Depth=1
	s_delay_alu instid0(VALU_DEP_1) | instskip(SKIP_3) | instid1(VALU_DEP_2)
	v_mul_f32_e32 v5, s14, v7
	v_mul_f32_e32 v4, s15, v7
	s_and_b32 vcc_lo, exec_lo, s19
	s_mov_b32 s24, -1
	v_fmac_f32_e32 v5, s15, v8
	s_delay_alu instid0(VALU_DEP_2)
	v_fma_f32 v4, v8, s14, -v4
	s_wait_alu 0xfffe
	s_cbranch_vccz .LBB7_19
; %bb.18:                               ;   in Loop: Header=BB7_5 Depth=1
	s_mov_b32 s24, 0
.LBB7_19:                               ;   in Loop: Header=BB7_5 Depth=1
	s_wait_alu 0xfffe
	s_and_not1_b32 vcc_lo, exec_lo, s24
	s_wait_alu 0xfffe
	s_cbranch_vccnz .LBB7_2
; %bb.20:                               ;   in Loop: Header=BB7_5 Depth=1
	v_add_co_u32 v7, vcc_lo, s10, v2
	s_wait_alu 0xfffd
	v_add_co_ci_u32_e64 v8, null, s11, v3, vcc_lo
	global_load_b64 v[7:8], v[7:8], off
	s_wait_loadcnt 0x0
	v_mul_f32_e32 v9, s17, v8
	v_mul_f32_e32 v8, s16, v8
	s_delay_alu instid0(VALU_DEP_1) | instskip(NEXT) | instid1(VALU_DEP_3)
	v_fmac_f32_e32 v8, s17, v7
	v_fma_f32 v9, v7, s16, -v9
	s_delay_alu instid0(VALU_DEP_1)
	v_dual_add_f32 v5, v5, v8 :: v_dual_add_f32 v4, v4, v9
	s_branch .LBB7_2
.LBB7_21:
	s_endpgm
	.section	.rodata,"a",@progbits
	.p2align	6, 0x0
	.amdhsa_kernel _ZL36rocblas_hemvn_kernel_upper_block_sumILi64Ei19rocblas_complex_numIfEPS1_S1_EviT1_lS3_lT2_lT0_lPT3_i
		.amdhsa_group_segment_fixed_size 0
		.amdhsa_private_segment_fixed_size 0
		.amdhsa_kernarg_size 344
		.amdhsa_user_sgpr_count 2
		.amdhsa_user_sgpr_dispatch_ptr 0
		.amdhsa_user_sgpr_queue_ptr 0
		.amdhsa_user_sgpr_kernarg_segment_ptr 1
		.amdhsa_user_sgpr_dispatch_id 0
		.amdhsa_user_sgpr_private_segment_size 0
		.amdhsa_wavefront_size32 1
		.amdhsa_uses_dynamic_stack 0
		.amdhsa_enable_private_segment 0
		.amdhsa_system_sgpr_workgroup_id_x 1
		.amdhsa_system_sgpr_workgroup_id_y 0
		.amdhsa_system_sgpr_workgroup_id_z 1
		.amdhsa_system_sgpr_workgroup_info 0
		.amdhsa_system_vgpr_workitem_id 0
		.amdhsa_next_free_vgpr 11
		.amdhsa_next_free_sgpr 26
		.amdhsa_reserve_vcc 1
		.amdhsa_float_round_mode_32 0
		.amdhsa_float_round_mode_16_64 0
		.amdhsa_float_denorm_mode_32 3
		.amdhsa_float_denorm_mode_16_64 3
		.amdhsa_fp16_overflow 0
		.amdhsa_workgroup_processor_mode 1
		.amdhsa_memory_ordered 1
		.amdhsa_forward_progress 1
		.amdhsa_inst_pref_size 7
		.amdhsa_round_robin_scheduling 0
		.amdhsa_exception_fp_ieee_invalid_op 0
		.amdhsa_exception_fp_denorm_src 0
		.amdhsa_exception_fp_ieee_div_zero 0
		.amdhsa_exception_fp_ieee_overflow 0
		.amdhsa_exception_fp_ieee_underflow 0
		.amdhsa_exception_fp_ieee_inexact 0
		.amdhsa_exception_int_div_zero 0
	.end_amdhsa_kernel
	.section	.text._ZL36rocblas_hemvn_kernel_upper_block_sumILi64Ei19rocblas_complex_numIfEPS1_S1_EviT1_lS3_lT2_lT0_lPT3_i,"axG",@progbits,_ZL36rocblas_hemvn_kernel_upper_block_sumILi64Ei19rocblas_complex_numIfEPS1_S1_EviT1_lS3_lT2_lT0_lPT3_i,comdat
.Lfunc_end7:
	.size	_ZL36rocblas_hemvn_kernel_upper_block_sumILi64Ei19rocblas_complex_numIfEPS1_S1_EviT1_lS3_lT2_lT0_lPT3_i, .Lfunc_end7-_ZL36rocblas_hemvn_kernel_upper_block_sumILi64Ei19rocblas_complex_numIfEPS1_S1_EviT1_lS3_lT2_lT0_lPT3_i
                                        ; -- End function
	.set _ZL36rocblas_hemvn_kernel_upper_block_sumILi64Ei19rocblas_complex_numIfEPS1_S1_EviT1_lS3_lT2_lT0_lPT3_i.num_vgpr, 11
	.set _ZL36rocblas_hemvn_kernel_upper_block_sumILi64Ei19rocblas_complex_numIfEPS1_S1_EviT1_lS3_lT2_lT0_lPT3_i.num_agpr, 0
	.set _ZL36rocblas_hemvn_kernel_upper_block_sumILi64Ei19rocblas_complex_numIfEPS1_S1_EviT1_lS3_lT2_lT0_lPT3_i.numbered_sgpr, 26
	.set _ZL36rocblas_hemvn_kernel_upper_block_sumILi64Ei19rocblas_complex_numIfEPS1_S1_EviT1_lS3_lT2_lT0_lPT3_i.num_named_barrier, 0
	.set _ZL36rocblas_hemvn_kernel_upper_block_sumILi64Ei19rocblas_complex_numIfEPS1_S1_EviT1_lS3_lT2_lT0_lPT3_i.private_seg_size, 0
	.set _ZL36rocblas_hemvn_kernel_upper_block_sumILi64Ei19rocblas_complex_numIfEPS1_S1_EviT1_lS3_lT2_lT0_lPT3_i.uses_vcc, 1
	.set _ZL36rocblas_hemvn_kernel_upper_block_sumILi64Ei19rocblas_complex_numIfEPS1_S1_EviT1_lS3_lT2_lT0_lPT3_i.uses_flat_scratch, 0
	.set _ZL36rocblas_hemvn_kernel_upper_block_sumILi64Ei19rocblas_complex_numIfEPS1_S1_EviT1_lS3_lT2_lT0_lPT3_i.has_dyn_sized_stack, 0
	.set _ZL36rocblas_hemvn_kernel_upper_block_sumILi64Ei19rocblas_complex_numIfEPS1_S1_EviT1_lS3_lT2_lT0_lPT3_i.has_recursion, 0
	.set _ZL36rocblas_hemvn_kernel_upper_block_sumILi64Ei19rocblas_complex_numIfEPS1_S1_EviT1_lS3_lT2_lT0_lPT3_i.has_indirect_call, 0
	.section	.AMDGPU.csdata,"",@progbits
; Kernel info:
; codeLenInByte = 844
; TotalNumSgprs: 28
; NumVgprs: 11
; ScratchSize: 0
; MemoryBound: 0
; FloatMode: 240
; IeeeMode: 1
; LDSByteSize: 0 bytes/workgroup (compile time only)
; SGPRBlocks: 0
; VGPRBlocks: 1
; NumSGPRsForWavesPerEU: 28
; NumVGPRsForWavesPerEU: 11
; Occupancy: 16
; WaveLimiterHint : 0
; COMPUTE_PGM_RSRC2:SCRATCH_EN: 0
; COMPUTE_PGM_RSRC2:USER_SGPR: 2
; COMPUTE_PGM_RSRC2:TRAP_HANDLER: 0
; COMPUTE_PGM_RSRC2:TGID_X_EN: 1
; COMPUTE_PGM_RSRC2:TGID_Y_EN: 0
; COMPUTE_PGM_RSRC2:TGID_Z_EN: 1
; COMPUTE_PGM_RSRC2:TIDIG_COMP_CNT: 0
	.section	.text._ZL26rocblas_hemvn_kernel_lowerILb1ELi64ELi4ELi33ELi32ELi16ElPK19rocblas_complex_numIfES3_PS1_EviT6_lT7_lT5_lS6_lS7_lS5_lT8_i,"axG",@progbits,_ZL26rocblas_hemvn_kernel_lowerILb1ELi64ELi4ELi33ELi32ELi16ElPK19rocblas_complex_numIfES3_PS1_EviT6_lT7_lT5_lS6_lS7_lS5_lT8_i,comdat
	.globl	_ZL26rocblas_hemvn_kernel_lowerILb1ELi64ELi4ELi33ELi32ELi16ElPK19rocblas_complex_numIfES3_PS1_EviT6_lT7_lT5_lS6_lS7_lS5_lT8_i ; -- Begin function _ZL26rocblas_hemvn_kernel_lowerILb1ELi64ELi4ELi33ELi32ELi16ElPK19rocblas_complex_numIfES3_PS1_EviT6_lT7_lT5_lS6_lS7_lS5_lT8_i
	.p2align	8
	.type	_ZL26rocblas_hemvn_kernel_lowerILb1ELi64ELi4ELi33ELi32ELi16ElPK19rocblas_complex_numIfES3_PS1_EviT6_lT7_lT5_lS6_lS7_lS5_lT8_i,@function
_ZL26rocblas_hemvn_kernel_lowerILb1ELi64ELi4ELi33ELi32ELi16ElPK19rocblas_complex_numIfES3_PS1_EviT6_lT7_lT5_lS6_lS7_lS5_lT8_i: ; @_ZL26rocblas_hemvn_kernel_lowerILb1ELi64ELi4ELi33ELi32ELi16ElPK19rocblas_complex_numIfES3_PS1_EviT6_lT7_lT5_lS6_lS7_lS5_lT8_i
; %bb.0:
	s_clause 0x1
	s_load_b64 s[2:3], s[0:1], 0x84
	s_load_b32 s33, s[0:1], 0x70
	s_lshr_b32 s26, ttmp7, 16
	s_wait_kmcnt 0x0
	s_lshr_b32 s4, s2, 16
	s_and_b32 s2, s2, 0xffff
	s_and_b32 s3, s3, 0xffff
	s_mul_i32 s2, s4, s2
	s_delay_alu instid0(SALU_CYCLE_1) | instskip(NEXT) | instid1(SALU_CYCLE_1)
	s_mul_i32 s2, s2, s3
	s_cmp_lg_u32 s2, 0x100
	s_cselect_b32 s2, -1, 0
	s_cmp_ge_u32 s26, s33
	s_cselect_b32 s3, -1, 0
	s_delay_alu instid0(SALU_CYCLE_1) | instskip(NEXT) | instid1(SALU_CYCLE_1)
	s_or_b32 s2, s2, s3
	s_and_b32 vcc_lo, exec_lo, s2
	s_cbranch_vccnz .LBB8_138
; %bb.1:
	s_clause 0x2
	s_load_b32 s2, s[0:1], 0x0
	s_load_b512 s[36:51], s[0:1], 0x8
	s_load_b256 s[52:59], s[0:1], 0x48
	v_dual_mov_b32 v33, 0 :: v_dual_and_b32 v78, 0x3ff, v0
	s_lshl_b32 s22, ttmp9, 6
	s_add_nc_u64 s[4:5], s[0:1], 0x78
	v_bfe_u32 v11, v0, 10, 10
	s_delay_alu instid0(VALU_DEP_2)
	v_add_nc_u32_e32 v1, s22, v78
	s_load_b32 s24, s[4:5], 0x0
	s_load_b64 s[4:5], s[0:1], 0x68
	v_and_b32_e32 v32, 31, v0
	v_lshl_add_u32 v12, v11, 6, v78
	v_ashrrev_i32_e32 v2, 31, v1
	s_mov_b32 s25, 0
	v_lshl_add_u32 v95, v11, 5, 0x2180
	v_lshlrev_b32_e32 v13, 3, v32
	v_lshrrev_b32_e32 v10, 5, v12
	v_and_b32_e32 v17, 0x7fe0, v12
	v_mul_u32_u24_e32 v20, 33, v32
	s_wait_kmcnt 0x0
	s_ashr_i32 s3, s2, 31
	s_lshl_b64 s[0:1], s[50:51], 3
	v_mul_lo_u32 v7, s52, v2
	v_mul_lo_u32 v8, s53, v1
	v_mad_co_u64_u32 v[3:4], null, s52, v1, 0
	s_lshr_b32 s6, s3, 26
	v_mad_co_u64_u32 v[5:6], null, s44, v10, v[32:33]
	s_add_co_i32 s8, s2, s6
	s_add_co_i32 s9, s24, -1
	s_and_not1_b32 s8, s8, 63
	v_add3_u32 v4, v4, v7, v8
	s_lshl_b64 s[6:7], s[42:43], 3
	s_sub_co_i32 s8, s2, s8
	s_cmp_eq_u32 ttmp9, s9
	s_add_nc_u64 s[0:1], s[48:49], s[0:1]
	v_lshlrev_b64_e32 v[3:4], 3, v[3:4]
	s_cselect_b32 s28, s8, 0
	s_mul_i32 s8, s2, ttmp9
	s_cmp_eq_u32 s28, 0
	v_mad_co_u64_u32 v[7:8], null, s45, v10, v[6:7]
	s_cselect_b32 s72, -1, 0
	s_cmp_lg_u32 s28, 0
	v_add_co_u32 v80, s0, s0, v3
	v_lshlrev_b32_e32 v9, 2, v10
	v_lshl_or_b32 v16, v32, 8, v13
	s_wait_alu 0xf1ff
	v_add_co_ci_u32_e64 v81, null, s1, v4, s0
	s_cselect_b32 s1, -1, 0
	s_ashr_i32 s9, s8, 31
	s_ashr_i32 s23, s22, 31
	s_add_nc_u64 s[6:7], s[40:41], s[6:7]
	s_mul_u64 s[30:31], s[24:25], s[2:3]
	s_lshl_b64 s[2:3], s[8:9], 3
	s_wait_alu 0xfffe
	s_lshl_b64 s[8:9], s[22:23], 3
	s_add_nc_u64 s[34:35], s[4:5], s[2:3]
	s_add_nc_u64 s[2:3], s[6:7], s[8:9]
	v_cmp_ge_u32_e64 s7, v9, v32
	v_or_b32_e32 v18, 1, v9
	v_cmp_eq_u32_e64 s8, v9, v32
	v_add_nc_u32_e32 v86, v16, v17
	v_or_b32_e32 v16, 2, v9
	v_or_b32_e32 v9, 3, v9
	v_mov_b32_e32 v6, v7
	v_add_nc_u32_e32 v8, 16, v10
	v_add_nc_u32_e32 v91, 0x2380, v17
	v_lshlrev_b32_e32 v17, 2, v11
	v_cmp_ge_u32_e64 s13, v9, v32
	v_cmp_eq_u32_e64 s14, v9, v32
	v_or_b32_e32 v9, 32, v32
	v_lshlrev_b64_e32 v[3:4], 3, v[5:6]
	s_sub_co_i32 s20, s28, 32
	v_cmp_le_i32_e32 vcc_lo, s28, v78
	v_cmp_le_i32_e64 s5, s28, v8
	v_cmp_gt_i32_e64 s16, s28, v9
	v_cmp_le_i32_e64 s19, s20, v8
	v_mad_co_u64_u32 v[8:9], null, s44, v17, 0
	v_add_nc_u32_e32 v6, 8, v10
	v_cmp_ge_u32_e64 s11, v16, v32
	v_cmp_eq_u32_e64 s12, v16, v32
	v_lshlrev_b32_e32 v16, 3, v10
	v_lshlrev_b32_e32 v89, 3, v20
	s_and_b32 s1, s1, vcc_lo
	v_add_co_u32 v3, vcc_lo, s2, v3
	s_mul_u64 s[60:61], s[44:45], s[22:23]
	v_add_co_ci_u32_e64 v4, null, s3, v4, vcc_lo
	s_lshl_b64 s[2:3], s[60:61], 3
	v_lshlrev_b32_e32 v79, 3, v78
	v_add_nc_u32_e32 v15, 24, v10
	v_cmp_le_i32_e64 s4, s28, v6
	v_add_nc_u32_e32 v92, v89, v16
	v_cmp_le_i32_e64 s18, s20, v6
	v_mov_b32_e32 v6, v9
	s_wait_alu 0xfffe
	v_add_co_u32 v83, vcc_lo, v3, s2
	s_wait_alu 0xfffd
	v_add_co_ci_u32_e64 v84, null, s3, v4, vcc_lo
	v_sub_co_u32 v3, s3, 0, v32
	v_mul_u32_u24_e32 v14, 0x108, v10
	s_wait_alu 0xf1ff
	v_sub_co_ci_u32_e64 v4, null, 0, 0, s3
	v_cmp_le_i32_e64 s3, s28, v10
	v_cmp_le_i32_e64 s6, s28, v15
	v_mul_u32_u24_e32 v19, 0x420, v10
	v_cmp_le_i32_e64 s17, s20, v10
	v_cmp_le_i32_e64 s20, s20, v15
	v_cmp_eq_u32_e64 s21, 1, v10
	v_mul_i32_i24_e32 v15, 0xffffffe8, v10
	v_mad_u32_u24 v93, v10, 24, v92
	v_mad_co_u64_u32 v[9:10], null, s45, v17, v[6:7]
	v_lshrrev_b32_e32 v10, 4, v12
	v_sub_co_u32 v5, vcc_lo, 0, v5
	v_and_b32_e32 v17, 15, v0
	s_wait_alu 0xfffd
	v_sub_co_ci_u32_e64 v6, null, 0, v7, vcc_lo
	v_and_b32_e32 v0, 48, v0
	v_lshlrev_b32_e32 v7, 5, v10
	v_cmp_ge_u32_e64 s9, v18, v32
	v_cmp_eq_u32_e64 s10, v18, v32
	v_mul_u32_u24_e32 v18, 0x108, v18
	v_lshlrev_b32_e32 v0, 3, v0
	v_or_b32_e32 v20, 0x78, v79
	v_mad_u32_u24 v97, 0x218, v17, v7
	v_mul_i32_i24_e32 v7, 0xffffffe8, v10
	v_cmp_eq_u32_e64 s0, 0, v11
	s_mul_u64 s[22:23], s[52:53], s[22:23]
	s_lshl_b64 s[50:51], s[44:45], 5
	v_lshlrev_b64_e32 v[34:35], 3, v[3:4]
	v_lshlrev_b64_e32 v[36:37], 3, v[5:6]
	;; [unrolled: 1-line block ×4, first 2 shown]
	v_add_nc_u32_e32 v82, 0x2380, v79
	s_lshl_b64 s[40:41], s[44:45], 6
	s_lshl_b64 s[42:43], s[44:45], 7
	v_cmp_gt_i32_e64 s2, s28, v32
	s_ashr_i32 s29, s28, 31
	v_mad_u32_u24 v85, 0x108, v32, v13
	v_add_nc_u32_e32 v87, 8, v86
	v_add_nc_u32_e32 v88, 16, v86
	;; [unrolled: 1-line block ×3, first 2 shown]
	v_cmp_gt_u32_e64 s15, 32, v12
	s_xor_b32 s24, s1, -1
	s_wait_alu 0xfffe
	s_sub_nc_u64 s[66:67], 0, s[22:23]
	v_add_nc_u32_e32 v94, 0x2180, v79
	v_mad_u32_u24 v96, 0x860, v11, v79
	v_cmp_gt_u32_e64 s22, 64, v12
	v_mad_u32_u24 v98, 0x218, v17, v0
	v_mad_u32_u24 v99, 0x218, v17, v20
	;; [unrolled: 1-line block ×3, first 2 shown]
	v_add_nc_u32_e32 v101, 0x2380, v16
	v_add_nc_u32_e32 v102, v13, v14
	;; [unrolled: 1-line block ×6, first 2 shown]
	v_lshlrev_b32_e32 v107, 3, v32
	s_sub_nc_u64 s[64:65], 0, s[50:51]
	s_cmp_gt_i32 ttmp9, 0
	s_sub_nc_u64 s[68:69], 0, s[60:61]
	s_mul_u64 s[48:49], s[44:45], 0xc0
	s_cselect_b32 s73, -1, 0
	s_and_b32 s74, s0, s24
	s_sub_nc_u64 s[60:61], 0, s[28:29]
	s_lshl_b64 s[62:63], s[44:45], 3
	s_mul_u64 s[44:45], s[44:45], 0x68
	s_lshl_b64 s[64:65], s[64:65], 3
	s_lshl_b64 s[66:67], s[66:67], 3
	;; [unrolled: 1-line block ×3, first 2 shown]
	s_branch .LBB8_4
.LBB8_2:                                ;   in Loop: Header=BB8_4 Depth=1
	s_wait_alu 0xfffe
	s_or_b32 exec_lo, exec_lo, s23
.LBB8_3:                                ;   in Loop: Header=BB8_4 Depth=1
	s_add_co_i32 s26, s26, 0x10000
	s_delay_alu instid0(SALU_CYCLE_1)
	s_cmp_lt_u32 s26, s33
	s_cbranch_scc0 .LBB8_138
.LBB8_4:                                ; =>This Loop Header: Depth=1
                                        ;     Child Loop BB8_114 Depth 2
	s_mov_b32 s27, s25
	s_mov_b32 s24, -1
	s_mul_u64 s[70:71], s[38:39], s[26:27]
	s_wait_alu 0xfffe
	s_lshl_b64 s[70:71], s[70:71], 3
	s_wait_alu 0xfffe
	s_add_nc_u64 s[70:71], s[36:37], s[70:71]
	global_load_b64 v[0:1], v33, s[70:71]
	s_wait_loadcnt 0x0
	v_or_b32_e32 v0, v0, v1
	s_delay_alu instid0(VALU_DEP_1) | instskip(NEXT) | instid1(VALU_DEP_1)
	v_and_b32_e32 v0, 0x7fffffff, v0
	v_cmp_ne_u32_e64 s23, 0, v0
	s_and_b32 vcc_lo, exec_lo, s23
	s_wait_alu 0xfffe
	s_cbranch_vccnz .LBB8_6
; %bb.5:                                ;   in Loop: Header=BB8_4 Depth=1
	s_mul_u64 s[70:71], s[58:59], s[26:27]
	s_wait_alu 0xfffe
	s_lshl_b64 s[70:71], s[70:71], 3
	s_wait_alu 0xfffe
	s_add_nc_u64 s[70:71], s[56:57], s[70:71]
	global_load_b64 v[0:1], v33, s[70:71]
	s_wait_loadcnt 0x0
	v_cmp_neq_f32_e32 vcc_lo, 1.0, v0
	v_cmp_neq_f32_e64 s24, 0, v1
	s_or_b32 s24, vcc_lo, s24
.LBB8_6:                                ;   in Loop: Header=BB8_4 Depth=1
	s_wait_alu 0xfffe
	s_and_not1_b32 vcc_lo, exec_lo, s24
	s_wait_alu 0xfffe
	s_cbranch_vccnz .LBB8_3
; %bb.7:                                ;   in Loop: Header=BB8_4 Depth=1
	s_and_not1_b32 vcc_lo, exec_lo, s23
	s_wait_alu 0xfffe
	s_cbranch_vccnz .LBB8_3
; %bb.8:                                ;   in Loop: Header=BB8_4 Depth=1
	s_mul_u64 s[70:71], s[54:55], s[26:27]
	s_wait_alu 0xfffe
	s_lshl_b64 s[70:71], s[70:71], 3
	s_wait_alu 0xfffe
	v_add_co_u32 v16, vcc_lo, v80, s70
	s_wait_alu 0xfffd
	v_add_co_ci_u32_e64 v17, null, s71, v81, vcc_lo
	s_and_saveexec_b32 s23, s0
	s_cbranch_execz .LBB8_13
; %bb.9:                                ;   in Loop: Header=BB8_4 Depth=1
	s_and_saveexec_b32 s24, s1
	s_wait_alu 0xfffe
	s_xor_b32 s24, exec_lo, s24
; %bb.10:                               ;   in Loop: Header=BB8_4 Depth=1
	v_mov_b32_e32 v32, v33
	ds_store_b64 v82, v[32:33]
; %bb.11:                               ;   in Loop: Header=BB8_4 Depth=1
	s_wait_alu 0xfffe
	s_and_not1_saveexec_b32 s24, s24
	s_cbranch_execz .LBB8_13
; %bb.12:                               ;   in Loop: Header=BB8_4 Depth=1
	global_load_b64 v[0:1], v[16:17], off
	s_wait_loadcnt 0x0
	ds_store_b64 v82, v[0:1]
.LBB8_13:                               ;   in Loop: Header=BB8_4 Depth=1
	s_wait_alu 0xfffe
	s_or_b32 exec_lo, exec_lo, s23
	s_mul_u64 s[70:71], s[46:47], s[26:27]
	s_mov_b32 s23, -1
	s_wait_alu 0xfffe
	s_lshl_b64 s[70:71], s[70:71], 3
	s_wait_alu 0xfffe
	v_add_co_u32 v0, vcc_lo, v83, s70
	s_wait_alu 0xfffd
	v_add_co_ci_u32_e64 v1, null, s71, v84, vcc_lo
	s_and_not1_b32 vcc_lo, exec_lo, s72
	s_wait_alu 0xfffe
	s_cbranch_vccnz .LBB8_15
; %bb.14:                               ;   in Loop: Header=BB8_4 Depth=1
	v_add_co_u32 v2, vcc_lo, v0, s40
	s_wait_alu 0xfffd
	v_add_co_ci_u32_e64 v3, null, s41, v1, vcc_lo
	s_mov_b32 s23, 0
	v_add_co_u32 v4, vcc_lo, v2, s40
	s_wait_alu 0xfffd
	v_add_co_ci_u32_e64 v5, null, s41, v3, vcc_lo
	s_delay_alu instid0(VALU_DEP_2) | instskip(SKIP_1) | instid1(VALU_DEP_2)
	v_add_co_u32 v6, vcc_lo, v4, s40
	s_wait_alu 0xfffd
	v_add_co_ci_u32_e64 v7, null, s41, v5, vcc_lo
	s_clause 0x3
	global_load_b64 v[8:9], v[0:1], off
	global_load_b64 v[2:3], v[2:3], off
	global_load_b64 v[4:5], v[4:5], off
	global_load_b64 v[6:7], v[6:7], off
	s_wait_loadcnt 0x3
	ds_store_b64 v102, v[8:9]
	s_wait_loadcnt 0x2
	ds_store_b64 v102, v[2:3] offset:2112
	s_wait_loadcnt 0x1
	ds_store_b64 v102, v[4:5] offset:4224
	;; [unrolled: 2-line block ×3, first 2 shown]
.LBB8_15:                               ;   in Loop: Header=BB8_4 Depth=1
	s_wait_alu 0xfffe
	s_and_not1_b32 vcc_lo, exec_lo, s23
	s_wait_alu 0xfffe
	s_cbranch_vccnz .LBB8_27
; %bb.16:                               ;   in Loop: Header=BB8_4 Depth=1
	s_and_saveexec_b32 s23, s3
	s_wait_alu 0xfffe
	s_xor_b32 s23, exec_lo, s23
; %bb.17:                               ;   in Loop: Header=BB8_4 Depth=1
	v_mov_b32_e32 v32, v33
	ds_store_b64 v102, v[32:33]
; %bb.18:                               ;   in Loop: Header=BB8_4 Depth=1
	s_wait_alu 0xfffe
	s_or_saveexec_b32 s23, s23
	v_add_co_u32 v2, vcc_lo, v0, v34
	s_wait_alu 0xfffd
	v_add_co_ci_u32_e64 v3, null, v1, v35, vcc_lo
	s_lshl_b64 s[70:71], s[28:29], 3
	s_wait_alu 0xfffe
	v_add_co_u32 v2, vcc_lo, v2, s70
	s_wait_alu 0xfffd
	v_add_co_ci_u32_e64 v3, null, s71, v3, vcc_lo
	s_delay_alu instid0(VALU_DEP_2) | instskip(SKIP_1) | instid1(VALU_DEP_2)
	v_add_co_u32 v2, vcc_lo, v2, -8
	s_wait_alu 0xfffd
	v_add_co_ci_u32_e64 v3, null, -1, v3, vcc_lo
	s_delay_alu instid0(VALU_DEP_2) | instskip(NEXT) | instid1(VALU_DEP_2)
	v_cndmask_b32_e64 v2, v2, v0, s2
	v_cndmask_b32_e64 v3, v3, v1, s2
	s_xor_b32 exec_lo, exec_lo, s23
	s_cbranch_execnz .LBB8_120
; %bb.19:                               ;   in Loop: Header=BB8_4 Depth=1
	s_or_b32 exec_lo, exec_lo, s23
	s_and_saveexec_b32 s23, s4
	s_wait_alu 0xfffe
	s_xor_b32 s23, exec_lo, s23
	s_cbranch_execnz .LBB8_121
.LBB8_20:                               ;   in Loop: Header=BB8_4 Depth=1
	s_wait_alu 0xfffe
	s_and_not1_saveexec_b32 s23, s23
	s_cbranch_execnz .LBB8_122
.LBB8_21:                               ;   in Loop: Header=BB8_4 Depth=1
	s_wait_alu 0xfffe
	s_or_b32 exec_lo, exec_lo, s23
	s_and_saveexec_b32 s23, s5
	s_wait_alu 0xfffe
	s_xor_b32 s23, exec_lo, s23
	s_cbranch_execnz .LBB8_123
.LBB8_22:                               ;   in Loop: Header=BB8_4 Depth=1
	s_wait_alu 0xfffe
	s_and_not1_saveexec_b32 s23, s23
	s_cbranch_execnz .LBB8_124
.LBB8_23:                               ;   in Loop: Header=BB8_4 Depth=1
	s_wait_alu 0xfffe
	s_or_b32 exec_lo, exec_lo, s23
	s_and_saveexec_b32 s23, s6
	s_wait_alu 0xfffe
	s_xor_b32 s23, exec_lo, s23
	s_cbranch_execnz .LBB8_125
.LBB8_24:                               ;   in Loop: Header=BB8_4 Depth=1
	s_wait_alu 0xfffe
	s_and_not1_saveexec_b32 s23, s23
	s_cbranch_execz .LBB8_26
.LBB8_25:                               ;   in Loop: Header=BB8_4 Depth=1
	v_add_co_u32 v4, vcc_lo, v2, s48
	s_wait_alu 0xfffd
	v_add_co_ci_u32_e64 v5, null, s49, v3, vcc_lo
	global_load_b64 v[4:5], v[4:5], off
	s_wait_loadcnt 0x0
	ds_store_b64 v102, v[4:5] offset:6336
.LBB8_26:                               ;   in Loop: Header=BB8_4 Depth=1
	s_wait_alu 0xfffe
	s_or_b32 exec_lo, exec_lo, s23
	v_add_co_u32 v2, vcc_lo, v2, v107
	s_wait_alu 0xfffd
	v_add_co_ci_u32_e64 v3, null, 0, v3, vcc_lo
	s_lshl_b64 s[70:71], s[60:61], 3
	s_wait_alu 0xfffe
	v_add_co_u32 v2, vcc_lo, v2, s70
	s_wait_alu 0xfffd
	v_add_co_ci_u32_e64 v3, null, s71, v3, vcc_lo
	s_delay_alu instid0(VALU_DEP_2) | instskip(SKIP_1) | instid1(VALU_DEP_2)
	v_add_co_u32 v2, vcc_lo, v2, 8
	s_wait_alu 0xfffd
	v_add_co_ci_u32_e64 v3, null, 0, v3, vcc_lo
	s_delay_alu instid0(VALU_DEP_2) | instskip(NEXT) | instid1(VALU_DEP_2)
	v_cndmask_b32_e64 v0, v2, v0, s2
	v_cndmask_b32_e64 v1, v3, v1, s2
.LBB8_27:                               ;   in Loop: Header=BB8_4 Depth=1
	s_mov_b32 s23, 0
	s_wait_dscnt 0x0
	s_barrier_signal -1
	s_barrier_wait -1
	global_inv scope:SCOPE_SE
	s_and_saveexec_b32 s24, s7
	s_wait_alu 0xfffe
	s_xor_b32 s24, exec_lo, s24
; %bb.28:                               ;   in Loop: Header=BB8_4 Depth=1
	s_and_b32 s23, s8, exec_lo
; %bb.29:                               ;   in Loop: Header=BB8_4 Depth=1
	s_wait_alu 0xfffe
	s_or_saveexec_b32 s24, s24
	v_dual_mov_b32 v2, 0 :: v_dual_mov_b32 v3, v85
	s_wait_alu 0xfffe
	s_xor_b32 exec_lo, exec_lo, s24
	s_cbranch_execz .LBB8_31
; %bb.30:                               ;   in Loop: Header=BB8_4 Depth=1
	ds_load_b64 v[4:5], v103
	v_mov_b32_e32 v3, v86
	s_or_b32 s23, s23, exec_lo
	s_wait_dscnt 0x0
	v_xor_b32_e32 v2, 0x80000000, v5
	ds_store_b32 v86, v4
.LBB8_31:                               ;   in Loop: Header=BB8_4 Depth=1
	s_or_b32 exec_lo, exec_lo, s24
	s_wait_alu 0xfffe
	s_and_saveexec_b32 s24, s23
; %bb.32:                               ;   in Loop: Header=BB8_4 Depth=1
	ds_store_b32 v3, v2 offset:4
; %bb.33:                               ;   in Loop: Header=BB8_4 Depth=1
	s_wait_alu 0xfffe
	s_or_b32 exec_lo, exec_lo, s24
	s_mov_b32 s23, 0
	s_and_saveexec_b32 s24, s9
	s_wait_alu 0xfffe
	s_xor_b32 s24, exec_lo, s24
; %bb.34:                               ;   in Loop: Header=BB8_4 Depth=1
	s_and_b32 s23, s10, exec_lo
; %bb.35:                               ;   in Loop: Header=BB8_4 Depth=1
	s_wait_alu 0xfffe
	s_or_saveexec_b32 s24, s24
	v_dual_mov_b32 v2, 0 :: v_dual_mov_b32 v3, v85
	s_wait_alu 0xfffe
	s_xor_b32 exec_lo, exec_lo, s24
	s_cbranch_execz .LBB8_37
; %bb.36:                               ;   in Loop: Header=BB8_4 Depth=1
	ds_load_b64 v[4:5], v104
	v_mov_b32_e32 v3, v87
	s_or_b32 s23, s23, exec_lo
	s_wait_dscnt 0x0
	v_xor_b32_e32 v2, 0x80000000, v5
	ds_store_b32 v87, v4
.LBB8_37:                               ;   in Loop: Header=BB8_4 Depth=1
	s_or_b32 exec_lo, exec_lo, s24
	s_wait_alu 0xfffe
	s_and_saveexec_b32 s24, s23
; %bb.38:                               ;   in Loop: Header=BB8_4 Depth=1
	ds_store_b32 v3, v2 offset:4
; %bb.39:                               ;   in Loop: Header=BB8_4 Depth=1
	s_wait_alu 0xfffe
	s_or_b32 exec_lo, exec_lo, s24
	s_mov_b32 s23, 0
	s_and_saveexec_b32 s24, s11
	s_wait_alu 0xfffe
	s_xor_b32 s24, exec_lo, s24
; %bb.40:                               ;   in Loop: Header=BB8_4 Depth=1
	s_and_b32 s23, s12, exec_lo
; %bb.41:                               ;   in Loop: Header=BB8_4 Depth=1
	s_wait_alu 0xfffe
	s_or_saveexec_b32 s24, s24
	v_dual_mov_b32 v2, 0 :: v_dual_mov_b32 v3, v85
	s_wait_alu 0xfffe
	s_xor_b32 exec_lo, exec_lo, s24
	s_cbranch_execz .LBB8_43
; %bb.42:                               ;   in Loop: Header=BB8_4 Depth=1
	ds_load_b64 v[4:5], v104 offset:264
	v_mov_b32_e32 v3, v88
	s_or_b32 s23, s23, exec_lo
	s_wait_dscnt 0x0
	v_xor_b32_e32 v2, 0x80000000, v5
	ds_store_b32 v88, v4
.LBB8_43:                               ;   in Loop: Header=BB8_4 Depth=1
	s_or_b32 exec_lo, exec_lo, s24
	s_wait_alu 0xfffe
	s_and_saveexec_b32 s24, s23
; %bb.44:                               ;   in Loop: Header=BB8_4 Depth=1
	ds_store_b32 v3, v2 offset:4
; %bb.45:                               ;   in Loop: Header=BB8_4 Depth=1
	s_wait_alu 0xfffe
	s_or_b32 exec_lo, exec_lo, s24
	s_mov_b32 s23, 0
	s_and_saveexec_b32 s24, s13
	s_wait_alu 0xfffe
	s_xor_b32 s24, exec_lo, s24
; %bb.46:                               ;   in Loop: Header=BB8_4 Depth=1
	s_and_b32 s23, s14, exec_lo
; %bb.47:                               ;   in Loop: Header=BB8_4 Depth=1
	s_wait_alu 0xfffe
	s_or_saveexec_b32 s24, s24
	v_dual_mov_b32 v2, 0 :: v_dual_mov_b32 v3, v85
	s_wait_alu 0xfffe
	s_xor_b32 exec_lo, exec_lo, s24
	s_cbranch_execz .LBB8_49
; %bb.48:                               ;   in Loop: Header=BB8_4 Depth=1
	ds_load_b64 v[4:5], v104 offset:528
	v_mov_b32_e32 v3, v90
	s_or_b32 s23, s23, exec_lo
	s_wait_dscnt 0x0
	v_xor_b32_e32 v2, 0x80000000, v5
	ds_store_b32 v90, v4
.LBB8_49:                               ;   in Loop: Header=BB8_4 Depth=1
	s_or_b32 exec_lo, exec_lo, s24
	s_wait_alu 0xfffe
	s_and_saveexec_b32 s24, s23
; %bb.50:                               ;   in Loop: Header=BB8_4 Depth=1
	ds_store_b32 v3, v2 offset:4
; %bb.51:                               ;   in Loop: Header=BB8_4 Depth=1
	s_wait_alu 0xfffe
	s_or_b32 exec_lo, exec_lo, s24
	s_wait_loadcnt_dscnt 0x0
	s_barrier_signal -1
	s_barrier_wait -1
	global_inv scope:SCOPE_SE
	ds_load_b64 v[14:15], v103
	ds_load_b128 v[2:5], v91
	ds_load_2addr_b64 v[6:9], v104 offset1:33
	ds_load_b128 v[10:13], v91 offset:16
	ds_load_b64 v[18:19], v104 offset:528
	s_wait_loadcnt_dscnt 0x0
	s_barrier_signal -1
	s_barrier_wait -1
	global_inv scope:SCOPE_SE
	v_dual_mov_b32 v43, 0 :: v_dual_mul_f32 v20, v3, v15
	v_dual_mul_f32 v15, v2, v15 :: v_dual_mul_f32 v22, v11, v9
	v_mul_f32_e32 v9, v10, v9
	s_delay_alu instid0(VALU_DEP_3) | instskip(SKIP_1) | instid1(VALU_DEP_4)
	v_fma_f32 v2, v2, v14, -v20
	v_mul_f32_e32 v21, v5, v7
	v_fmac_f32_e32 v15, v3, v14
	s_delay_alu instid0(VALU_DEP_4) | instskip(SKIP_3) | instid1(VALU_DEP_1)
	v_fmac_f32_e32 v9, v11, v8
	v_fma_f32 v10, v10, v8, -v22
	v_dual_add_f32 v2, 0, v2 :: v_dual_mul_f32 v7, v4, v7
	v_fma_f32 v4, v4, v6, -v21
	v_dual_add_f32 v2, v2, v4 :: v_dual_fmac_f32 v7, v5, v6
	v_mul_f32_e32 v6, v12, v19
	v_add_f32_e32 v5, 0, v15
	s_delay_alu instid0(VALU_DEP_3) | instskip(NEXT) | instid1(VALU_DEP_3)
	v_dual_mul_f32 v3, v13, v19 :: v_dual_add_f32 v2, v2, v10
	v_fmac_f32_e32 v6, v13, v18
	s_delay_alu instid0(VALU_DEP_3) | instskip(NEXT) | instid1(VALU_DEP_3)
	v_add_f32_e32 v4, v5, v7
	v_fma_f32 v3, v12, v18, -v3
	s_delay_alu instid0(VALU_DEP_2) | instskip(SKIP_1) | instid1(VALU_DEP_2)
	v_add_f32_e32 v4, v4, v9
	v_mov_b32_e32 v42, 0
	v_dual_add_f32 v2, v2, v3 :: v_dual_add_f32 v3, v4, v6
	ds_store_b64 v92, v[2:3]
	s_wait_loadcnt_dscnt 0x0
	s_barrier_signal -1
	s_barrier_wait -1
	global_inv scope:SCOPE_SE
	s_and_saveexec_b32 s23, s15
	s_cbranch_execz .LBB8_53
; %bb.52:                               ;   in Loop: Header=BB8_4 Depth=1
	ds_load_2addr_b64 v[2:5], v89 offset1:7
	ds_load_2addr_b64 v[6:9], v89 offset0:1 offset1:2
	ds_load_2addr_b64 v[10:13], v89 offset0:3 offset1:4
	;; [unrolled: 1-line block ×3, first 2 shown]
	s_wait_dscnt 0x2
	v_dual_add_f32 v2, v6, v2 :: v_dual_add_f32 v3, v7, v3
	s_delay_alu instid0(VALU_DEP_1) | instskip(SKIP_1) | instid1(VALU_DEP_1)
	v_dual_add_f32 v2, v8, v2 :: v_dual_add_f32 v3, v9, v3
	s_wait_dscnt 0x1
	v_dual_add_f32 v2, v2, v10 :: v_dual_add_f32 v3, v3, v11
	s_delay_alu instid0(VALU_DEP_1) | instskip(SKIP_1) | instid1(VALU_DEP_1)
	v_dual_add_f32 v2, v2, v12 :: v_dual_add_f32 v3, v3, v13
	s_wait_dscnt 0x0
	v_dual_add_f32 v2, v2, v18 :: v_dual_add_f32 v3, v3, v19
	s_delay_alu instid0(VALU_DEP_1) | instskip(NEXT) | instid1(VALU_DEP_1)
	v_dual_add_f32 v2, v2, v20 :: v_dual_add_f32 v3, v3, v21
	v_dual_add_f32 v42, v2, v4 :: v_dual_add_f32 v43, v3, v5
.LBB8_53:                               ;   in Loop: Header=BB8_4 Depth=1
	s_wait_alu 0xfffe
	s_or_b32 exec_lo, exec_lo, s23
	s_lshl_b64 s[70:71], s[50:51], 3
	s_mov_b32 s23, -1
	s_wait_alu 0xfffe
	v_add_co_u32 v0, vcc_lo, v0, s70
	s_wait_alu 0xfffd
	v_add_co_ci_u32_e64 v1, null, s71, v1, vcc_lo
	s_and_not1_b32 vcc_lo, exec_lo, s72
	s_wait_loadcnt 0x0
	s_barrier_signal -1
	s_barrier_wait -1
	global_inv scope:SCOPE_SE
	s_wait_alu 0xfffe
	s_cbranch_vccnz .LBB8_55
; %bb.54:                               ;   in Loop: Header=BB8_4 Depth=1
	v_add_co_u32 v2, vcc_lo, v0, s40
	s_wait_alu 0xfffd
	v_add_co_ci_u32_e64 v3, null, s41, v1, vcc_lo
	s_mov_b32 s23, 0
	v_add_co_u32 v4, vcc_lo, v2, s40
	s_wait_alu 0xfffd
	v_add_co_ci_u32_e64 v5, null, s41, v3, vcc_lo
	s_delay_alu instid0(VALU_DEP_2) | instskip(SKIP_1) | instid1(VALU_DEP_2)
	v_add_co_u32 v6, vcc_lo, v4, s40
	s_wait_alu 0xfffd
	v_add_co_ci_u32_e64 v7, null, s41, v5, vcc_lo
	s_clause 0x3
	global_load_b64 v[8:9], v[0:1], off offset:256
	global_load_b64 v[2:3], v[2:3], off offset:256
	;; [unrolled: 1-line block ×4, first 2 shown]
	s_wait_loadcnt 0x3
	ds_store_b64 v102, v[8:9]
	s_wait_loadcnt 0x2
	ds_store_b64 v102, v[2:3] offset:2112
	s_wait_loadcnt 0x1
	ds_store_b64 v102, v[4:5] offset:4224
	;; [unrolled: 2-line block ×3, first 2 shown]
.LBB8_55:                               ;   in Loop: Header=BB8_4 Depth=1
	v_add_co_u32 v2, vcc_lo, 0x100, v0
	s_wait_alu 0xfffd
	v_add_co_ci_u32_e64 v3, null, 0, v1, vcc_lo
	s_wait_alu 0xfffe
	s_and_not1_b32 vcc_lo, exec_lo, s23
	s_wait_alu 0xfffe
	s_cbranch_vccnz .LBB8_67
; %bb.56:                               ;   in Loop: Header=BB8_4 Depth=1
	s_and_saveexec_b32 s23, s17
	s_wait_alu 0xfffe
	s_xor_b32 s23, exec_lo, s23
; %bb.57:                               ;   in Loop: Header=BB8_4 Depth=1
	v_mov_b32_e32 v32, v33
	ds_store_b64 v102, v[32:33]
; %bb.58:                               ;   in Loop: Header=BB8_4 Depth=1
	s_wait_alu 0xfffe
	s_or_saveexec_b32 s23, s23
	v_add_co_u32 v0, vcc_lo, v0, v34
	s_wait_alu 0xfffd
	v_add_co_ci_u32_e64 v1, null, v1, v35, vcc_lo
	s_lshl_b64 s[70:71], s[28:29], 3
	s_wait_alu 0xfffe
	v_add_co_u32 v0, vcc_lo, v0, s70
	s_wait_alu 0xfffd
	v_add_co_ci_u32_e64 v1, null, s71, v1, vcc_lo
	s_delay_alu instid0(VALU_DEP_2) | instskip(SKIP_1) | instid1(VALU_DEP_2)
	v_add_co_u32 v0, vcc_lo, v0, -8
	s_wait_alu 0xfffd
	v_add_co_ci_u32_e64 v1, null, -1, v1, vcc_lo
	s_delay_alu instid0(VALU_DEP_2) | instskip(NEXT) | instid1(VALU_DEP_2)
	v_cndmask_b32_e64 v0, v0, v2, s16
	v_cndmask_b32_e64 v1, v1, v3, s16
	s_xor_b32 exec_lo, exec_lo, s23
	s_cbranch_execnz .LBB8_126
; %bb.59:                               ;   in Loop: Header=BB8_4 Depth=1
	s_or_b32 exec_lo, exec_lo, s23
	s_and_saveexec_b32 s23, s18
	s_wait_alu 0xfffe
	s_xor_b32 s23, exec_lo, s23
	s_cbranch_execnz .LBB8_127
.LBB8_60:                               ;   in Loop: Header=BB8_4 Depth=1
	s_wait_alu 0xfffe
	s_and_not1_saveexec_b32 s23, s23
	s_cbranch_execnz .LBB8_128
.LBB8_61:                               ;   in Loop: Header=BB8_4 Depth=1
	s_wait_alu 0xfffe
	s_or_b32 exec_lo, exec_lo, s23
	s_and_saveexec_b32 s23, s19
	s_wait_alu 0xfffe
	s_xor_b32 s23, exec_lo, s23
	s_cbranch_execnz .LBB8_129
.LBB8_62:                               ;   in Loop: Header=BB8_4 Depth=1
	s_wait_alu 0xfffe
	s_and_not1_saveexec_b32 s23, s23
	s_cbranch_execnz .LBB8_130
.LBB8_63:                               ;   in Loop: Header=BB8_4 Depth=1
	s_wait_alu 0xfffe
	s_or_b32 exec_lo, exec_lo, s23
	s_and_saveexec_b32 s23, s20
	s_wait_alu 0xfffe
	s_xor_b32 s23, exec_lo, s23
	s_cbranch_execnz .LBB8_131
.LBB8_64:                               ;   in Loop: Header=BB8_4 Depth=1
	s_wait_alu 0xfffe
	s_and_not1_saveexec_b32 s23, s23
	s_cbranch_execz .LBB8_66
.LBB8_65:                               ;   in Loop: Header=BB8_4 Depth=1
	v_add_co_u32 v4, vcc_lo, v0, s48
	s_wait_alu 0xfffd
	v_add_co_ci_u32_e64 v5, null, s49, v1, vcc_lo
	global_load_b64 v[4:5], v[4:5], off
	s_wait_loadcnt 0x0
	ds_store_b64 v102, v[4:5] offset:6336
.LBB8_66:                               ;   in Loop: Header=BB8_4 Depth=1
	s_wait_alu 0xfffe
	s_or_b32 exec_lo, exec_lo, s23
	v_add_co_u32 v0, vcc_lo, v0, v107
	s_wait_alu 0xfffd
	v_add_co_ci_u32_e64 v1, null, 0, v1, vcc_lo
	s_lshl_b64 s[70:71], s[60:61], 3
	s_wait_alu 0xfffe
	v_add_co_u32 v0, vcc_lo, v0, s70
	s_wait_alu 0xfffd
	v_add_co_ci_u32_e64 v1, null, s71, v1, vcc_lo
	s_delay_alu instid0(VALU_DEP_2) | instskip(SKIP_1) | instid1(VALU_DEP_2)
	v_add_co_u32 v0, vcc_lo, 0x108, v0
	s_wait_alu 0xfffd
	v_add_co_ci_u32_e64 v1, null, 0, v1, vcc_lo
	s_delay_alu instid0(VALU_DEP_2) | instskip(NEXT) | instid1(VALU_DEP_2)
	v_cndmask_b32_e64 v2, v0, v2, s16
	v_cndmask_b32_e64 v3, v1, v3, s16
.LBB8_67:                               ;   in Loop: Header=BB8_4 Depth=1
	s_mov_b32 s23, 0
	s_wait_loadcnt_dscnt 0x0
	s_barrier_signal -1
	s_barrier_wait -1
	global_inv scope:SCOPE_SE
	s_and_saveexec_b32 s24, s7
	s_wait_alu 0xfffe
	s_xor_b32 s24, exec_lo, s24
; %bb.68:                               ;   in Loop: Header=BB8_4 Depth=1
	s_and_b32 s23, s8, exec_lo
; %bb.69:                               ;   in Loop: Header=BB8_4 Depth=1
	s_wait_alu 0xfffe
	s_or_saveexec_b32 s24, s24
	v_dual_mov_b32 v0, 0 :: v_dual_mov_b32 v1, v85
	s_wait_alu 0xfffe
	s_xor_b32 exec_lo, exec_lo, s24
	s_cbranch_execz .LBB8_71
; %bb.70:                               ;   in Loop: Header=BB8_4 Depth=1
	ds_load_b64 v[4:5], v103
	v_mov_b32_e32 v1, v86
	s_or_b32 s23, s23, exec_lo
	s_wait_dscnt 0x0
	v_xor_b32_e32 v0, 0x80000000, v5
	ds_store_b32 v86, v4
.LBB8_71:                               ;   in Loop: Header=BB8_4 Depth=1
	s_or_b32 exec_lo, exec_lo, s24
	s_wait_alu 0xfffe
	s_and_saveexec_b32 s24, s23
; %bb.72:                               ;   in Loop: Header=BB8_4 Depth=1
	ds_store_b32 v1, v0 offset:4
; %bb.73:                               ;   in Loop: Header=BB8_4 Depth=1
	s_wait_alu 0xfffe
	s_or_b32 exec_lo, exec_lo, s24
	s_mov_b32 s23, 0
	s_and_saveexec_b32 s24, s9
	s_wait_alu 0xfffe
	s_xor_b32 s24, exec_lo, s24
; %bb.74:                               ;   in Loop: Header=BB8_4 Depth=1
	s_and_b32 s23, s10, exec_lo
; %bb.75:                               ;   in Loop: Header=BB8_4 Depth=1
	s_wait_alu 0xfffe
	s_or_saveexec_b32 s24, s24
	v_dual_mov_b32 v0, 0 :: v_dual_mov_b32 v1, v85
	s_wait_alu 0xfffe
	s_xor_b32 exec_lo, exec_lo, s24
	s_cbranch_execz .LBB8_77
; %bb.76:                               ;   in Loop: Header=BB8_4 Depth=1
	ds_load_b64 v[4:5], v104
	v_mov_b32_e32 v1, v87
	s_or_b32 s23, s23, exec_lo
	s_wait_dscnt 0x0
	v_xor_b32_e32 v0, 0x80000000, v5
	ds_store_b32 v87, v4
.LBB8_77:                               ;   in Loop: Header=BB8_4 Depth=1
	s_or_b32 exec_lo, exec_lo, s24
	s_wait_alu 0xfffe
	s_and_saveexec_b32 s24, s23
; %bb.78:                               ;   in Loop: Header=BB8_4 Depth=1
	ds_store_b32 v1, v0 offset:4
; %bb.79:                               ;   in Loop: Header=BB8_4 Depth=1
	s_wait_alu 0xfffe
	s_or_b32 exec_lo, exec_lo, s24
	s_mov_b32 s23, 0
	s_and_saveexec_b32 s24, s11
	s_wait_alu 0xfffe
	s_xor_b32 s24, exec_lo, s24
; %bb.80:                               ;   in Loop: Header=BB8_4 Depth=1
	s_and_b32 s23, s12, exec_lo
; %bb.81:                               ;   in Loop: Header=BB8_4 Depth=1
	s_wait_alu 0xfffe
	s_or_saveexec_b32 s24, s24
	v_dual_mov_b32 v0, 0 :: v_dual_mov_b32 v1, v85
	s_wait_alu 0xfffe
	s_xor_b32 exec_lo, exec_lo, s24
	s_cbranch_execz .LBB8_83
; %bb.82:                               ;   in Loop: Header=BB8_4 Depth=1
	ds_load_b64 v[4:5], v104 offset:264
	v_mov_b32_e32 v1, v88
	s_or_b32 s23, s23, exec_lo
	s_wait_dscnt 0x0
	v_xor_b32_e32 v0, 0x80000000, v5
	ds_store_b32 v88, v4
.LBB8_83:                               ;   in Loop: Header=BB8_4 Depth=1
	s_or_b32 exec_lo, exec_lo, s24
	s_wait_alu 0xfffe
	s_and_saveexec_b32 s24, s23
; %bb.84:                               ;   in Loop: Header=BB8_4 Depth=1
	ds_store_b32 v1, v0 offset:4
; %bb.85:                               ;   in Loop: Header=BB8_4 Depth=1
	s_wait_alu 0xfffe
	s_or_b32 exec_lo, exec_lo, s24
	s_mov_b32 s23, 0
	s_and_saveexec_b32 s24, s13
	s_wait_alu 0xfffe
	s_xor_b32 s24, exec_lo, s24
; %bb.86:                               ;   in Loop: Header=BB8_4 Depth=1
	s_and_b32 s23, s14, exec_lo
; %bb.87:                               ;   in Loop: Header=BB8_4 Depth=1
	s_wait_alu 0xfffe
	s_or_saveexec_b32 s24, s24
	v_dual_mov_b32 v0, 0 :: v_dual_mov_b32 v1, v85
	s_wait_alu 0xfffe
	s_xor_b32 exec_lo, exec_lo, s24
	s_cbranch_execz .LBB8_89
; %bb.88:                               ;   in Loop: Header=BB8_4 Depth=1
	ds_load_b64 v[4:5], v104 offset:528
	v_mov_b32_e32 v1, v90
	s_or_b32 s23, s23, exec_lo
	s_wait_dscnt 0x0
	v_xor_b32_e32 v0, 0x80000000, v5
	ds_store_b32 v90, v4
.LBB8_89:                               ;   in Loop: Header=BB8_4 Depth=1
	s_or_b32 exec_lo, exec_lo, s24
	s_wait_alu 0xfffe
	s_and_saveexec_b32 s24, s23
; %bb.90:                               ;   in Loop: Header=BB8_4 Depth=1
	ds_store_b32 v1, v0 offset:4
; %bb.91:                               ;   in Loop: Header=BB8_4 Depth=1
	s_wait_alu 0xfffe
	s_or_b32 exec_lo, exec_lo, s24
	s_wait_loadcnt_dscnt 0x0
	s_barrier_signal -1
	s_barrier_wait -1
	global_inv scope:SCOPE_SE
	ds_load_b64 v[0:1], v103
	ds_load_b128 v[4:7], v91 offset:256
	ds_load_2addr_b64 v[8:11], v104 offset1:33
	ds_load_b128 v[12:15], v91 offset:272
	ds_load_b64 v[18:19], v104 offset:528
	s_wait_loadcnt_dscnt 0x0
	s_barrier_signal -1
	s_barrier_wait -1
	global_inv scope:SCOPE_SE
	v_mul_f32_e32 v20, v5, v1
	v_dual_mul_f32 v1, v4, v1 :: v_dual_mul_f32 v22, v13, v11
	v_mul_f32_e32 v11, v12, v11
	s_delay_alu instid0(VALU_DEP_3) | instskip(SKIP_3) | instid1(VALU_DEP_4)
	v_fma_f32 v4, v4, v0, -v20
	v_mul_f32_e32 v21, v7, v9
	v_mul_f32_e32 v9, v6, v9
	v_dual_fmac_f32 v1, v5, v0 :: v_dual_mul_f32 v0, v15, v19
	v_add_f32_e32 v4, 0, v4
	s_delay_alu instid0(VALU_DEP_4) | instskip(NEXT) | instid1(VALU_DEP_4)
	v_fma_f32 v5, v6, v8, -v21
	v_dual_fmac_f32 v9, v7, v8 :: v_dual_mul_f32 v6, v14, v19
	s_delay_alu instid0(VALU_DEP_4) | instskip(SKIP_1) | instid1(VALU_DEP_4)
	v_add_f32_e32 v1, 0, v1
	v_fma_f32 v7, v12, v10, -v22
	v_dual_add_f32 v4, v4, v5 :: v_dual_fmac_f32 v11, v13, v10
	v_fma_f32 v0, v14, v18, -v0
	v_fmac_f32_e32 v6, v15, v18
	s_delay_alu instid0(VALU_DEP_3) | instskip(NEXT) | instid1(VALU_DEP_1)
	v_dual_add_f32 v4, v4, v7 :: v_dual_add_f32 v1, v1, v9
	v_dual_add_f32 v0, v4, v0 :: v_dual_add_f32 v1, v1, v11
	s_delay_alu instid0(VALU_DEP_1)
	v_add_f32_e32 v1, v1, v6
	ds_store_b64 v92, v[0:1]
	s_wait_loadcnt_dscnt 0x0
	s_barrier_signal -1
	s_barrier_wait -1
	global_inv scope:SCOPE_SE
	s_and_saveexec_b32 s23, s21
	s_cbranch_execz .LBB8_93
; %bb.92:                               ;   in Loop: Header=BB8_4 Depth=1
	ds_load_2addr_b64 v[4:7], v89 offset1:7
	ds_load_2addr_b64 v[8:11], v89 offset0:1 offset1:2
	ds_load_2addr_b64 v[12:15], v89 offset0:3 offset1:4
	;; [unrolled: 1-line block ×3, first 2 shown]
	s_wait_dscnt 0x2
	v_dual_add_f32 v0, v8, v4 :: v_dual_add_f32 v1, v9, v5
	s_delay_alu instid0(VALU_DEP_1) | instskip(SKIP_1) | instid1(VALU_DEP_1)
	v_dual_add_f32 v0, v10, v0 :: v_dual_add_f32 v1, v11, v1
	s_wait_dscnt 0x1
	v_dual_add_f32 v0, v0, v12 :: v_dual_add_f32 v1, v1, v13
	s_delay_alu instid0(VALU_DEP_1) | instskip(SKIP_1) | instid1(VALU_DEP_1)
	v_dual_add_f32 v0, v0, v14 :: v_dual_add_f32 v1, v1, v15
	s_wait_dscnt 0x0
	v_dual_add_f32 v0, v0, v18 :: v_dual_add_f32 v1, v1, v19
	s_delay_alu instid0(VALU_DEP_1) | instskip(NEXT) | instid1(VALU_DEP_1)
	v_dual_add_f32 v0, v0, v20 :: v_dual_add_f32 v1, v1, v21
	v_dual_add_f32 v42, v0, v6 :: v_dual_add_f32 v43, v1, v7
.LBB8_93:                               ;   in Loop: Header=BB8_4 Depth=1
	s_wait_alu 0xfffe
	s_or_b32 exec_lo, exec_lo, s23
	v_add_co_u32 v18, vcc_lo, v2, s64
	s_wait_alu 0xfffd
	v_add_co_ci_u32_e64 v19, null, s65, v3, vcc_lo
	s_and_not1_b32 vcc_lo, exec_lo, s72
	s_mov_b32 s23, -1
	s_wait_loadcnt 0x0
	s_barrier_signal -1
	s_barrier_wait -1
	global_inv scope:SCOPE_SE
	s_wait_alu 0xfffe
	s_cbranch_vccnz .LBB8_95
; %bb.94:                               ;   in Loop: Header=BB8_4 Depth=1
	v_add_co_u32 v0, vcc_lo, v18, s40
	s_wait_alu 0xfffd
	v_add_co_ci_u32_e64 v1, null, s41, v19, vcc_lo
	s_mov_b32 s23, 0
	v_add_co_u32 v2, vcc_lo, v0, s40
	s_wait_alu 0xfffd
	v_add_co_ci_u32_e64 v3, null, s41, v1, vcc_lo
	s_delay_alu instid0(VALU_DEP_2) | instskip(SKIP_1) | instid1(VALU_DEP_2)
	v_add_co_u32 v4, vcc_lo, v2, s40
	s_wait_alu 0xfffd
	v_add_co_ci_u32_e64 v5, null, s41, v3, vcc_lo
	s_clause 0x3
	global_load_b64 v[6:7], v[18:19], off
	global_load_b64 v[0:1], v[0:1], off
	;; [unrolled: 1-line block ×4, first 2 shown]
	s_wait_loadcnt 0x3
	ds_store_b64 v102, v[6:7]
	s_wait_loadcnt 0x2
	ds_store_b64 v102, v[0:1] offset:2112
	s_wait_loadcnt 0x1
	ds_store_b64 v102, v[2:3] offset:4224
	;; [unrolled: 2-line block ×3, first 2 shown]
.LBB8_95:                               ;   in Loop: Header=BB8_4 Depth=1
	s_wait_alu 0xfffe
	s_and_not1_b32 vcc_lo, exec_lo, s23
	s_wait_alu 0xfffe
	s_cbranch_vccnz .LBB8_107
; %bb.96:                               ;   in Loop: Header=BB8_4 Depth=1
	s_and_saveexec_b32 s23, s3
	s_wait_alu 0xfffe
	s_xor_b32 s23, exec_lo, s23
; %bb.97:                               ;   in Loop: Header=BB8_4 Depth=1
	v_mov_b32_e32 v32, v33
	ds_store_b64 v102, v[32:33]
; %bb.98:                               ;   in Loop: Header=BB8_4 Depth=1
	s_wait_alu 0xfffe
	s_or_saveexec_b32 s23, s23
	v_add_co_u32 v0, vcc_lo, v18, v34
	s_wait_alu 0xfffd
	v_add_co_ci_u32_e64 v1, null, v19, v35, vcc_lo
	s_lshl_b64 s[70:71], s[28:29], 3
	s_wait_alu 0xfffe
	v_add_co_u32 v0, vcc_lo, v0, s70
	s_wait_alu 0xfffd
	v_add_co_ci_u32_e64 v1, null, s71, v1, vcc_lo
	s_delay_alu instid0(VALU_DEP_2) | instskip(SKIP_1) | instid1(VALU_DEP_2)
	v_add_co_u32 v0, vcc_lo, 0xfffffef8, v0
	s_wait_alu 0xfffd
	v_add_co_ci_u32_e64 v1, null, -1, v1, vcc_lo
	s_delay_alu instid0(VALU_DEP_2) | instskip(NEXT) | instid1(VALU_DEP_2)
	v_cndmask_b32_e64 v0, v0, v18, s16
	v_cndmask_b32_e64 v1, v1, v19, s16
	s_xor_b32 exec_lo, exec_lo, s23
	s_cbranch_execnz .LBB8_132
; %bb.99:                               ;   in Loop: Header=BB8_4 Depth=1
	s_or_b32 exec_lo, exec_lo, s23
	s_and_saveexec_b32 s23, s4
	s_wait_alu 0xfffe
	s_xor_b32 s23, exec_lo, s23
	s_cbranch_execnz .LBB8_133
.LBB8_100:                              ;   in Loop: Header=BB8_4 Depth=1
	s_wait_alu 0xfffe
	s_and_not1_saveexec_b32 s23, s23
	s_cbranch_execnz .LBB8_134
.LBB8_101:                              ;   in Loop: Header=BB8_4 Depth=1
	s_wait_alu 0xfffe
	s_or_b32 exec_lo, exec_lo, s23
	s_and_saveexec_b32 s23, s5
	s_wait_alu 0xfffe
	s_xor_b32 s23, exec_lo, s23
	s_cbranch_execnz .LBB8_135
.LBB8_102:                              ;   in Loop: Header=BB8_4 Depth=1
	s_wait_alu 0xfffe
	s_and_not1_saveexec_b32 s23, s23
	s_cbranch_execnz .LBB8_136
.LBB8_103:                              ;   in Loop: Header=BB8_4 Depth=1
	s_wait_alu 0xfffe
	s_or_b32 exec_lo, exec_lo, s23
	s_and_saveexec_b32 s23, s6
	s_wait_alu 0xfffe
	s_xor_b32 s23, exec_lo, s23
	s_cbranch_execnz .LBB8_137
.LBB8_104:                              ;   in Loop: Header=BB8_4 Depth=1
	s_wait_alu 0xfffe
	s_and_not1_saveexec_b32 s23, s23
	s_cbranch_execz .LBB8_106
.LBB8_105:                              ;   in Loop: Header=BB8_4 Depth=1
	v_add_co_u32 v2, vcc_lo, v0, s48
	s_wait_alu 0xfffd
	v_add_co_ci_u32_e64 v3, null, s49, v1, vcc_lo
	global_load_b64 v[2:3], v[2:3], off
	s_wait_loadcnt 0x0
	ds_store_b64 v102, v[2:3] offset:6336
.LBB8_106:                              ;   in Loop: Header=BB8_4 Depth=1
	s_wait_alu 0xfffe
	s_or_b32 exec_lo, exec_lo, s23
	v_add_co_u32 v0, vcc_lo, v0, v107
	s_wait_alu 0xfffd
	v_add_co_ci_u32_e64 v1, null, 0, v1, vcc_lo
	s_lshl_b64 s[70:71], s[60:61], 3
	s_wait_alu 0xfffe
	v_add_co_u32 v0, vcc_lo, v0, s70
	s_wait_alu 0xfffd
	v_add_co_ci_u32_e64 v1, null, s71, v1, vcc_lo
	s_delay_alu instid0(VALU_DEP_2) | instskip(SKIP_1) | instid1(VALU_DEP_2)
	v_add_co_u32 v0, vcc_lo, 0x108, v0
	s_wait_alu 0xfffd
	v_add_co_ci_u32_e64 v1, null, 0, v1, vcc_lo
	s_delay_alu instid0(VALU_DEP_2) | instskip(NEXT) | instid1(VALU_DEP_2)
	v_cndmask_b32_e64 v18, v0, v18, s16
	v_cndmask_b32_e64 v19, v1, v19, s16
.LBB8_107:                              ;   in Loop: Header=BB8_4 Depth=1
	s_wait_loadcnt_dscnt 0x0
	s_barrier_signal -1
	s_barrier_wait -1
	global_inv scope:SCOPE_SE
	ds_load_b64 v[24:25], v105
	ds_load_b64 v[26:27], v102
	ds_load_b64 v[28:29], v102 offset:2112
	ds_load_2addr_b64 v[20:23], v101 offset0:8 offset1:16
	ds_load_b64 v[30:31], v102 offset:6336
	ds_load_b64 v[44:45], v102 offset:4224
	;; [unrolled: 1-line block ×3, first 2 shown]
	ds_load_b128 v[8:11], v91 offset:256
	ds_load_b128 v[0:3], v91 offset:272
	ds_load_2addr_b64 v[12:15], v93 offset1:1
	ds_load_2addr_b64 v[4:7], v93 offset0:2 offset1:3
	s_wait_loadcnt_dscnt 0x0
	s_barrier_signal -1
	s_barrier_wait -1
	global_inv scope:SCOPE_SE
	v_mul_f32_e32 v32, v25, v27
	v_dual_mul_f32 v27, v24, v27 :: v_dual_mul_f32 v48, v21, v29
	v_mul_f32_e32 v29, v20, v29
	v_mul_f32_e32 v49, v23, v45
	v_mul_f32_e32 v50, v47, v31
	v_fma_f32 v24, v24, v26, -v32
	v_dual_fmac_f32 v27, v25, v26 :: v_dual_mul_f32 v26, v46, v31
	v_mul_f32_e32 v25, v22, v45
	v_fma_f32 v20, v20, v28, -v48
	v_fmac_f32_e32 v29, v21, v28
	v_fma_f32 v22, v22, v44, -v49
	v_dual_add_f32 v21, 0, v24 :: v_dual_add_f32 v24, 0, v27
	v_fmac_f32_e32 v26, v47, v30
	s_delay_alu instid0(VALU_DEP_2) | instskip(NEXT) | instid1(VALU_DEP_1)
	v_dual_add_f32 v20, v21, v20 :: v_dual_add_f32 v21, v24, v29
	v_dual_add_f32 v20, v20, v22 :: v_dual_fmac_f32 v25, v23, v44
	v_fma_f32 v23, v46, v30, -v50
	s_delay_alu instid0(VALU_DEP_1) | instskip(NEXT) | instid1(VALU_DEP_1)
	v_dual_add_f32 v20, v20, v23 :: v_dual_add_f32 v21, v21, v25
	v_add_f32_e32 v21, v21, v26
	ds_store_b64 v92, v[20:21]
	s_wait_loadcnt_dscnt 0x0
	s_barrier_signal -1
	s_barrier_wait -1
	global_inv scope:SCOPE_SE
	s_and_saveexec_b32 s23, s21
	s_cbranch_execz .LBB8_109
; %bb.108:                              ;   in Loop: Header=BB8_4 Depth=1
	ds_load_2addr_b64 v[20:23], v89 offset1:1
	ds_load_2addr_b64 v[24:27], v89 offset0:2 offset1:3
	ds_load_2addr_b64 v[28:31], v89 offset0:4 offset1:5
	s_wait_dscnt 0x2
	v_dual_add_f32 v20, v42, v20 :: v_dual_add_f32 v21, v43, v21
	s_delay_alu instid0(VALU_DEP_1) | instskip(NEXT) | instid1(VALU_DEP_2)
	v_add_f32_e32 v42, v21, v23
	v_add_f32_e32 v32, v20, v22
	ds_load_2addr_b64 v[20:23], v89 offset0:6 offset1:7
	s_wait_dscnt 0x2
	v_dual_add_f32 v25, v42, v25 :: v_dual_add_f32 v24, v32, v24
	s_delay_alu instid0(VALU_DEP_1) | instskip(SKIP_1) | instid1(VALU_DEP_1)
	v_dual_add_f32 v25, v25, v27 :: v_dual_add_f32 v24, v24, v26
	s_wait_dscnt 0x1
	v_dual_add_f32 v25, v25, v29 :: v_dual_add_f32 v24, v24, v28
	s_delay_alu instid0(VALU_DEP_1) | instskip(SKIP_1) | instid1(VALU_DEP_1)
	v_dual_add_f32 v25, v25, v31 :: v_dual_add_f32 v24, v24, v30
	s_wait_dscnt 0x0
	v_dual_add_f32 v21, v25, v21 :: v_dual_add_f32 v20, v24, v20
	s_delay_alu instid0(VALU_DEP_1)
	v_dual_add_f32 v43, v21, v23 :: v_dual_add_f32 v42, v20, v22
.LBB8_109:                              ;   in Loop: Header=BB8_4 Depth=1
	s_wait_alu 0xfffe
	s_or_b32 exec_lo, exec_lo, s23
	v_dual_mul_f32 v20, v13, v9 :: v_dual_mul_f32 v21, v15, v11
	v_dual_mul_f32 v15, v15, v10 :: v_dual_mul_f32 v22, v5, v1
	s_wait_loadcnt 0x0
	s_delay_alu instid0(VALU_DEP_2) | instskip(NEXT) | instid1(VALU_DEP_2)
	v_dual_fmac_f32 v20, v12, v8 :: v_dual_fmac_f32 v21, v14, v10
	v_fma_f32 v11, v14, v11, -v15
	v_mul_f32_e32 v5, v5, v0
	v_fmac_f32_e32 v22, v4, v0
	s_delay_alu instid0(VALU_DEP_4)
	v_add_f32_e32 v10, 0, v20
	v_mul_f32_e32 v13, v13, v8
	s_barrier_signal -1
	v_fma_f32 v1, v4, v1, -v5
	s_barrier_wait -1
	v_add_f32_e32 v0, v10, v21
	v_fma_f32 v8, v12, v9, -v13
	v_mul_f32_e32 v9, v7, v3
	global_inv scope:SCOPE_SE
	v_dual_mul_f32 v7, v7, v2 :: v_dual_add_f32 v8, 0, v8
	v_fmac_f32_e32 v9, v6, v2
	v_add_f32_e32 v0, v0, v22
	s_delay_alu instid0(VALU_DEP_3) | instskip(NEXT) | instid1(VALU_DEP_4)
	v_fma_f32 v2, v6, v3, -v7
	v_add_f32_e32 v4, v8, v11
	s_delay_alu instid0(VALU_DEP_1) | instskip(NEXT) | instid1(VALU_DEP_1)
	v_add_f32_e32 v1, v4, v1
	v_dual_add_f32 v0, v0, v9 :: v_dual_add_f32 v1, v1, v2
	ds_store_b64 v92, v[0:1]
	s_wait_loadcnt_dscnt 0x0
	s_barrier_signal -1
	s_barrier_wait -1
	global_inv scope:SCOPE_SE
	s_and_saveexec_b32 s23, s15
	s_cbranch_execz .LBB8_111
; %bb.110:                              ;   in Loop: Header=BB8_4 Depth=1
	ds_load_2addr_b64 v[0:3], v89 offset1:1
	ds_load_2addr_b64 v[4:7], v89 offset0:2 offset1:3
	ds_load_2addr_b64 v[8:11], v89 offset0:4 offset1:5
	s_wait_dscnt 0x2
	v_dual_add_f32 v0, v42, v0 :: v_dual_add_f32 v1, v43, v1
	s_delay_alu instid0(VALU_DEP_1) | instskip(SKIP_3) | instid1(VALU_DEP_1)
	v_dual_add_f32 v12, v0, v2 :: v_dual_add_f32 v13, v1, v3
	ds_load_2addr_b64 v[0:3], v89 offset0:6 offset1:7
	s_wait_dscnt 0x2
	v_dual_add_f32 v4, v12, v4 :: v_dual_add_f32 v5, v13, v5
	v_dual_add_f32 v4, v4, v6 :: v_dual_add_f32 v5, v5, v7
	s_wait_dscnt 0x1
	s_delay_alu instid0(VALU_DEP_1) | instskip(NEXT) | instid1(VALU_DEP_1)
	v_dual_add_f32 v4, v4, v8 :: v_dual_add_f32 v5, v5, v9
	v_dual_add_f32 v4, v4, v10 :: v_dual_add_f32 v5, v5, v11
	s_wait_dscnt 0x0
	s_delay_alu instid0(VALU_DEP_1) | instskip(NEXT) | instid1(VALU_DEP_1)
	v_dual_add_f32 v0, v4, v0 :: v_dual_add_f32 v1, v5, v1
	v_dual_add_f32 v42, v0, v2 :: v_dual_add_f32 v43, v1, v3
.LBB8_111:                              ;   in Loop: Header=BB8_4 Depth=1
	s_wait_alu 0xfffe
	s_or_b32 exec_lo, exec_lo, s23
	s_mul_u64 s[70:71], s[30:31], s[26:27]
	s_and_not1_b32 vcc_lo, exec_lo, s73
	s_wait_alu 0xfffe
	s_lshl_b64 s[70:71], s[70:71], 3
	s_wait_loadcnt 0x0
	s_wait_alu 0xfffe
	s_add_nc_u64 s[70:71], s[34:35], s[70:71]
	s_barrier_signal -1
	s_barrier_wait -1
	global_inv scope:SCOPE_SE
	s_cbranch_vccnz .LBB8_118
; %bb.112:                              ;   in Loop: Header=BB8_4 Depth=1
	v_add_co_u32 v0, vcc_lo, v18, s68
	s_wait_alu 0xfffd
	v_add_co_ci_u32_e64 v1, null, s69, v19, vcc_lo
	v_lshlrev_b32_e32 v2, 3, v78
	s_delay_alu instid0(VALU_DEP_3) | instskip(SKIP_1) | instid1(VALU_DEP_3)
	v_add_co_u32 v0, vcc_lo, v0, v36
	s_wait_alu 0xfffd
	v_add_co_ci_u32_e64 v1, null, v1, v37, vcc_lo
	s_lshl_b64 s[76:77], s[28:29], 3
	v_add_co_u32 v0, vcc_lo, v0, v38
	s_wait_alu 0xfffd
	v_add_co_ci_u32_e64 v1, null, v1, v39, vcc_lo
	s_mov_b32 s23, ttmp9
	s_wait_alu 0xfffe
	v_add_co_u32 v3, vcc_lo, v0, s76
	s_wait_alu 0xfffd
	v_add_co_ci_u32_e64 v4, null, s77, v1, vcc_lo
	v_add_co_u32 v0, vcc_lo, v0, v2
	s_wait_alu 0xfffd
	v_add_co_ci_u32_e64 v1, null, 0, v1, vcc_lo
	v_add_co_u32 v2, vcc_lo, 0xfffffef8, v3
	s_wait_alu 0xfffd
	v_add_co_ci_u32_e64 v3, null, -1, v4, vcc_lo
	v_add_co_u32 v0, vcc_lo, 0xffffff00, v0
	s_wait_alu 0xfffd
	v_add_co_ci_u32_e64 v1, null, -1, v1, vcc_lo
	v_add_co_u32 v108, vcc_lo, v16, s66
	s_wait_alu 0xfffd
	v_add_co_ci_u32_e64 v109, null, s67, v17, vcc_lo
	s_delay_alu instid0(VALU_DEP_3)
	v_cndmask_b32_e64 v1, v1, v3, s1
	v_cndmask_b32_e64 v0, v0, v2, s1
	s_mov_b32 s24, 0
	s_branch .LBB8_114
.LBB8_113:                              ;   in Loop: Header=BB8_114 Depth=2
	s_or_b32 exec_lo, exec_lo, s27
	v_mul_f32_e32 v32, v45, v1
	v_dual_mul_f32 v1, v44, v1 :: v_dual_mul_f32 v110, v49, v3
	v_mul_f32_e32 v3, v48, v3
	s_wait_alu 0xfffe
	s_add_co_i32 s23, s23, -1
	v_fma_f32 v32, v44, v0, -v32
	v_mul_f32_e32 v111, v51, v5
	v_dual_mul_f32 v5, v50, v5 :: v_dual_mul_f32 v44, v47, v7
	v_fma_f32 v48, v48, v2, -v110
	s_delay_alu instid0(VALU_DEP_4) | instskip(SKIP_2) | instid1(VALU_DEP_3)
	v_add_f32_e32 v32, v42, v32
	v_dual_mul_f32 v7, v46, v7 :: v_dual_mul_f32 v42, v59, v13
	v_mul_f32_e32 v13, v58, v13
	v_dual_fmac_f32 v3, v49, v2 :: v_dual_add_f32 v32, v32, v48
	v_fma_f32 v2, v46, v6, -v44
	v_fmac_f32_e32 v1, v45, v0
	v_fma_f32 v0, v50, v4, -v111
	v_mul_f32_e32 v45, v57, v15
	v_mul_f32_e32 v15, v56, v15
	v_fmac_f32_e32 v13, v59, v12
	s_add_co_i32 s24, s24, 64
	v_add_f32_e32 v0, v32, v0
	s_wait_alu 0xfffe
	s_cmp_eq_u32 s23, 0
	s_wait_loadcnt 0x0
	s_wait_storecnt 0x0
	s_barrier_signal -1
	s_barrier_wait -1
	v_dual_add_f32 v0, v0, v2 :: v_dual_add_f32 v1, v43, v1
	v_mul_f32_e32 v2, v55, v9
	global_inv scope:SCOPE_SE
	v_fma_f32 v2, v54, v8, -v2
	v_fmac_f32_e32 v5, v51, v4
	v_fma_f32 v4, v56, v14, -v45
	v_add_f32_e32 v1, v1, v3
	v_fma_f32 v3, v58, v12, -v42
	s_delay_alu instid0(VALU_DEP_1) | instskip(NEXT) | instid1(VALU_DEP_1)
	v_add_f32_e32 v0, v0, v3
	v_dual_mul_f32 v3, v53, v11 :: v_dual_add_f32 v0, v0, v4
	v_dual_mul_f32 v4, v54, v9 :: v_dual_fmac_f32 v15, v57, v14
	s_delay_alu instid0(VALU_DEP_2) | instskip(SKIP_1) | instid1(VALU_DEP_4)
	v_add_f32_e32 v0, v0, v2
	v_mul_f32_e32 v2, v67, v17
	v_fma_f32 v3, v52, v10, -v3
	v_fmac_f32_e32 v7, v47, v6
	v_dual_add_f32 v1, v1, v5 :: v_dual_fmac_f32 v4, v55, v8
	s_delay_alu instid0(VALU_DEP_4) | instskip(NEXT) | instid1(VALU_DEP_4)
	v_fma_f32 v2, v66, v16, -v2
	v_add_f32_e32 v0, v0, v3
	v_mul_f32_e32 v3, v65, v19
	s_delay_alu instid0(VALU_DEP_4)
	v_add_f32_e32 v1, v1, v7
	v_mul_f32_e32 v5, v52, v11
	v_mul_f32_e32 v6, v70, v31
	v_add_f32_e32 v0, v0, v2
	v_fma_f32 v2, v64, v18, -v3
	v_mul_f32_e32 v3, v63, v21
	v_add_f32_e32 v1, v1, v13
	v_fmac_f32_e32 v5, v53, v10
	v_fmac_f32_e32 v6, v71, v30
	v_add_f32_e32 v0, v0, v2
	v_fma_f32 v2, v62, v20, -v3
	v_mul_f32_e32 v3, v61, v23
	s_delay_alu instid0(VALU_DEP_2) | instskip(NEXT) | instid1(VALU_DEP_2)
	v_dual_add_f32 v1, v1, v15 :: v_dual_add_f32 v0, v0, v2
	v_fma_f32 v2, v60, v22, -v3
	v_mul_f32_e32 v3, v77, v25
	s_delay_alu instid0(VALU_DEP_3) | instskip(NEXT) | instid1(VALU_DEP_3)
	v_dual_add_f32 v1, v1, v4 :: v_dual_mul_f32 v4, v66, v17
	v_add_f32_e32 v0, v0, v2
	s_delay_alu instid0(VALU_DEP_3) | instskip(SKIP_1) | instid1(VALU_DEP_4)
	v_fma_f32 v2, v76, v24, -v3
	v_mul_f32_e32 v3, v75, v27
	v_fmac_f32_e32 v4, v67, v16
	s_delay_alu instid0(VALU_DEP_3) | instskip(NEXT) | instid1(VALU_DEP_3)
	v_add_f32_e32 v0, v0, v2
	v_fma_f32 v2, v74, v26, -v3
	v_add_f32_e32 v1, v1, v5
	v_mul_f32_e32 v5, v64, v19
	s_delay_alu instid0(VALU_DEP_3) | instskip(NEXT) | instid1(VALU_DEP_3)
	v_dual_mul_f32 v3, v74, v27 :: v_dual_add_f32 v0, v0, v2
	v_add_f32_e32 v1, v1, v4
	s_delay_alu instid0(VALU_DEP_3) | instskip(NEXT) | instid1(VALU_DEP_3)
	v_dual_fmac_f32 v5, v65, v18 :: v_dual_mul_f32 v4, v62, v21
	v_dual_mul_f32 v2, v72, v29 :: v_dual_fmac_f32 v3, v75, v26
	s_delay_alu instid0(VALU_DEP_2) | instskip(NEXT) | instid1(VALU_DEP_2)
	v_dual_add_f32 v1, v1, v5 :: v_dual_fmac_f32 v4, v63, v20
	v_dual_mul_f32 v5, v60, v23 :: v_dual_fmac_f32 v2, v73, v28
	s_delay_alu instid0(VALU_DEP_2) | instskip(NEXT) | instid1(VALU_DEP_2)
	v_add_f32_e32 v1, v1, v4
	v_dual_fmac_f32 v5, v61, v22 :: v_dual_mul_f32 v4, v76, v25
	s_delay_alu instid0(VALU_DEP_1) | instskip(NEXT) | instid1(VALU_DEP_2)
	v_add_f32_e32 v1, v1, v5
	v_fmac_f32_e32 v4, v77, v24
	v_mul_f32_e32 v5, v73, v29
	s_delay_alu instid0(VALU_DEP_2) | instskip(NEXT) | instid1(VALU_DEP_2)
	v_add_f32_e32 v1, v1, v4
	v_fma_f32 v4, v72, v28, -v5
	v_mul_f32_e32 v5, v71, v31
	s_delay_alu instid0(VALU_DEP_2) | instskip(NEXT) | instid1(VALU_DEP_2)
	v_dual_add_f32 v1, v1, v3 :: v_dual_add_f32 v0, v0, v4
	v_fma_f32 v3, v70, v30, -v5
	s_delay_alu instid0(VALU_DEP_1) | instskip(SKIP_1) | instid1(VALU_DEP_2)
	v_dual_add_f32 v1, v1, v2 :: v_dual_add_f32 v42, v0, v3
	v_add_co_u32 v0, vcc_lo, v68, s44
	v_add_f32_e32 v43, v1, v6
	s_wait_alu 0xfffd
	v_add_co_ci_u32_e64 v1, null, s45, v69, vcc_lo
	s_cbranch_scc1 .LBB8_118
.LBB8_114:                              ;   Parent Loop BB8_4 Depth=1
                                        ; =>  This Inner Loop Header: Depth=2
	s_and_saveexec_b32 s27, s0
	s_cbranch_execz .LBB8_116
; %bb.115:                              ;   in Loop: Header=BB8_114 Depth=2
	s_wait_alu 0xfffe
	s_mul_u64 s[76:77], s[52:53], s[24:25]
	s_wait_alu 0xfffe
	s_lshl_b64 s[76:77], s[76:77], 3
	s_wait_alu 0xfffe
	v_add_co_u32 v2, vcc_lo, v108, s76
	s_wait_alu 0xfffd
	v_add_co_ci_u32_e64 v3, null, s77, v109, vcc_lo
	global_load_b64 v[2:3], v[2:3], off
	s_wait_loadcnt 0x0
	ds_store_b64 v94, v[2:3]
.LBB8_116:                              ;   in Loop: Header=BB8_114 Depth=2
	s_or_b32 exec_lo, exec_lo, s27
	v_add_co_u32 v2, vcc_lo, v0, s62
	s_wait_alu 0xfffd
	v_add_co_ci_u32_e64 v3, null, s63, v1, vcc_lo
	s_wait_loadcnt_dscnt 0x0
	s_barrier_signal -1
	s_barrier_wait -1
	global_inv scope:SCOPE_SE
	s_clause 0x1
	global_load_b64 v[44:45], v[0:1], off
	global_load_b64 v[48:49], v[2:3], off
	v_add_co_u32 v0, vcc_lo, v2, s62
	s_wait_alu 0xfffd
	v_add_co_ci_u32_e64 v1, null, s63, v3, vcc_lo
	s_delay_alu instid0(VALU_DEP_2) | instskip(SKIP_1) | instid1(VALU_DEP_2)
	v_add_co_u32 v8, vcc_lo, v0, s62
	s_wait_alu 0xfffd
	v_add_co_ci_u32_e64 v9, null, s63, v1, vcc_lo
	s_clause 0x1
	global_load_b64 v[50:51], v[0:1], off
	global_load_b64 v[46:47], v[8:9], off
	ds_load_b64 v[10:11], v82
	ds_load_b128 v[0:3], v95
	ds_load_b128 v[4:7], v95 offset:16
	v_add_co_u32 v8, vcc_lo, v8, s44
	s_wait_alu 0xfffd
	v_add_co_ci_u32_e64 v9, null, s45, v9, vcc_lo
	s_delay_alu instid0(VALU_DEP_2) | instskip(SKIP_1) | instid1(VALU_DEP_2)
	v_add_co_u32 v16, vcc_lo, v8, s62
	s_wait_alu 0xfffd
	v_add_co_ci_u32_e64 v17, null, s63, v9, vcc_lo
	s_wait_loadcnt_dscnt 0x302
	v_mul_f32_e32 v12, v45, v11
	v_mul_f32_e32 v13, v45, v10
	s_wait_loadcnt 0x2
	v_mul_f32_e32 v14, v49, v11
	s_wait_loadcnt 0x1
	v_dual_mul_f32 v15, v49, v10 :: v_dual_mul_f32 v18, v51, v11
	s_wait_loadcnt 0x0
	v_mul_f32_e32 v20, v47, v11
	v_mul_f32_e32 v19, v51, v10
	;; [unrolled: 1-line block ×3, first 2 shown]
	v_fmac_f32_e32 v12, v44, v10
	v_fma_f32 v13, v44, v11, -v13
	v_fmac_f32_e32 v14, v48, v10
	v_fma_f32 v15, v48, v11, -v15
	v_fmac_f32_e32 v18, v50, v10
	v_fmac_f32_e32 v20, v46, v10
	v_add_co_u32 v10, vcc_lo, v16, s62
	v_fma_f32 v19, v50, v11, -v19
	v_fma_f32 v21, v46, v11, -v21
	s_wait_alu 0xfffd
	v_add_co_ci_u32_e64 v11, null, s63, v17, vcc_lo
	ds_store_2addr_b64 v96, v[12:13], v[14:15] offset1:67
	ds_store_2addr_b64 v96, v[18:19], v[20:21] offset0:134 offset1:201
	s_wait_dscnt 0x0
	s_barrier_signal -1
	s_barrier_wait -1
	global_inv scope:SCOPE_SE
	ds_load_2addr_b64 v[110:113], v97 offset1:1
	ds_load_2addr_b64 v[114:117], v97 offset0:2 offset1:3
	s_wait_loadcnt_dscnt 0x0
	s_barrier_signal -1
	s_barrier_wait -1
	global_inv scope:SCOPE_SE
	global_load_b64 v[58:59], v[8:9], off
	v_add_co_u32 v8, vcc_lo, v10, s62
	s_wait_alu 0xfffd
	v_add_co_ci_u32_e64 v9, null, s63, v11, vcc_lo
	s_clause 0x2
	global_load_b64 v[56:57], v[16:17], off
	global_load_b64 v[54:55], v[10:11], off
	;; [unrolled: 1-line block ×3, first 2 shown]
	ds_load_b64 v[10:11], v82
	ds_load_b128 v[12:15], v95 offset:128
	v_add_co_u32 v16, vcc_lo, v8, s44
	s_wait_alu 0xfffd
	v_add_co_ci_u32_e64 v17, null, s45, v9, vcc_lo
	s_delay_alu instid0(VALU_DEP_2) | instskip(SKIP_1) | instid1(VALU_DEP_2)
	v_add_co_u32 v18, vcc_lo, v16, s62
	s_wait_alu 0xfffd
	v_add_co_ci_u32_e64 v19, null, s63, v17, vcc_lo
	s_delay_alu instid0(VALU_DEP_2) | instskip(SKIP_1) | instid1(VALU_DEP_2)
	v_add_co_u32 v28, vcc_lo, v18, s62
	s_wait_alu 0xfffd
	v_add_co_ci_u32_e64 v29, null, s63, v19, vcc_lo
	s_wait_loadcnt_dscnt 0x301
	v_mul_f32_e32 v20, v59, v11
	v_mul_f32_e32 v8, v59, v10
	s_wait_loadcnt 0x1
	v_dual_mul_f32 v22, v57, v11 :: v_dual_mul_f32 v25, v55, v10
	v_dual_mul_f32 v9, v57, v10 :: v_dual_mul_f32 v24, v55, v11
	s_wait_loadcnt 0x0
	v_mul_f32_e32 v27, v53, v10
	v_mul_f32_e32 v26, v53, v11
	v_fmac_f32_e32 v20, v58, v10
	v_fma_f32 v21, v58, v11, -v8
	v_fmac_f32_e32 v22, v56, v10
	v_fma_f32 v23, v56, v11, -v9
	;; [unrolled: 2-line block ×4, first 2 shown]
	ds_load_b128 v[8:11], v95 offset:144
	ds_store_2addr_b64 v96, v[20:21], v[22:23] offset1:67
	ds_store_2addr_b64 v96, v[24:25], v[26:27] offset0:134 offset1:201
	s_wait_dscnt 0x0
	s_barrier_signal -1
	s_barrier_wait -1
	global_inv scope:SCOPE_SE
	ds_load_2addr_b64 v[118:121], v97 offset1:1
	ds_load_2addr_b64 v[122:125], v97 offset0:2 offset1:3
	s_wait_loadcnt_dscnt 0x0
	s_barrier_signal -1
	s_barrier_wait -1
	global_inv scope:SCOPE_SE
	global_load_b64 v[66:67], v[16:17], off
	v_add_co_u32 v16, vcc_lo, v28, s62
	s_wait_alu 0xfffd
	v_add_co_ci_u32_e64 v17, null, s63, v29, vcc_lo
	s_clause 0x1
	global_load_b64 v[64:65], v[18:19], off
	global_load_b64 v[62:63], v[28:29], off
	;; [unrolled: 1-line block ×3, first 2 shown]
	ds_load_b64 v[20:21], v82
	v_add_co_u32 v24, vcc_lo, v16, s44
	s_wait_alu 0xfffd
	v_add_co_ci_u32_e64 v25, null, s45, v17, vcc_lo
	ds_load_b128 v[16:19], v95 offset:256
	v_add_co_u32 v26, vcc_lo, v24, s62
	s_wait_alu 0xfffd
	v_add_co_ci_u32_e64 v27, null, s63, v25, vcc_lo
	v_add_f32_e32 v118, 0, v118
	s_delay_alu instid0(VALU_DEP_3) | instskip(SKIP_1) | instid1(VALU_DEP_3)
	v_add_co_u32 v72, vcc_lo, v26, s62
	s_wait_alu 0xfffd
	v_add_co_ci_u32_e64 v73, null, s63, v27, vcc_lo
	s_delay_alu instid0(VALU_DEP_3)
	v_dual_add_f32 v119, 0, v119 :: v_dual_add_f32 v118, v118, v120
	s_wait_loadcnt_dscnt 0x301
	v_mul_f32_e32 v28, v67, v21
	v_mul_f32_e32 v22, v67, v20
	s_wait_loadcnt 0x2
	v_mul_f32_e32 v30, v65, v21
	s_wait_loadcnt 0x1
	v_dual_mul_f32 v23, v65, v20 :: v_dual_mul_f32 v68, v63, v21
	v_mul_f32_e32 v32, v63, v20
	s_wait_loadcnt 0x0
	v_mul_f32_e32 v70, v61, v21
	v_mul_f32_e32 v71, v61, v20
	v_fmac_f32_e32 v28, v66, v20
	v_fma_f32 v29, v66, v21, -v22
	v_fmac_f32_e32 v30, v64, v20
	v_fma_f32 v31, v64, v21, -v23
	;; [unrolled: 2-line block ×4, first 2 shown]
	ds_load_b128 v[20:23], v95 offset:272
	ds_store_2addr_b64 v96, v[28:29], v[30:31] offset1:67
	ds_store_2addr_b64 v96, v[68:69], v[70:71] offset0:134 offset1:201
	v_add_co_u32 v68, vcc_lo, v72, s62
	s_wait_alu 0xfffd
	v_add_co_ci_u32_e64 v69, null, s63, v73, vcc_lo
	s_wait_dscnt 0x0
	s_barrier_signal -1
	s_barrier_wait -1
	global_inv scope:SCOPE_SE
	ds_load_2addr_b64 v[126:129], v97 offset1:1
	ds_load_2addr_b64 v[130:133], v97 offset0:2 offset1:3
	s_wait_loadcnt_dscnt 0x0
	s_barrier_signal -1
	s_barrier_wait -1
	global_inv scope:SCOPE_SE
	global_load_b64 v[76:77], v[24:25], off
	global_load_b64 v[74:75], v[26:27], off
	;; [unrolled: 1-line block ×4, first 2 shown]
	ds_load_b64 v[28:29], v82
	ds_load_b128 v[24:27], v95 offset:384
	s_wait_loadcnt_dscnt 0x201
	v_dual_mul_f32 v31, v75, v28 :: v_dual_mul_f32 v134, v77, v29
	v_mul_f32_e32 v30, v77, v28
	v_mul_f32_e32 v136, v75, v29
	s_wait_loadcnt 0x1
	v_mul_f32_e32 v32, v73, v28
	v_mul_f32_e32 v138, v73, v29
	s_wait_loadcnt 0x0
	v_mul_f32_e32 v140, v71, v29
	v_mul_f32_e32 v141, v71, v28
	v_fma_f32 v135, v76, v29, -v30
	v_fma_f32 v137, v74, v29, -v31
	v_fmac_f32_e32 v134, v76, v28
	v_fmac_f32_e32 v136, v74, v28
	v_fma_f32 v139, v72, v29, -v32
	v_fmac_f32_e32 v138, v72, v28
	v_fmac_f32_e32 v140, v70, v28
	v_fma_f32 v141, v70, v29, -v141
	v_add_f32_e32 v32, 0, v110
	v_add_f32_e32 v110, 0, v111
	ds_load_b128 v[28:31], v95 offset:400
	ds_store_2addr_b64 v96, v[134:135], v[136:137] offset1:67
	ds_store_2addr_b64 v96, v[138:139], v[140:141] offset0:134 offset1:201
	s_wait_dscnt 0x0
	s_barrier_signal -1
	s_barrier_wait -1
	global_inv scope:SCOPE_SE
	ds_load_2addr_b64 v[134:137], v97 offset1:1
	v_add_f32_e32 v110, v110, v113
	s_delay_alu instid0(VALU_DEP_1)
	v_dual_add_f32 v32, v32, v112 :: v_dual_add_f32 v115, v110, v115
	ds_load_2addr_b64 v[110:113], v97 offset0:2 offset1:3
	v_add_f32_e32 v32, v32, v114
	s_wait_loadcnt_dscnt 0x0
	s_barrier_signal -1
	v_add_f32_e32 v115, v115, v117
	s_delay_alu instid0(VALU_DEP_2) | instskip(SKIP_2) | instid1(VALU_DEP_3)
	v_dual_add_f32 v117, 0, v126 :: v_dual_add_f32 v114, v32, v116
	v_add_f32_e32 v32, v119, v121
	v_add_f32_e32 v116, v118, v122
	v_dual_add_f32 v118, 0, v127 :: v_dual_add_f32 v117, v117, v128
	s_barrier_wait -1
	s_delay_alu instid0(VALU_DEP_3) | instskip(SKIP_1) | instid1(VALU_DEP_3)
	v_dual_add_f32 v32, v32, v123 :: v_dual_add_f32 v119, 0, v134
	v_add_f32_e32 v120, 0, v135
	v_dual_add_f32 v118, v118, v129 :: v_dual_add_f32 v121, v117, v130
	s_delay_alu instid0(VALU_DEP_3) | instskip(NEXT) | instid1(VALU_DEP_3)
	v_add_f32_e32 v117, v32, v125
	v_dual_add_f32 v119, v119, v136 :: v_dual_add_f32 v120, v120, v137
	s_delay_alu instid0(VALU_DEP_3) | instskip(SKIP_4) | instid1(VALU_DEP_2)
	v_add_f32_e32 v118, v118, v131
	v_add_f32_e32 v116, v116, v124
	global_inv scope:SCOPE_SE
	v_dual_add_f32 v32, v119, v110 :: v_dual_add_f32 v119, v120, v111
	v_dual_add_f32 v110, v121, v132 :: v_dual_add_f32 v111, v118, v133
	v_dual_add_f32 v112, v32, v112 :: v_dual_add_f32 v113, v119, v113
	ds_store_2addr_b64 v106, v[114:115], v[116:117] offset1:16
	ds_store_2addr_b64 v106, v[110:111], v[112:113] offset0:32 offset1:48
	s_wait_loadcnt_dscnt 0x0
	s_barrier_signal -1
	s_barrier_wait -1
	global_inv scope:SCOPE_SE
	s_and_saveexec_b32 s27, s22
	s_cbranch_execz .LBB8_113
; %bb.117:                              ;   in Loop: Header=BB8_114 Depth=2
	ds_load_b64 v[122:123], v98
	ds_load_2addr_b64 v[110:113], v98 offset0:1 offset1:2
	ds_load_2addr_b64 v[114:117], v98 offset0:3 offset1:4
	ds_load_2addr_b64 v[118:121], v98 offset0:5 offset1:6
	s_wait_dscnt 0x2
	v_add_f32_e32 v32, v110, v122
	v_add_f32_e32 v110, v111, v123
	s_delay_alu instid0(VALU_DEP_2) | instskip(NEXT) | instid1(VALU_DEP_2)
	v_add_f32_e32 v32, v112, v32
	v_add_f32_e32 v122, v113, v110
	ds_load_2addr_b64 v[110:113], v98 offset0:7 offset1:8
	s_wait_dscnt 0x2
	v_add_f32_e32 v32, v32, v114
	v_add_f32_e32 v114, v122, v115
	s_delay_alu instid0(VALU_DEP_2) | instskip(NEXT) | instid1(VALU_DEP_2)
	v_add_f32_e32 v32, v32, v116
	v_add_f32_e32 v122, v114, v117
	ds_load_2addr_b64 v[114:117], v98 offset0:9 offset1:10
	;; [unrolled: 7-line block ×4, first 2 shown]
	s_wait_dscnt 0x2
	v_add_f32_e32 v32, v32, v114
	v_add_f32_e32 v114, v122, v115
	s_delay_alu instid0(VALU_DEP_2) | instskip(NEXT) | instid1(VALU_DEP_2)
	v_add_f32_e32 v32, v32, v116
	v_add_f32_e32 v116, v114, v117
	ds_load_b64 v[114:115], v99
	s_wait_dscnt 0x2
	v_add_f32_e32 v32, v32, v118
	v_add_f32_e32 v116, v116, v119
	s_delay_alu instid0(VALU_DEP_2) | instskip(NEXT) | instid1(VALU_DEP_2)
	v_add_f32_e32 v32, v32, v120
	v_add_f32_e32 v116, v116, v121
	s_wait_dscnt 0x1
	s_delay_alu instid0(VALU_DEP_2) | instskip(SKIP_1) | instid1(VALU_DEP_2)
	v_add_f32_e32 v110, v32, v110
	s_wait_alu 0xfffe
	v_dual_add_f32 v111, v116, v111 :: v_dual_add_nc_u32 v32, s24, v78
	s_delay_alu instid0(VALU_DEP_1) | instskip(NEXT) | instid1(VALU_DEP_2)
	v_dual_add_f32 v112, v110, v112 :: v_dual_add_f32 v113, v111, v113
	v_lshlrev_b64_e32 v[110:111], 3, v[32:33]
	s_wait_dscnt 0x0
	s_delay_alu instid0(VALU_DEP_2) | instskip(NEXT) | instid1(VALU_DEP_2)
	v_dual_add_f32 v112, v112, v114 :: v_dual_add_f32 v113, v113, v115
	v_add_co_u32 v110, vcc_lo, s70, v110
	s_wait_alu 0xfffd
	s_delay_alu instid0(VALU_DEP_3)
	v_add_co_ci_u32_e64 v111, null, s71, v111, vcc_lo
	global_store_b64 v[110:111], v[112:113], off
	s_branch .LBB8_113
.LBB8_118:                              ;   in Loop: Header=BB8_4 Depth=1
	ds_store_b64 v100, v[42:43]
	s_wait_loadcnt_dscnt 0x0
	s_barrier_signal -1
	s_barrier_wait -1
	global_inv scope:SCOPE_SE
	s_and_saveexec_b32 s23, s74
	s_cbranch_execz .LBB8_2
; %bb.119:                              ;   in Loop: Header=BB8_4 Depth=1
	ds_load_2addr_b64 v[0:3], v79 offset1:67
	ds_load_2addr_b64 v[4:7], v79 offset0:134 offset1:201
	s_wait_dscnt 0x1
	v_dual_add_f32 v0, v2, v0 :: v_dual_add_f32 v1, v3, v1
	s_wait_alu 0xfffe
	v_add_co_u32 v2, vcc_lo, s70, v40
	s_wait_alu 0xfffd
	v_add_co_ci_u32_e64 v3, null, s71, v41, vcc_lo
	s_wait_dscnt 0x0
	v_dual_add_f32 v0, v4, v0 :: v_dual_add_f32 v1, v5, v1
	s_delay_alu instid0(VALU_DEP_1)
	v_dual_add_f32 v0, v0, v6 :: v_dual_add_f32 v1, v1, v7
	global_store_b64 v[2:3], v[0:1], off
	s_branch .LBB8_2
.LBB8_120:                              ;   in Loop: Header=BB8_4 Depth=1
	global_load_b64 v[4:5], v[2:3], off
	s_wait_loadcnt 0x0
	ds_store_b64 v102, v[4:5]
	s_or_b32 exec_lo, exec_lo, s23
	s_and_saveexec_b32 s23, s4
	s_wait_alu 0xfffe
	s_xor_b32 s23, exec_lo, s23
	s_cbranch_execz .LBB8_20
.LBB8_121:                              ;   in Loop: Header=BB8_4 Depth=1
	v_mov_b32_e32 v32, v33
	ds_store_b64 v102, v[32:33] offset:2112
	s_wait_alu 0xfffe
	s_and_not1_saveexec_b32 s23, s23
	s_cbranch_execz .LBB8_21
.LBB8_122:                              ;   in Loop: Header=BB8_4 Depth=1
	v_add_co_u32 v4, vcc_lo, v2, s40
	s_wait_alu 0xfffd
	v_add_co_ci_u32_e64 v5, null, s41, v3, vcc_lo
	global_load_b64 v[4:5], v[4:5], off
	s_wait_loadcnt 0x0
	ds_store_b64 v102, v[4:5] offset:2112
	s_wait_alu 0xfffe
	s_or_b32 exec_lo, exec_lo, s23
	s_and_saveexec_b32 s23, s5
	s_wait_alu 0xfffe
	s_xor_b32 s23, exec_lo, s23
	s_cbranch_execz .LBB8_22
.LBB8_123:                              ;   in Loop: Header=BB8_4 Depth=1
	v_mov_b32_e32 v32, v33
	ds_store_b64 v102, v[32:33] offset:4224
	s_wait_alu 0xfffe
	s_and_not1_saveexec_b32 s23, s23
	s_cbranch_execz .LBB8_23
.LBB8_124:                              ;   in Loop: Header=BB8_4 Depth=1
	v_add_co_u32 v4, vcc_lo, v2, s42
	s_wait_alu 0xfffd
	v_add_co_ci_u32_e64 v5, null, s43, v3, vcc_lo
	global_load_b64 v[4:5], v[4:5], off
	s_wait_loadcnt 0x0
	ds_store_b64 v102, v[4:5] offset:4224
	s_wait_alu 0xfffe
	s_or_b32 exec_lo, exec_lo, s23
	s_and_saveexec_b32 s23, s6
	s_wait_alu 0xfffe
	s_xor_b32 s23, exec_lo, s23
	s_cbranch_execz .LBB8_24
.LBB8_125:                              ;   in Loop: Header=BB8_4 Depth=1
	v_mov_b32_e32 v32, v33
	ds_store_b64 v102, v[32:33] offset:6336
	s_wait_alu 0xfffe
	s_and_not1_saveexec_b32 s23, s23
	s_cbranch_execnz .LBB8_25
	s_branch .LBB8_26
.LBB8_126:                              ;   in Loop: Header=BB8_4 Depth=1
	global_load_b64 v[4:5], v[0:1], off
	s_wait_loadcnt 0x0
	ds_store_b64 v102, v[4:5]
	s_or_b32 exec_lo, exec_lo, s23
	s_and_saveexec_b32 s23, s18
	s_wait_alu 0xfffe
	s_xor_b32 s23, exec_lo, s23
	s_cbranch_execz .LBB8_60
.LBB8_127:                              ;   in Loop: Header=BB8_4 Depth=1
	v_mov_b32_e32 v32, v33
	ds_store_b64 v102, v[32:33] offset:2112
	s_wait_alu 0xfffe
	s_and_not1_saveexec_b32 s23, s23
	s_cbranch_execz .LBB8_61
.LBB8_128:                              ;   in Loop: Header=BB8_4 Depth=1
	v_add_co_u32 v4, vcc_lo, v0, s40
	s_wait_alu 0xfffd
	v_add_co_ci_u32_e64 v5, null, s41, v1, vcc_lo
	global_load_b64 v[4:5], v[4:5], off
	s_wait_loadcnt 0x0
	ds_store_b64 v102, v[4:5] offset:2112
	s_wait_alu 0xfffe
	s_or_b32 exec_lo, exec_lo, s23
	s_and_saveexec_b32 s23, s19
	s_wait_alu 0xfffe
	s_xor_b32 s23, exec_lo, s23
	s_cbranch_execz .LBB8_62
.LBB8_129:                              ;   in Loop: Header=BB8_4 Depth=1
	v_mov_b32_e32 v32, v33
	ds_store_b64 v102, v[32:33] offset:4224
	s_wait_alu 0xfffe
	s_and_not1_saveexec_b32 s23, s23
	s_cbranch_execz .LBB8_63
.LBB8_130:                              ;   in Loop: Header=BB8_4 Depth=1
	v_add_co_u32 v4, vcc_lo, v0, s42
	s_wait_alu 0xfffd
	v_add_co_ci_u32_e64 v5, null, s43, v1, vcc_lo
	global_load_b64 v[4:5], v[4:5], off
	s_wait_loadcnt 0x0
	ds_store_b64 v102, v[4:5] offset:4224
	s_wait_alu 0xfffe
	s_or_b32 exec_lo, exec_lo, s23
	s_and_saveexec_b32 s23, s20
	s_wait_alu 0xfffe
	s_xor_b32 s23, exec_lo, s23
	s_cbranch_execz .LBB8_64
.LBB8_131:                              ;   in Loop: Header=BB8_4 Depth=1
	v_mov_b32_e32 v32, v33
	ds_store_b64 v102, v[32:33] offset:6336
	s_wait_alu 0xfffe
	s_and_not1_saveexec_b32 s23, s23
	s_cbranch_execnz .LBB8_65
	s_branch .LBB8_66
.LBB8_132:                              ;   in Loop: Header=BB8_4 Depth=1
	global_load_b64 v[2:3], v[0:1], off
	s_wait_loadcnt 0x0
	ds_store_b64 v102, v[2:3]
	s_or_b32 exec_lo, exec_lo, s23
	s_and_saveexec_b32 s23, s4
	s_wait_alu 0xfffe
	s_xor_b32 s23, exec_lo, s23
	s_cbranch_execz .LBB8_100
.LBB8_133:                              ;   in Loop: Header=BB8_4 Depth=1
	v_mov_b32_e32 v32, v33
	ds_store_b64 v102, v[32:33] offset:2112
	s_wait_alu 0xfffe
	s_and_not1_saveexec_b32 s23, s23
	s_cbranch_execz .LBB8_101
.LBB8_134:                              ;   in Loop: Header=BB8_4 Depth=1
	v_add_co_u32 v2, vcc_lo, v0, s40
	s_wait_alu 0xfffd
	v_add_co_ci_u32_e64 v3, null, s41, v1, vcc_lo
	global_load_b64 v[2:3], v[2:3], off
	s_wait_loadcnt 0x0
	ds_store_b64 v102, v[2:3] offset:2112
	s_wait_alu 0xfffe
	s_or_b32 exec_lo, exec_lo, s23
	s_and_saveexec_b32 s23, s5
	s_wait_alu 0xfffe
	s_xor_b32 s23, exec_lo, s23
	s_cbranch_execz .LBB8_102
.LBB8_135:                              ;   in Loop: Header=BB8_4 Depth=1
	v_mov_b32_e32 v32, v33
	ds_store_b64 v102, v[32:33] offset:4224
	s_wait_alu 0xfffe
	s_and_not1_saveexec_b32 s23, s23
	s_cbranch_execz .LBB8_103
.LBB8_136:                              ;   in Loop: Header=BB8_4 Depth=1
	v_add_co_u32 v2, vcc_lo, v0, s42
	s_wait_alu 0xfffd
	v_add_co_ci_u32_e64 v3, null, s43, v1, vcc_lo
	global_load_b64 v[2:3], v[2:3], off
	s_wait_loadcnt 0x0
	ds_store_b64 v102, v[2:3] offset:4224
	s_wait_alu 0xfffe
	s_or_b32 exec_lo, exec_lo, s23
	s_and_saveexec_b32 s23, s6
	s_wait_alu 0xfffe
	s_xor_b32 s23, exec_lo, s23
	s_cbranch_execz .LBB8_104
.LBB8_137:                              ;   in Loop: Header=BB8_4 Depth=1
	v_mov_b32_e32 v32, v33
	ds_store_b64 v102, v[32:33] offset:6336
	s_wait_alu 0xfffe
	s_and_not1_saveexec_b32 s23, s23
	s_cbranch_execnz .LBB8_105
	s_branch .LBB8_106
.LBB8_138:
	s_nop 0
	s_sendmsg sendmsg(MSG_DEALLOC_VGPRS)
	s_endpgm
	.section	.rodata,"a",@progbits
	.p2align	6, 0x0
	.amdhsa_kernel _ZL26rocblas_hemvn_kernel_lowerILb1ELi64ELi4ELi33ELi32ELi16ElPK19rocblas_complex_numIfES3_PS1_EviT6_lT7_lT5_lS6_lS7_lS5_lT8_i
		.amdhsa_group_segment_fixed_size 9600
		.amdhsa_private_segment_fixed_size 0
		.amdhsa_kernarg_size 376
		.amdhsa_user_sgpr_count 2
		.amdhsa_user_sgpr_dispatch_ptr 0
		.amdhsa_user_sgpr_queue_ptr 0
		.amdhsa_user_sgpr_kernarg_segment_ptr 1
		.amdhsa_user_sgpr_dispatch_id 0
		.amdhsa_user_sgpr_private_segment_size 0
		.amdhsa_wavefront_size32 1
		.amdhsa_uses_dynamic_stack 0
		.amdhsa_enable_private_segment 0
		.amdhsa_system_sgpr_workgroup_id_x 1
		.amdhsa_system_sgpr_workgroup_id_y 0
		.amdhsa_system_sgpr_workgroup_id_z 1
		.amdhsa_system_sgpr_workgroup_info 0
		.amdhsa_system_vgpr_workitem_id 1
		.amdhsa_next_free_vgpr 142
		.amdhsa_next_free_sgpr 78
		.amdhsa_reserve_vcc 1
		.amdhsa_float_round_mode_32 0
		.amdhsa_float_round_mode_16_64 0
		.amdhsa_float_denorm_mode_32 3
		.amdhsa_float_denorm_mode_16_64 3
		.amdhsa_fp16_overflow 0
		.amdhsa_workgroup_processor_mode 1
		.amdhsa_memory_ordered 1
		.amdhsa_forward_progress 1
		.amdhsa_inst_pref_size 75
		.amdhsa_round_robin_scheduling 0
		.amdhsa_exception_fp_ieee_invalid_op 0
		.amdhsa_exception_fp_denorm_src 0
		.amdhsa_exception_fp_ieee_div_zero 0
		.amdhsa_exception_fp_ieee_overflow 0
		.amdhsa_exception_fp_ieee_underflow 0
		.amdhsa_exception_fp_ieee_inexact 0
		.amdhsa_exception_int_div_zero 0
	.end_amdhsa_kernel
	.section	.text._ZL26rocblas_hemvn_kernel_lowerILb1ELi64ELi4ELi33ELi32ELi16ElPK19rocblas_complex_numIfES3_PS1_EviT6_lT7_lT5_lS6_lS7_lS5_lT8_i,"axG",@progbits,_ZL26rocblas_hemvn_kernel_lowerILb1ELi64ELi4ELi33ELi32ELi16ElPK19rocblas_complex_numIfES3_PS1_EviT6_lT7_lT5_lS6_lS7_lS5_lT8_i,comdat
.Lfunc_end8:
	.size	_ZL26rocblas_hemvn_kernel_lowerILb1ELi64ELi4ELi33ELi32ELi16ElPK19rocblas_complex_numIfES3_PS1_EviT6_lT7_lT5_lS6_lS7_lS5_lT8_i, .Lfunc_end8-_ZL26rocblas_hemvn_kernel_lowerILb1ELi64ELi4ELi33ELi32ELi16ElPK19rocblas_complex_numIfES3_PS1_EviT6_lT7_lT5_lS6_lS7_lS5_lT8_i
                                        ; -- End function
	.set _ZL26rocblas_hemvn_kernel_lowerILb1ELi64ELi4ELi33ELi32ELi16ElPK19rocblas_complex_numIfES3_PS1_EviT6_lT7_lT5_lS6_lS7_lS5_lT8_i.num_vgpr, 142
	.set _ZL26rocblas_hemvn_kernel_lowerILb1ELi64ELi4ELi33ELi32ELi16ElPK19rocblas_complex_numIfES3_PS1_EviT6_lT7_lT5_lS6_lS7_lS5_lT8_i.num_agpr, 0
	.set _ZL26rocblas_hemvn_kernel_lowerILb1ELi64ELi4ELi33ELi32ELi16ElPK19rocblas_complex_numIfES3_PS1_EviT6_lT7_lT5_lS6_lS7_lS5_lT8_i.numbered_sgpr, 78
	.set _ZL26rocblas_hemvn_kernel_lowerILb1ELi64ELi4ELi33ELi32ELi16ElPK19rocblas_complex_numIfES3_PS1_EviT6_lT7_lT5_lS6_lS7_lS5_lT8_i.num_named_barrier, 0
	.set _ZL26rocblas_hemvn_kernel_lowerILb1ELi64ELi4ELi33ELi32ELi16ElPK19rocblas_complex_numIfES3_PS1_EviT6_lT7_lT5_lS6_lS7_lS5_lT8_i.private_seg_size, 0
	.set _ZL26rocblas_hemvn_kernel_lowerILb1ELi64ELi4ELi33ELi32ELi16ElPK19rocblas_complex_numIfES3_PS1_EviT6_lT7_lT5_lS6_lS7_lS5_lT8_i.uses_vcc, 1
	.set _ZL26rocblas_hemvn_kernel_lowerILb1ELi64ELi4ELi33ELi32ELi16ElPK19rocblas_complex_numIfES3_PS1_EviT6_lT7_lT5_lS6_lS7_lS5_lT8_i.uses_flat_scratch, 0
	.set _ZL26rocblas_hemvn_kernel_lowerILb1ELi64ELi4ELi33ELi32ELi16ElPK19rocblas_complex_numIfES3_PS1_EviT6_lT7_lT5_lS6_lS7_lS5_lT8_i.has_dyn_sized_stack, 0
	.set _ZL26rocblas_hemvn_kernel_lowerILb1ELi64ELi4ELi33ELi32ELi16ElPK19rocblas_complex_numIfES3_PS1_EviT6_lT7_lT5_lS6_lS7_lS5_lT8_i.has_recursion, 0
	.set _ZL26rocblas_hemvn_kernel_lowerILb1ELi64ELi4ELi33ELi32ELi16ElPK19rocblas_complex_numIfES3_PS1_EviT6_lT7_lT5_lS6_lS7_lS5_lT8_i.has_indirect_call, 0
	.section	.AMDGPU.csdata,"",@progbits
; Kernel info:
; codeLenInByte = 9480
; TotalNumSgprs: 80
; NumVgprs: 142
; ScratchSize: 0
; MemoryBound: 1
; FloatMode: 240
; IeeeMode: 1
; LDSByteSize: 9600 bytes/workgroup (compile time only)
; SGPRBlocks: 0
; VGPRBlocks: 17
; NumSGPRsForWavesPerEU: 80
; NumVGPRsForWavesPerEU: 142
; Occupancy: 10
; WaveLimiterHint : 0
; COMPUTE_PGM_RSRC2:SCRATCH_EN: 0
; COMPUTE_PGM_RSRC2:USER_SGPR: 2
; COMPUTE_PGM_RSRC2:TRAP_HANDLER: 0
; COMPUTE_PGM_RSRC2:TGID_X_EN: 1
; COMPUTE_PGM_RSRC2:TGID_Y_EN: 0
; COMPUTE_PGM_RSRC2:TGID_Z_EN: 1
; COMPUTE_PGM_RSRC2:TIDIG_COMP_CNT: 1
	.section	.text._ZL36rocblas_hemvn_kernel_lower_block_sumILi64ElPK19rocblas_complex_numIfEPS1_S1_EviT1_lS5_lT2_lT0_lPT3_i,"axG",@progbits,_ZL36rocblas_hemvn_kernel_lower_block_sumILi64ElPK19rocblas_complex_numIfEPS1_S1_EviT1_lS5_lT2_lT0_lPT3_i,comdat
	.globl	_ZL36rocblas_hemvn_kernel_lower_block_sumILi64ElPK19rocblas_complex_numIfEPS1_S1_EviT1_lS5_lT2_lT0_lPT3_i ; -- Begin function _ZL36rocblas_hemvn_kernel_lower_block_sumILi64ElPK19rocblas_complex_numIfEPS1_S1_EviT1_lS5_lT2_lT0_lPT3_i
	.p2align	8
	.type	_ZL36rocblas_hemvn_kernel_lower_block_sumILi64ElPK19rocblas_complex_numIfEPS1_S1_EviT1_lS5_lT2_lT0_lPT3_i,@function
_ZL36rocblas_hemvn_kernel_lower_block_sumILi64ElPK19rocblas_complex_numIfEPS1_S1_EviT1_lS5_lT2_lT0_lPT3_i: ; @_ZL36rocblas_hemvn_kernel_lower_block_sumILi64ElPK19rocblas_complex_numIfEPS1_S1_EviT1_lS5_lT2_lT0_lPT3_i
; %bb.0:
	s_load_b32 s3, s[0:1], 0x50
	s_lshr_b32 s20, ttmp7, 16
	s_wait_kmcnt 0x0
	s_cmp_ge_u32 s20, s3
	s_cbranch_scc1 .LBB9_23
; %bb.1:
	s_clause 0x1
	s_load_b32 s22, s[0:1], 0x0
	s_load_b256 s[4:11], s[0:1], 0x30
	s_lshl_b32 s2, ttmp9, 6
	s_load_b64 s[24:25], s[0:1], 0x28
	v_or_b32_e32 v0, s2, v0
	s_load_b256 s[12:19], s[0:1], 0x8
	s_add_nc_u64 s[0:1], s[0:1], 0x58
	s_mov_b32 s21, 0
	s_wait_kmcnt 0x0
	v_mad_co_u64_u32 v[1:2], null, s22, ttmp9, v[0:1]
	v_mul_lo_u32 v5, s7, v0
	v_mad_co_u64_u32 v[3:4], null, s6, v0, 0
	s_ashr_i32 s7, s2, 31
	v_cmp_gt_i32_e64 s2, s22, v0
	s_wait_alu 0xfffe
	s_mul_i32 s6, s6, s7
	v_ashrrev_i32_e32 v2, 31, v1
	s_lshl_b64 s[4:5], s[4:5], 3
	s_ashr_i32 s23, s22, 31
	s_wait_alu 0xfffe
	v_add3_u32 v4, v4, s6, v5
	s_add_nc_u64 s[4:5], s[24:25], s[4:5]
	v_lshlrev_b64_e32 v[0:1], 3, v[1:2]
	s_lshl_b64 s[6:7], s[22:23], 3
	s_delay_alu instid0(VALU_DEP_1) | instskip(NEXT) | instid1(VALU_DEP_1)
	v_add_co_u32 v2, vcc_lo, s10, v0
	v_add_co_ci_u32_e64 v5, null, s11, v1, vcc_lo
	v_lshlrev_b64_e32 v[0:1], 3, v[3:4]
	s_delay_alu instid0(VALU_DEP_3) | instskip(SKIP_1) | instid1(VALU_DEP_3)
	v_add_co_u32 v2, vcc_lo, v2, 4
	s_wait_alu 0xfffd
	v_add_co_ci_u32_e64 v3, null, 0, v5, vcc_lo
	s_branch .LBB9_5
.LBB9_2:                                ;   in Loop: Header=BB9_5 Depth=1
	v_add_co_u32 v6, vcc_lo, s22, v0
	s_wait_alu 0xfffd
	v_add_co_ci_u32_e64 v7, null, s23, v1, vcc_lo
	global_store_b64 v[6:7], v[4:5], off
.LBB9_3:                                ;   in Loop: Header=BB9_5 Depth=1
	s_or_b32 exec_lo, exec_lo, s28
.LBB9_4:                                ;   in Loop: Header=BB9_5 Depth=1
	s_add_co_i32 s20, s20, 0x10000
	s_wait_alu 0xfffe
	s_cmp_lt_u32 s20, s3
	s_cbranch_scc0 .LBB9_23
.LBB9_5:                                ; =>This Loop Header: Depth=1
                                        ;     Child Loop BB9_18 Depth 2
	s_mul_u64 s[10:11], s[14:15], s[20:21]
	s_wait_alu 0xfffe
	s_lshl_b64 s[10:11], s[10:11], 3
	s_wait_alu 0xfffe
	s_add_nc_u64 s[10:11], s[12:13], s[10:11]
	s_load_b64 s[24:25], s[10:11], 0x0
	s_mul_u64 s[10:11], s[18:19], s[20:21]
	s_wait_alu 0xfffe
	s_lshl_b64 s[10:11], s[10:11], 3
	s_wait_alu 0xfffe
	s_add_nc_u64 s[10:11], s[16:17], s[10:11]
	s_load_b64 s[10:11], s[10:11], 0x0
	s_wait_kmcnt 0x0
	s_or_b32 s22, s24, s25
	s_wait_alu 0xfffe
	s_bitset0_b32 s22, 31
	s_wait_alu 0xfffe
	s_cmp_eq_u32 s22, 0
	s_cselect_b32 s26, -1, 0
	s_cmp_lg_u32 s22, 0
	s_mov_b32 s22, -1
	s_cbranch_scc1 .LBB9_7
; %bb.6:                                ;   in Loop: Header=BB9_5 Depth=1
	s_cmp_neq_f32 s10, 1.0
	s_cselect_b32 s22, -1, 0
	s_cmp_neq_f32 s11, 0
	s_cselect_b32 s23, -1, 0
	s_wait_alu 0xfffe
	s_or_b32 s22, s22, s23
.LBB9_7:                                ;   in Loop: Header=BB9_5 Depth=1
	s_wait_alu 0xfffe
	s_and_not1_b32 vcc_lo, exec_lo, s22
	s_wait_alu 0xfffe
	s_cbranch_vccnz .LBB9_4
; %bb.8:                                ;   in Loop: Header=BB9_5 Depth=1
	s_mul_u64 s[22:23], s[8:9], s[20:21]
	s_and_not1_b32 vcc_lo, exec_lo, s26
	s_wait_alu 0xfffe
	s_lshl_b64 s[22:23], s[22:23], 3
	s_mov_b32 s26, -1
	s_wait_alu 0xfffe
	s_add_nc_u64 s[22:23], s[4:5], s[22:23]
	s_cbranch_vccnz .LBB9_14
; %bb.9:                                ;   in Loop: Header=BB9_5 Depth=1
	s_and_saveexec_b32 s26, s2
	s_cbranch_execz .LBB9_13
; %bb.10:                               ;   in Loop: Header=BB9_5 Depth=1
	s_cmp_neq_f32 s10, 0
	v_dual_mov_b32 v4, 0 :: v_dual_mov_b32 v5, 0
	s_cselect_b32 s27, -1, 0
	s_cmp_neq_f32 s11, 0
	s_cselect_b32 s28, -1, 0
	s_delay_alu instid0(SALU_CYCLE_1) | instskip(NEXT) | instid1(SALU_CYCLE_1)
	s_or_b32 s27, s27, s28
	s_and_not1_b32 vcc_lo, exec_lo, s27
	s_wait_alu 0xfffe
	s_cbranch_vccnz .LBB9_12
; %bb.11:                               ;   in Loop: Header=BB9_5 Depth=1
	v_add_co_u32 v4, vcc_lo, s22, v0
	s_wait_alu 0xfffd
	v_add_co_ci_u32_e64 v5, null, s23, v1, vcc_lo
	global_load_b64 v[6:7], v[4:5], off
	s_wait_loadcnt 0x0
	v_mul_f32_e32 v5, s10, v7
	s_delay_alu instid0(VALU_DEP_1) | instskip(NEXT) | instid1(VALU_DEP_1)
	v_dual_mul_f32 v4, s11, v7 :: v_dual_fmac_f32 v5, s11, v6
	v_fma_f32 v4, v6, s10, -v4
.LBB9_12:                               ;   in Loop: Header=BB9_5 Depth=1
	v_add_co_u32 v6, vcc_lo, s22, v0
	s_wait_alu 0xfffd
	v_add_co_ci_u32_e64 v7, null, s23, v1, vcc_lo
	global_store_b64 v[6:7], v[4:5], off
.LBB9_13:                               ;   in Loop: Header=BB9_5 Depth=1
	s_or_b32 exec_lo, exec_lo, s26
	s_mov_b32 s26, 0
.LBB9_14:                               ;   in Loop: Header=BB9_5 Depth=1
	s_delay_alu instid0(SALU_CYCLE_1)
	s_and_not1_b32 vcc_lo, exec_lo, s26
	s_wait_alu 0xfffe
	s_cbranch_vccnz .LBB9_4
; %bb.15:                               ;   in Loop: Header=BB9_5 Depth=1
	s_and_saveexec_b32 s28, s2
	s_cbranch_execz .LBB9_3
; %bb.16:                               ;   in Loop: Header=BB9_5 Depth=1
	s_load_b32 s26, s[0:1], 0x0
	v_dual_mov_b32 v6, 0 :: v_dual_mov_b32 v7, 0
	s_wait_kmcnt 0x0
	s_cmp_ge_i32 ttmp9, s26
	s_cbranch_scc1 .LBB9_19
; %bb.17:                               ;   in Loop: Header=BB9_5 Depth=1
	s_mov_b32 s27, s21
	s_mov_b32 s29, ttmp9
	s_mul_u64 s[30:31], s[6:7], s[26:27]
	v_mov_b32_e32 v7, 0
	s_wait_alu 0xfffe
	v_mad_co_u64_u32 v[4:5], null, s30, s20, v[2:3]
	s_delay_alu instid0(VALU_DEP_1)
	v_mad_co_u64_u32 v[5:6], null, s31, s20, v[5:6]
	v_mov_b32_e32 v6, 0
.LBB9_18:                               ;   Parent Loop BB9_5 Depth=1
                                        ; =>  This Inner Loop Header: Depth=2
	global_load_b64 v[8:9], v[4:5], off offset:-4
	v_add_co_u32 v4, vcc_lo, v4, s6
	s_wait_alu 0xfffd
	v_add_co_ci_u32_e64 v5, null, s7, v5, vcc_lo
	s_add_co_i32 s29, s29, 1
	s_delay_alu instid0(SALU_CYCLE_1)
	s_cmp_ge_i32 s29, s26
	s_wait_loadcnt 0x0
	v_dual_add_f32 v7, v7, v8 :: v_dual_add_f32 v6, v6, v9
	s_cbranch_scc0 .LBB9_18
.LBB9_19:                               ;   in Loop: Header=BB9_5 Depth=1
	s_cmp_neq_f32 s10, 0
	s_delay_alu instid0(VALU_DEP_1) | instskip(SKIP_3) | instid1(VALU_DEP_2)
	v_mul_f32_e32 v5, s24, v6
	v_mul_f32_e32 v4, s25, v6
	s_cselect_b32 s26, -1, 0
	s_cmp_neq_f32 s11, 0
	v_fmac_f32_e32 v5, s25, v7
	s_delay_alu instid0(VALU_DEP_2) | instskip(SKIP_2) | instid1(SALU_CYCLE_1)
	v_fma_f32 v4, v7, s24, -v4
	s_mov_b32 s24, -1
	s_cselect_b32 s27, -1, 0
	s_or_b32 s26, s26, s27
	s_delay_alu instid0(SALU_CYCLE_1)
	s_and_not1_b32 vcc_lo, exec_lo, s26
	s_wait_alu 0xfffe
	s_cbranch_vccz .LBB9_21
; %bb.20:                               ;   in Loop: Header=BB9_5 Depth=1
	s_mov_b32 s24, 0
.LBB9_21:                               ;   in Loop: Header=BB9_5 Depth=1
	s_wait_alu 0xfffe
	s_and_not1_b32 vcc_lo, exec_lo, s24
	s_wait_alu 0xfffe
	s_cbranch_vccnz .LBB9_2
; %bb.22:                               ;   in Loop: Header=BB9_5 Depth=1
	v_add_co_u32 v6, vcc_lo, s22, v0
	s_wait_alu 0xfffd
	v_add_co_ci_u32_e64 v7, null, s23, v1, vcc_lo
	global_load_b64 v[6:7], v[6:7], off
	s_wait_loadcnt 0x0
	v_mul_f32_e32 v8, s11, v7
	v_mul_f32_e32 v7, s10, v7
	s_delay_alu instid0(VALU_DEP_1) | instskip(NEXT) | instid1(VALU_DEP_3)
	v_fmac_f32_e32 v7, s11, v6
	v_fma_f32 v8, v6, s10, -v8
	s_delay_alu instid0(VALU_DEP_1)
	v_dual_add_f32 v5, v5, v7 :: v_dual_add_f32 v4, v4, v8
	s_branch .LBB9_2
.LBB9_23:
	s_endpgm
	.section	.rodata,"a",@progbits
	.p2align	6, 0x0
	.amdhsa_kernel _ZL36rocblas_hemvn_kernel_lower_block_sumILi64ElPK19rocblas_complex_numIfEPS1_S1_EviT1_lS5_lT2_lT0_lPT3_i
		.amdhsa_group_segment_fixed_size 0
		.amdhsa_private_segment_fixed_size 0
		.amdhsa_kernarg_size 344
		.amdhsa_user_sgpr_count 2
		.amdhsa_user_sgpr_dispatch_ptr 0
		.amdhsa_user_sgpr_queue_ptr 0
		.amdhsa_user_sgpr_kernarg_segment_ptr 1
		.amdhsa_user_sgpr_dispatch_id 0
		.amdhsa_user_sgpr_private_segment_size 0
		.amdhsa_wavefront_size32 1
		.amdhsa_uses_dynamic_stack 0
		.amdhsa_enable_private_segment 0
		.amdhsa_system_sgpr_workgroup_id_x 1
		.amdhsa_system_sgpr_workgroup_id_y 0
		.amdhsa_system_sgpr_workgroup_id_z 1
		.amdhsa_system_sgpr_workgroup_info 0
		.amdhsa_system_vgpr_workitem_id 0
		.amdhsa_next_free_vgpr 10
		.amdhsa_next_free_sgpr 32
		.amdhsa_reserve_vcc 1
		.amdhsa_float_round_mode_32 0
		.amdhsa_float_round_mode_16_64 0
		.amdhsa_float_denorm_mode_32 3
		.amdhsa_float_denorm_mode_16_64 3
		.amdhsa_fp16_overflow 0
		.amdhsa_workgroup_processor_mode 1
		.amdhsa_memory_ordered 1
		.amdhsa_forward_progress 1
		.amdhsa_inst_pref_size 8
		.amdhsa_round_robin_scheduling 0
		.amdhsa_exception_fp_ieee_invalid_op 0
		.amdhsa_exception_fp_denorm_src 0
		.amdhsa_exception_fp_ieee_div_zero 0
		.amdhsa_exception_fp_ieee_overflow 0
		.amdhsa_exception_fp_ieee_underflow 0
		.amdhsa_exception_fp_ieee_inexact 0
		.amdhsa_exception_int_div_zero 0
	.end_amdhsa_kernel
	.section	.text._ZL36rocblas_hemvn_kernel_lower_block_sumILi64ElPK19rocblas_complex_numIfEPS1_S1_EviT1_lS5_lT2_lT0_lPT3_i,"axG",@progbits,_ZL36rocblas_hemvn_kernel_lower_block_sumILi64ElPK19rocblas_complex_numIfEPS1_S1_EviT1_lS5_lT2_lT0_lPT3_i,comdat
.Lfunc_end9:
	.size	_ZL36rocblas_hemvn_kernel_lower_block_sumILi64ElPK19rocblas_complex_numIfEPS1_S1_EviT1_lS5_lT2_lT0_lPT3_i, .Lfunc_end9-_ZL36rocblas_hemvn_kernel_lower_block_sumILi64ElPK19rocblas_complex_numIfEPS1_S1_EviT1_lS5_lT2_lT0_lPT3_i
                                        ; -- End function
	.set _ZL36rocblas_hemvn_kernel_lower_block_sumILi64ElPK19rocblas_complex_numIfEPS1_S1_EviT1_lS5_lT2_lT0_lPT3_i.num_vgpr, 10
	.set _ZL36rocblas_hemvn_kernel_lower_block_sumILi64ElPK19rocblas_complex_numIfEPS1_S1_EviT1_lS5_lT2_lT0_lPT3_i.num_agpr, 0
	.set _ZL36rocblas_hemvn_kernel_lower_block_sumILi64ElPK19rocblas_complex_numIfEPS1_S1_EviT1_lS5_lT2_lT0_lPT3_i.numbered_sgpr, 32
	.set _ZL36rocblas_hemvn_kernel_lower_block_sumILi64ElPK19rocblas_complex_numIfEPS1_S1_EviT1_lS5_lT2_lT0_lPT3_i.num_named_barrier, 0
	.set _ZL36rocblas_hemvn_kernel_lower_block_sumILi64ElPK19rocblas_complex_numIfEPS1_S1_EviT1_lS5_lT2_lT0_lPT3_i.private_seg_size, 0
	.set _ZL36rocblas_hemvn_kernel_lower_block_sumILi64ElPK19rocblas_complex_numIfEPS1_S1_EviT1_lS5_lT2_lT0_lPT3_i.uses_vcc, 1
	.set _ZL36rocblas_hemvn_kernel_lower_block_sumILi64ElPK19rocblas_complex_numIfEPS1_S1_EviT1_lS5_lT2_lT0_lPT3_i.uses_flat_scratch, 0
	.set _ZL36rocblas_hemvn_kernel_lower_block_sumILi64ElPK19rocblas_complex_numIfEPS1_S1_EviT1_lS5_lT2_lT0_lPT3_i.has_dyn_sized_stack, 0
	.set _ZL36rocblas_hemvn_kernel_lower_block_sumILi64ElPK19rocblas_complex_numIfEPS1_S1_EviT1_lS5_lT2_lT0_lPT3_i.has_recursion, 0
	.set _ZL36rocblas_hemvn_kernel_lower_block_sumILi64ElPK19rocblas_complex_numIfEPS1_S1_EviT1_lS5_lT2_lT0_lPT3_i.has_indirect_call, 0
	.section	.AMDGPU.csdata,"",@progbits
; Kernel info:
; codeLenInByte = 916
; TotalNumSgprs: 34
; NumVgprs: 10
; ScratchSize: 0
; MemoryBound: 0
; FloatMode: 240
; IeeeMode: 1
; LDSByteSize: 0 bytes/workgroup (compile time only)
; SGPRBlocks: 0
; VGPRBlocks: 1
; NumSGPRsForWavesPerEU: 34
; NumVGPRsForWavesPerEU: 10
; Occupancy: 16
; WaveLimiterHint : 0
; COMPUTE_PGM_RSRC2:SCRATCH_EN: 0
; COMPUTE_PGM_RSRC2:USER_SGPR: 2
; COMPUTE_PGM_RSRC2:TRAP_HANDLER: 0
; COMPUTE_PGM_RSRC2:TGID_X_EN: 1
; COMPUTE_PGM_RSRC2:TGID_Y_EN: 0
; COMPUTE_PGM_RSRC2:TGID_Z_EN: 1
; COMPUTE_PGM_RSRC2:TIDIG_COMP_CNT: 0
	.section	.text._ZL26rocblas_hemvn_kernel_lowerILb1ELi64ELi4ELi33ELi32ELi16EiPK19rocblas_complex_numIfES3_PS1_EviT6_lT7_lT5_lS6_lS7_lS5_lT8_i,"axG",@progbits,_ZL26rocblas_hemvn_kernel_lowerILb1ELi64ELi4ELi33ELi32ELi16EiPK19rocblas_complex_numIfES3_PS1_EviT6_lT7_lT5_lS6_lS7_lS5_lT8_i,comdat
	.globl	_ZL26rocblas_hemvn_kernel_lowerILb1ELi64ELi4ELi33ELi32ELi16EiPK19rocblas_complex_numIfES3_PS1_EviT6_lT7_lT5_lS6_lS7_lS5_lT8_i ; -- Begin function _ZL26rocblas_hemvn_kernel_lowerILb1ELi64ELi4ELi33ELi32ELi16EiPK19rocblas_complex_numIfES3_PS1_EviT6_lT7_lT5_lS6_lS7_lS5_lT8_i
	.p2align	8
	.type	_ZL26rocblas_hemvn_kernel_lowerILb1ELi64ELi4ELi33ELi32ELi16EiPK19rocblas_complex_numIfES3_PS1_EviT6_lT7_lT5_lS6_lS7_lS5_lT8_i,@function
_ZL26rocblas_hemvn_kernel_lowerILb1ELi64ELi4ELi33ELi32ELi16EiPK19rocblas_complex_numIfES3_PS1_EviT6_lT7_lT5_lS6_lS7_lS5_lT8_i: ; @_ZL26rocblas_hemvn_kernel_lowerILb1ELi64ELi4ELi33ELi32ELi16EiPK19rocblas_complex_numIfES3_PS1_EviT6_lT7_lT5_lS6_lS7_lS5_lT8_i
; %bb.0:
	s_clause 0x1
	s_load_b64 s[2:3], s[0:1], 0x84
	s_load_b32 s33, s[0:1], 0x70
	s_lshr_b32 s26, ttmp7, 16
	s_wait_kmcnt 0x0
	s_lshr_b32 s4, s2, 16
	s_and_b32 s2, s2, 0xffff
	s_and_b32 s3, s3, 0xffff
	s_mul_i32 s2, s4, s2
	s_delay_alu instid0(SALU_CYCLE_1) | instskip(NEXT) | instid1(SALU_CYCLE_1)
	s_mul_i32 s2, s2, s3
	s_cmp_lg_u32 s2, 0x100
	s_cselect_b32 s2, -1, 0
	s_cmp_ge_u32 s26, s33
	s_cselect_b32 s3, -1, 0
	s_delay_alu instid0(SALU_CYCLE_1) | instskip(NEXT) | instid1(SALU_CYCLE_1)
	s_or_b32 s2, s2, s3
	s_and_b32 vcc_lo, exec_lo, s2
	s_cbranch_vccnz .LBB10_138
; %bb.1:
	s_clause 0x2
	s_load_b32 s2, s[0:1], 0x0
	s_load_b96 s[20:22], s[0:1], 0x40
	s_load_b32 s24, s[0:1], 0x28
	v_dual_mov_b32 v33, 0 :: v_dual_and_b32 v80, 0x3ff, v0
	s_lshl_b32 s54, ttmp9, 6
	s_add_nc_u64 s[4:5], s[0:1], 0x78
	s_load_b256 s[36:43], s[0:1], 0x8
	s_load_b32 s4, s[4:5], 0x0
	v_add_nc_u32_e32 v1, s54, v80
	s_clause 0x1
	s_load_b128 s[28:31], s[0:1], 0x30
	s_load_b256 s[44:51], s[0:1], 0x50
	v_bfe_u32 v2, v0, 10, 10
	v_and_b32_e32 v3, 31, v0
	s_mov_b32 s27, 0
	v_lshlrev_b32_e32 v83, 3, v80
	s_mov_b32 s5, s27
	v_lshl_add_u32 v12, v2, 6, v80
	v_lshlrev_b32_e32 v13, 3, v3
	v_mul_u32_u24_e32 v20, 33, v3
	v_lshl_add_u32 v96, v2, 5, 0x2180
	v_mad_u32_u24 v97, 0x860, v2, v83
	v_lshrrev_b32_e32 v8, 5, v12
	s_wait_kmcnt 0x0
	v_mul_lo_u32 v4, s22, v1
	s_lshl_b64 s[0:1], s[20:21], 3
	s_ashr_i32 s3, s2, 31
	s_ashr_i32 s25, s24, 31
	s_lshr_b32 s8, s3, 26
	s_lshl_b64 s[6:7], s[42:43], 3
	s_add_co_i32 s8, s2, s8
	s_add_nc_u64 s[0:1], s[30:31], s[0:1]
	v_ashrrev_i32_e32 v5, 31, v4
	s_and_not1_b32 s8, s8, 63
	s_add_co_i32 s9, s4, -1
	s_sub_co_i32 s8, s2, s8
	s_cmp_eq_u32 ttmp9, s9
	v_lshlrev_b64_e32 v[4:5], 3, v[4:5]
	s_cselect_b32 s30, s8, 0
	v_lshlrev_b32_e32 v15, 2, v8
	v_lshl_or_b32 v16, v3, 8, v13
	v_and_b32_e32 v17, 0x7fe0, v12
	s_cmp_eq_u32 s30, 0
	v_add_co_u32 v81, vcc_lo, s0, v4
	s_delay_alu instid0(VALU_DEP_1)
	v_add_co_ci_u32_e64 v82, null, s1, v5, vcc_lo
	v_mad_co_u64_u32 v[4:5], null, s24, v8, v[3:4]
	s_cselect_b32 s72, -1, 0
	s_cmp_lg_u32 s30, 0
	s_mul_i32 s8, s2, ttmp9
	s_cselect_b32 s1, -1, 0
	s_ashr_i32 s55, s54, 31
	v_add_nc_u32_e32 v88, v16, v17
	v_ashrrev_i32_e32 v5, 31, v4
	v_or_b32_e32 v16, 2, v15
	v_cmp_le_i32_e32 vcc_lo, s30, v80
	s_ashr_i32 s9, s8, 31
	s_add_nc_u64 s[6:7], s[40:41], s[6:7]
	v_lshlrev_b64_e32 v[6:7], 3, v[4:5]
	s_mul_u64 s[34:35], s[4:5], s[2:3]
	s_wait_alu 0xfffe
	s_lshl_b64 s[2:3], s[54:55], 3
	s_lshl_b64 s[8:9], s[8:9], 3
	s_add_nc_u64 s[2:3], s[6:7], s[2:3]
	s_add_nc_u64 s[40:41], s[50:51], s[8:9]
	s_mul_i32 s56, s24, s54
	v_cmp_ge_u32_e64 s7, v15, v3
	v_cmp_eq_u32_e64 s8, v15, v3
	v_or_b32_e32 v18, 1, v15
	v_cmp_ge_u32_e64 s11, v16, v3
	v_or_b32_e32 v15, 3, v15
	v_cmp_eq_u32_e64 s12, v16, v3
	v_lshlrev_b32_e32 v16, 3, v8
	v_lshlrev_b32_e32 v91, 3, v20
	s_and_b32 s1, s1, vcc_lo
	v_add_co_u32 v6, vcc_lo, s2, v6
	s_ashr_i32 s57, s56, 31
	s_wait_alu 0xfffd
	v_add_co_ci_u32_e64 v7, null, s3, v7, vcc_lo
	s_lshl_b64 s[2:3], s[56:57], 3
	v_cmp_ge_u32_e64 s13, v15, v3
	v_cmp_eq_u32_e64 s14, v15, v3
	v_add_nc_u32_e32 v94, v91, v16
	v_or_b32_e32 v15, 32, v3
	s_wait_alu 0xfffe
	v_add_co_u32 v85, vcc_lo, v6, s2
	s_wait_alu 0xfffd
	v_add_co_ci_u32_e64 v86, null, s3, v7, vcc_lo
	v_sub_co_u32 v6, s3, 0, v3
	s_sub_co_i32 s20, s30, 32
	v_mul_u32_u24_e32 v14, 0x108, v8
	v_sub_co_ci_u32_e64 v7, null, 0, 0, s3
	v_add_nc_u32_e32 v9, 8, v8
	v_add_nc_u32_e32 v10, 16, v8
	;; [unrolled: 1-line block ×3, first 2 shown]
	v_cmp_le_i32_e64 s3, s30, v8
	v_mul_u32_u24_e32 v19, 0x420, v8
	v_cmp_gt_i32_e64 s16, s30, v15
	v_cmp_le_i32_e64 s17, s20, v8
	v_cmp_eq_u32_e64 s21, 1, v8
	v_mul_i32_i24_e32 v15, 0xffffffe8, v8
	v_mad_u32_u24 v95, v8, 24, v94
	v_mul_lo_u32 v8, v2, s24
	v_add_nc_u32_e32 v93, 0x2380, v17
	v_lshrrev_b32_e32 v17, 4, v12
	s_mul_i32 s54, s22, s54
	v_and_b32_e32 v20, 15, v0
	s_wait_alu 0xfffe
	s_ashr_i32 s55, s54, 31
	v_and_b32_e32 v0, 48, v0
	v_lshlrev_b32_e32 v21, 5, v17
	v_lshl_add_u32 v8, v8, 2, v80
	v_cmp_le_i32_e64 s5, s30, v10
	v_cmp_le_i32_e64 s19, s20, v10
	s_wait_alu 0xfffe
	s_sub_nc_u64 s[66:67], 0, s[54:55]
	v_sub_co_u32 v4, vcc_lo, 0, v4
	v_sub_co_u32 v10, s54, 0, v80
	v_cmp_eq_u32_e64 s0, 0, v2
	v_cmp_le_i32_e64 s4, s30, v9
	v_cmp_le_i32_e64 s6, s30, v11
	;; [unrolled: 1-line block ×4, first 2 shown]
	s_wait_alu 0xfffd
	v_sub_co_ci_u32_e64 v5, null, 0, v5, vcc_lo
	v_ashrrev_i32_e32 v9, 31, v8
	s_wait_alu 0xf1ff
	v_sub_co_ci_u32_e64 v11, null, 0, 0, s54
	v_mad_u32_u24 v101, 0x218, v2, v83
	v_ashrrev_i32_e32 v2, 31, v1
	s_lshl_b32 s42, s24, 3
	s_lshl_b32 s50, s24, 4
	s_mul_i32 s52, s24, 24
	v_cmp_ge_u32_e64 s9, v18, v3
	v_cmp_eq_u32_e64 s10, v18, v3
	v_mul_u32_u24_e32 v18, 0x108, v18
	s_lshl_b32 s62, s24, 5
	v_lshlrev_b32_e32 v0, 3, v0
	v_or_b32_e32 v22, 0x78, v83
	v_mad_u32_u24 v98, 0x218, v20, v21
	v_mul_i32_i24_e32 v17, 0xffffffe8, v17
	s_ashr_i32 s43, s42, 31
	s_ashr_i32 s51, s50, 31
	;; [unrolled: 1-line block ×5, first 2 shown]
	s_xor_b32 s23, s1, -1
	s_cmp_gt_i32 ttmp9, 0
	v_lshlrev_b64_e32 v[34:35], 3, v[6:7]
	v_lshlrev_b64_e32 v[36:37], 3, v[4:5]
	;; [unrolled: 1-line block ×5, first 2 shown]
	v_add_nc_u32_e32 v84, 0x2380, v83
	v_cmp_gt_i32_e64 s2, s30, v3
	v_mad_u32_u24 v87, 0x108, v3, v13
	v_add_nc_u32_e32 v89, 8, v88
	v_add_nc_u32_e32 v90, 16, v88
	;; [unrolled: 1-line block ×3, first 2 shown]
	v_cmp_gt_u32_e64 s15, 32, v12
	s_cselect_b32 s73, -1, 0
	s_lshl_b32 s74, s22, 6
	v_cmp_gt_u32_e64 s22, 64, v12
	v_mad_u32_u24 v99, 0x218, v20, v0
	v_mad_u32_u24 v100, 0x218, v20, v22
	v_add_nc_u32_e32 v102, 0x2380, v16
	v_add_nc_u32_e32 v103, v13, v14
	;; [unrolled: 1-line block ×6, first 2 shown]
	v_lshlrev_b32_e32 v108, 3, v3
	s_sub_nc_u64 s[64:65], 0, s[62:63]
	s_sub_nc_u64 s[68:69], 0, s[56:57]
	s_wait_alu 0xfffe
	s_and_b32 s75, s0, s23
	s_lshl_b64 s[54:55], s[24:25], 6
	s_sub_nc_u64 s[56:57], 0, s[30:31]
	s_lshl_b64 s[58:59], s[24:25], 3
	s_mul_u64 s[60:61], s[24:25], 0x68
	s_lshl_b64 s[62:63], s[62:63], 3
	s_lshl_b64 s[64:65], s[64:65], 3
	s_lshl_b64 s[66:67], s[66:67], 3
	s_lshl_b64 s[68:69], s[68:69], 3
	s_branch .LBB10_4
.LBB10_2:                               ;   in Loop: Header=BB10_4 Depth=1
	s_wait_alu 0xfffe
	s_or_b32 exec_lo, exec_lo, s23
.LBB10_3:                               ;   in Loop: Header=BB10_4 Depth=1
	s_add_co_i32 s26, s26, 0x10000
	s_delay_alu instid0(SALU_CYCLE_1)
	s_cmp_lt_u32 s26, s33
	s_cbranch_scc0 .LBB10_138
.LBB10_4:                               ; =>This Loop Header: Depth=1
                                        ;     Child Loop BB10_114 Depth 2
	s_mul_u64 s[24:25], s[38:39], s[26:27]
	s_wait_alu 0xfffe
	s_lshl_b64 s[24:25], s[24:25], 3
	s_wait_alu 0xfffe
	s_add_nc_u64 s[24:25], s[36:37], s[24:25]
	global_load_b64 v[0:1], v33, s[24:25]
	s_mov_b32 s24, -1
	s_wait_loadcnt 0x0
	v_or_b32_e32 v0, v0, v1
	s_delay_alu instid0(VALU_DEP_1) | instskip(NEXT) | instid1(VALU_DEP_1)
	v_and_b32_e32 v0, 0x7fffffff, v0
	v_cmp_ne_u32_e64 s23, 0, v0
	s_and_b32 vcc_lo, exec_lo, s23
	s_wait_alu 0xfffe
	s_cbranch_vccnz .LBB10_6
; %bb.5:                                ;   in Loop: Header=BB10_4 Depth=1
	s_mul_u64 s[24:25], s[48:49], s[26:27]
	s_wait_alu 0xfffe
	s_lshl_b64 s[24:25], s[24:25], 3
	s_wait_alu 0xfffe
	s_add_nc_u64 s[24:25], s[46:47], s[24:25]
	global_load_b64 v[0:1], v33, s[24:25]
	s_wait_loadcnt 0x0
	v_cmp_neq_f32_e32 vcc_lo, 1.0, v0
	v_cmp_neq_f32_e64 s24, 0, v1
	s_wait_alu 0xfffe
	s_or_b32 s24, vcc_lo, s24
.LBB10_6:                               ;   in Loop: Header=BB10_4 Depth=1
	s_wait_alu 0xfffe
	s_and_not1_b32 vcc_lo, exec_lo, s24
	s_wait_alu 0xfffe
	s_cbranch_vccnz .LBB10_3
; %bb.7:                                ;   in Loop: Header=BB10_4 Depth=1
	s_and_not1_b32 vcc_lo, exec_lo, s23
	s_wait_alu 0xfffe
	s_cbranch_vccnz .LBB10_3
; %bb.8:                                ;   in Loop: Header=BB10_4 Depth=1
	s_mul_u64 s[24:25], s[44:45], s[26:27]
	s_wait_alu 0xfffe
	s_lshl_b64 s[24:25], s[24:25], 3
	s_wait_alu 0xfffe
	v_add_co_u32 v16, vcc_lo, v81, s24
	s_wait_alu 0xfffd
	v_add_co_ci_u32_e64 v17, null, s25, v82, vcc_lo
	s_and_saveexec_b32 s23, s0
	s_cbranch_execz .LBB10_13
; %bb.9:                                ;   in Loop: Header=BB10_4 Depth=1
	s_and_saveexec_b32 s24, s1
	s_wait_alu 0xfffe
	s_xor_b32 s24, exec_lo, s24
; %bb.10:                               ;   in Loop: Header=BB10_4 Depth=1
	v_mov_b32_e32 v32, v33
	ds_store_b64 v84, v[32:33]
; %bb.11:                               ;   in Loop: Header=BB10_4 Depth=1
	s_wait_alu 0xfffe
	s_and_not1_saveexec_b32 s24, s24
	s_cbranch_execz .LBB10_13
; %bb.12:                               ;   in Loop: Header=BB10_4 Depth=1
	global_load_b64 v[0:1], v[16:17], off
	s_wait_loadcnt 0x0
	ds_store_b64 v84, v[0:1]
.LBB10_13:                              ;   in Loop: Header=BB10_4 Depth=1
	s_wait_alu 0xfffe
	s_or_b32 exec_lo, exec_lo, s23
	s_mul_u64 s[24:25], s[28:29], s[26:27]
	s_mov_b32 s23, -1
	s_wait_alu 0xfffe
	s_lshl_b64 s[24:25], s[24:25], 3
	s_wait_alu 0xfffe
	v_add_co_u32 v0, vcc_lo, v85, s24
	s_wait_alu 0xfffd
	v_add_co_ci_u32_e64 v1, null, s25, v86, vcc_lo
	s_and_not1_b32 vcc_lo, exec_lo, s72
	s_wait_alu 0xfffe
	s_cbranch_vccnz .LBB10_15
; %bb.14:                               ;   in Loop: Header=BB10_4 Depth=1
	s_lshl_b64 s[24:25], s[42:43], 3
	s_mov_b32 s23, 0
	s_wait_alu 0xfffe
	v_add_co_u32 v2, vcc_lo, v0, s24
	s_wait_alu 0xfffd
	v_add_co_ci_u32_e64 v3, null, s25, v1, vcc_lo
	s_delay_alu instid0(VALU_DEP_2) | instskip(SKIP_1) | instid1(VALU_DEP_2)
	v_add_co_u32 v4, vcc_lo, v2, s54
	s_wait_alu 0xfffd
	v_add_co_ci_u32_e64 v5, null, s55, v3, vcc_lo
	s_delay_alu instid0(VALU_DEP_2) | instskip(SKIP_1) | instid1(VALU_DEP_2)
	v_add_co_u32 v6, vcc_lo, v4, s54
	s_wait_alu 0xfffd
	v_add_co_ci_u32_e64 v7, null, s55, v5, vcc_lo
	s_clause 0x3
	global_load_b64 v[8:9], v[0:1], off
	global_load_b64 v[2:3], v[2:3], off
	;; [unrolled: 1-line block ×4, first 2 shown]
	s_wait_loadcnt 0x3
	ds_store_b64 v103, v[8:9]
	s_wait_loadcnt 0x2
	ds_store_b64 v103, v[2:3] offset:2112
	s_wait_loadcnt 0x1
	ds_store_b64 v103, v[4:5] offset:4224
	;; [unrolled: 2-line block ×3, first 2 shown]
.LBB10_15:                              ;   in Loop: Header=BB10_4 Depth=1
	s_and_not1_b32 vcc_lo, exec_lo, s23
	s_wait_alu 0xfffe
	s_cbranch_vccnz .LBB10_27
; %bb.16:                               ;   in Loop: Header=BB10_4 Depth=1
	s_and_saveexec_b32 s23, s3
	s_wait_alu 0xfffe
	s_xor_b32 s23, exec_lo, s23
; %bb.17:                               ;   in Loop: Header=BB10_4 Depth=1
	v_mov_b32_e32 v32, v33
	ds_store_b64 v103, v[32:33]
; %bb.18:                               ;   in Loop: Header=BB10_4 Depth=1
	s_wait_alu 0xfffe
	s_or_saveexec_b32 s23, s23
	v_add_co_u32 v2, vcc_lo, v0, v34
	s_wait_alu 0xfffd
	v_add_co_ci_u32_e64 v3, null, v1, v35, vcc_lo
	s_lshl_b64 s[24:25], s[30:31], 3
	s_wait_alu 0xfffe
	v_add_co_u32 v2, vcc_lo, v2, s24
	s_wait_alu 0xfffd
	v_add_co_ci_u32_e64 v3, null, s25, v3, vcc_lo
	s_delay_alu instid0(VALU_DEP_2) | instskip(SKIP_1) | instid1(VALU_DEP_2)
	v_add_co_u32 v2, vcc_lo, v2, -8
	s_wait_alu 0xfffd
	v_add_co_ci_u32_e64 v3, null, -1, v3, vcc_lo
	s_delay_alu instid0(VALU_DEP_2) | instskip(NEXT) | instid1(VALU_DEP_2)
	v_cndmask_b32_e64 v2, v2, v0, s2
	v_cndmask_b32_e64 v3, v3, v1, s2
	s_xor_b32 exec_lo, exec_lo, s23
	s_cbranch_execnz .LBB10_120
; %bb.19:                               ;   in Loop: Header=BB10_4 Depth=1
	s_or_b32 exec_lo, exec_lo, s23
	s_and_saveexec_b32 s23, s4
	s_wait_alu 0xfffe
	s_xor_b32 s23, exec_lo, s23
	s_cbranch_execnz .LBB10_121
.LBB10_20:                              ;   in Loop: Header=BB10_4 Depth=1
	s_wait_alu 0xfffe
	s_and_not1_saveexec_b32 s23, s23
	s_cbranch_execnz .LBB10_122
.LBB10_21:                              ;   in Loop: Header=BB10_4 Depth=1
	s_wait_alu 0xfffe
	s_or_b32 exec_lo, exec_lo, s23
	s_and_saveexec_b32 s23, s5
	s_wait_alu 0xfffe
	s_xor_b32 s23, exec_lo, s23
	s_cbranch_execnz .LBB10_123
.LBB10_22:                              ;   in Loop: Header=BB10_4 Depth=1
	s_wait_alu 0xfffe
	s_and_not1_saveexec_b32 s23, s23
	s_cbranch_execnz .LBB10_124
.LBB10_23:                              ;   in Loop: Header=BB10_4 Depth=1
	s_wait_alu 0xfffe
	s_or_b32 exec_lo, exec_lo, s23
	s_and_saveexec_b32 s23, s6
	s_wait_alu 0xfffe
	s_xor_b32 s23, exec_lo, s23
	s_cbranch_execnz .LBB10_125
.LBB10_24:                              ;   in Loop: Header=BB10_4 Depth=1
	s_wait_alu 0xfffe
	s_and_not1_saveexec_b32 s23, s23
	s_cbranch_execz .LBB10_26
.LBB10_25:                              ;   in Loop: Header=BB10_4 Depth=1
	s_lshl_b64 s[24:25], s[52:53], 3
	s_wait_alu 0xfffe
	v_add_co_u32 v4, vcc_lo, v2, s24
	s_wait_alu 0xfffd
	v_add_co_ci_u32_e64 v5, null, s25, v3, vcc_lo
	global_load_b64 v[4:5], v[4:5], off
	s_wait_loadcnt 0x0
	ds_store_b64 v103, v[4:5] offset:6336
.LBB10_26:                              ;   in Loop: Header=BB10_4 Depth=1
	s_wait_alu 0xfffe
	s_or_b32 exec_lo, exec_lo, s23
	v_add_co_u32 v2, vcc_lo, v2, v108
	s_wait_alu 0xfffd
	v_add_co_ci_u32_e64 v3, null, 0, v3, vcc_lo
	s_lshl_b64 s[24:25], s[56:57], 3
	s_wait_alu 0xfffe
	v_add_co_u32 v2, vcc_lo, v2, s24
	s_wait_alu 0xfffd
	v_add_co_ci_u32_e64 v3, null, s25, v3, vcc_lo
	s_delay_alu instid0(VALU_DEP_2) | instskip(SKIP_1) | instid1(VALU_DEP_2)
	v_add_co_u32 v2, vcc_lo, v2, 8
	s_wait_alu 0xfffd
	v_add_co_ci_u32_e64 v3, null, 0, v3, vcc_lo
	s_delay_alu instid0(VALU_DEP_2) | instskip(NEXT) | instid1(VALU_DEP_2)
	v_cndmask_b32_e64 v0, v2, v0, s2
	v_cndmask_b32_e64 v1, v3, v1, s2
.LBB10_27:                              ;   in Loop: Header=BB10_4 Depth=1
	s_mov_b32 s23, 0
	s_wait_dscnt 0x0
	s_barrier_signal -1
	s_barrier_wait -1
	global_inv scope:SCOPE_SE
	s_and_saveexec_b32 s24, s7
	s_wait_alu 0xfffe
	s_xor_b32 s24, exec_lo, s24
; %bb.28:                               ;   in Loop: Header=BB10_4 Depth=1
	s_and_b32 s23, s8, exec_lo
; %bb.29:                               ;   in Loop: Header=BB10_4 Depth=1
	s_wait_alu 0xfffe
	s_or_saveexec_b32 s24, s24
	v_dual_mov_b32 v2, 0 :: v_dual_mov_b32 v3, v87
	s_wait_alu 0xfffe
	s_xor_b32 exec_lo, exec_lo, s24
	s_cbranch_execz .LBB10_31
; %bb.30:                               ;   in Loop: Header=BB10_4 Depth=1
	ds_load_b64 v[4:5], v104
	v_mov_b32_e32 v3, v88
	s_or_b32 s23, s23, exec_lo
	s_wait_dscnt 0x0
	v_xor_b32_e32 v2, 0x80000000, v5
	ds_store_b32 v88, v4
.LBB10_31:                              ;   in Loop: Header=BB10_4 Depth=1
	s_or_b32 exec_lo, exec_lo, s24
	s_wait_alu 0xfffe
	s_and_saveexec_b32 s24, s23
; %bb.32:                               ;   in Loop: Header=BB10_4 Depth=1
	ds_store_b32 v3, v2 offset:4
; %bb.33:                               ;   in Loop: Header=BB10_4 Depth=1
	s_wait_alu 0xfffe
	s_or_b32 exec_lo, exec_lo, s24
	s_mov_b32 s23, 0
	s_and_saveexec_b32 s24, s9
	s_wait_alu 0xfffe
	s_xor_b32 s24, exec_lo, s24
; %bb.34:                               ;   in Loop: Header=BB10_4 Depth=1
	s_and_b32 s23, s10, exec_lo
; %bb.35:                               ;   in Loop: Header=BB10_4 Depth=1
	s_wait_alu 0xfffe
	s_or_saveexec_b32 s24, s24
	v_dual_mov_b32 v2, 0 :: v_dual_mov_b32 v3, v87
	s_wait_alu 0xfffe
	s_xor_b32 exec_lo, exec_lo, s24
	s_cbranch_execz .LBB10_37
; %bb.36:                               ;   in Loop: Header=BB10_4 Depth=1
	ds_load_b64 v[4:5], v105
	v_mov_b32_e32 v3, v89
	s_or_b32 s23, s23, exec_lo
	s_wait_dscnt 0x0
	v_xor_b32_e32 v2, 0x80000000, v5
	ds_store_b32 v89, v4
.LBB10_37:                              ;   in Loop: Header=BB10_4 Depth=1
	s_or_b32 exec_lo, exec_lo, s24
	s_wait_alu 0xfffe
	s_and_saveexec_b32 s24, s23
; %bb.38:                               ;   in Loop: Header=BB10_4 Depth=1
	ds_store_b32 v3, v2 offset:4
; %bb.39:                               ;   in Loop: Header=BB10_4 Depth=1
	s_wait_alu 0xfffe
	s_or_b32 exec_lo, exec_lo, s24
	s_mov_b32 s23, 0
	s_and_saveexec_b32 s24, s11
	s_wait_alu 0xfffe
	s_xor_b32 s24, exec_lo, s24
; %bb.40:                               ;   in Loop: Header=BB10_4 Depth=1
	s_and_b32 s23, s12, exec_lo
; %bb.41:                               ;   in Loop: Header=BB10_4 Depth=1
	s_wait_alu 0xfffe
	s_or_saveexec_b32 s24, s24
	v_dual_mov_b32 v2, 0 :: v_dual_mov_b32 v3, v87
	s_wait_alu 0xfffe
	s_xor_b32 exec_lo, exec_lo, s24
	s_cbranch_execz .LBB10_43
; %bb.42:                               ;   in Loop: Header=BB10_4 Depth=1
	ds_load_b64 v[4:5], v105 offset:264
	v_mov_b32_e32 v3, v90
	s_or_b32 s23, s23, exec_lo
	s_wait_dscnt 0x0
	v_xor_b32_e32 v2, 0x80000000, v5
	ds_store_b32 v90, v4
.LBB10_43:                              ;   in Loop: Header=BB10_4 Depth=1
	s_or_b32 exec_lo, exec_lo, s24
	s_wait_alu 0xfffe
	s_and_saveexec_b32 s24, s23
; %bb.44:                               ;   in Loop: Header=BB10_4 Depth=1
	ds_store_b32 v3, v2 offset:4
; %bb.45:                               ;   in Loop: Header=BB10_4 Depth=1
	s_wait_alu 0xfffe
	s_or_b32 exec_lo, exec_lo, s24
	s_mov_b32 s23, 0
	s_and_saveexec_b32 s24, s13
	s_wait_alu 0xfffe
	s_xor_b32 s24, exec_lo, s24
; %bb.46:                               ;   in Loop: Header=BB10_4 Depth=1
	s_and_b32 s23, s14, exec_lo
; %bb.47:                               ;   in Loop: Header=BB10_4 Depth=1
	s_wait_alu 0xfffe
	s_or_saveexec_b32 s24, s24
	v_dual_mov_b32 v2, 0 :: v_dual_mov_b32 v3, v87
	s_wait_alu 0xfffe
	s_xor_b32 exec_lo, exec_lo, s24
	s_cbranch_execz .LBB10_49
; %bb.48:                               ;   in Loop: Header=BB10_4 Depth=1
	ds_load_b64 v[4:5], v105 offset:528
	v_mov_b32_e32 v3, v92
	s_or_b32 s23, s23, exec_lo
	s_wait_dscnt 0x0
	v_xor_b32_e32 v2, 0x80000000, v5
	ds_store_b32 v92, v4
.LBB10_49:                              ;   in Loop: Header=BB10_4 Depth=1
	s_or_b32 exec_lo, exec_lo, s24
	s_wait_alu 0xfffe
	s_and_saveexec_b32 s24, s23
; %bb.50:                               ;   in Loop: Header=BB10_4 Depth=1
	ds_store_b32 v3, v2 offset:4
; %bb.51:                               ;   in Loop: Header=BB10_4 Depth=1
	s_wait_alu 0xfffe
	s_or_b32 exec_lo, exec_lo, s24
	s_wait_loadcnt_dscnt 0x0
	s_barrier_signal -1
	s_barrier_wait -1
	global_inv scope:SCOPE_SE
	ds_load_b64 v[14:15], v104
	ds_load_b128 v[2:5], v93
	ds_load_2addr_b64 v[6:9], v105 offset1:33
	ds_load_b128 v[10:13], v93 offset:16
	ds_load_b64 v[18:19], v105 offset:528
	s_wait_loadcnt_dscnt 0x0
	s_barrier_signal -1
	s_barrier_wait -1
	global_inv scope:SCOPE_SE
	v_dual_mov_b32 v45, 0 :: v_dual_mul_f32 v20, v3, v15
	v_dual_mul_f32 v15, v2, v15 :: v_dual_mul_f32 v22, v11, v9
	v_mul_f32_e32 v9, v10, v9
	s_delay_alu instid0(VALU_DEP_3) | instskip(SKIP_1) | instid1(VALU_DEP_4)
	v_fma_f32 v2, v2, v14, -v20
	v_mul_f32_e32 v21, v5, v7
	v_fmac_f32_e32 v15, v3, v14
	s_delay_alu instid0(VALU_DEP_4) | instskip(SKIP_3) | instid1(VALU_DEP_1)
	v_fmac_f32_e32 v9, v11, v8
	v_fma_f32 v10, v10, v8, -v22
	v_dual_add_f32 v2, 0, v2 :: v_dual_mul_f32 v7, v4, v7
	v_fma_f32 v4, v4, v6, -v21
	v_dual_add_f32 v2, v2, v4 :: v_dual_fmac_f32 v7, v5, v6
	v_mul_f32_e32 v6, v12, v19
	v_add_f32_e32 v5, 0, v15
	s_delay_alu instid0(VALU_DEP_3) | instskip(NEXT) | instid1(VALU_DEP_3)
	v_dual_mul_f32 v3, v13, v19 :: v_dual_add_f32 v2, v2, v10
	v_fmac_f32_e32 v6, v13, v18
	s_delay_alu instid0(VALU_DEP_3) | instskip(NEXT) | instid1(VALU_DEP_3)
	v_add_f32_e32 v4, v5, v7
	v_fma_f32 v3, v12, v18, -v3
	s_delay_alu instid0(VALU_DEP_2) | instskip(SKIP_1) | instid1(VALU_DEP_2)
	v_add_f32_e32 v4, v4, v9
	v_mov_b32_e32 v44, 0
	v_dual_add_f32 v2, v2, v3 :: v_dual_add_f32 v3, v4, v6
	ds_store_b64 v94, v[2:3]
	s_wait_loadcnt_dscnt 0x0
	s_barrier_signal -1
	s_barrier_wait -1
	global_inv scope:SCOPE_SE
	s_and_saveexec_b32 s23, s15
	s_cbranch_execz .LBB10_53
; %bb.52:                               ;   in Loop: Header=BB10_4 Depth=1
	ds_load_2addr_b64 v[2:5], v91 offset1:7
	ds_load_2addr_b64 v[6:9], v91 offset0:1 offset1:2
	ds_load_2addr_b64 v[10:13], v91 offset0:3 offset1:4
	;; [unrolled: 1-line block ×3, first 2 shown]
	s_wait_dscnt 0x2
	v_dual_add_f32 v2, v6, v2 :: v_dual_add_f32 v3, v7, v3
	s_delay_alu instid0(VALU_DEP_1) | instskip(SKIP_1) | instid1(VALU_DEP_1)
	v_dual_add_f32 v2, v8, v2 :: v_dual_add_f32 v3, v9, v3
	s_wait_dscnt 0x1
	v_dual_add_f32 v2, v2, v10 :: v_dual_add_f32 v3, v3, v11
	s_delay_alu instid0(VALU_DEP_1) | instskip(SKIP_1) | instid1(VALU_DEP_1)
	v_dual_add_f32 v2, v2, v12 :: v_dual_add_f32 v3, v3, v13
	s_wait_dscnt 0x0
	v_dual_add_f32 v2, v2, v18 :: v_dual_add_f32 v3, v3, v19
	s_delay_alu instid0(VALU_DEP_1) | instskip(NEXT) | instid1(VALU_DEP_1)
	v_dual_add_f32 v2, v2, v20 :: v_dual_add_f32 v3, v3, v21
	v_dual_add_f32 v44, v2, v4 :: v_dual_add_f32 v45, v3, v5
.LBB10_53:                              ;   in Loop: Header=BB10_4 Depth=1
	s_wait_alu 0xfffe
	s_or_b32 exec_lo, exec_lo, s23
	v_add_co_u32 v0, vcc_lo, v0, s62
	s_wait_alu 0xfffd
	v_add_co_ci_u32_e64 v1, null, s63, v1, vcc_lo
	s_and_not1_b32 vcc_lo, exec_lo, s72
	s_mov_b32 s23, -1
	s_wait_loadcnt 0x0
	s_barrier_signal -1
	s_barrier_wait -1
	global_inv scope:SCOPE_SE
	s_wait_alu 0xfffe
	s_cbranch_vccnz .LBB10_55
; %bb.54:                               ;   in Loop: Header=BB10_4 Depth=1
	s_lshl_b64 s[24:25], s[42:43], 3
	s_mov_b32 s23, 0
	s_wait_alu 0xfffe
	v_add_co_u32 v2, vcc_lo, v0, s24
	s_wait_alu 0xfffd
	v_add_co_ci_u32_e64 v3, null, s25, v1, vcc_lo
	s_delay_alu instid0(VALU_DEP_2) | instskip(SKIP_1) | instid1(VALU_DEP_2)
	v_add_co_u32 v4, vcc_lo, v2, s54
	s_wait_alu 0xfffd
	v_add_co_ci_u32_e64 v5, null, s55, v3, vcc_lo
	s_delay_alu instid0(VALU_DEP_2) | instskip(SKIP_1) | instid1(VALU_DEP_2)
	v_add_co_u32 v6, vcc_lo, v4, s54
	s_wait_alu 0xfffd
	v_add_co_ci_u32_e64 v7, null, s55, v5, vcc_lo
	s_clause 0x3
	global_load_b64 v[8:9], v[0:1], off offset:256
	global_load_b64 v[2:3], v[2:3], off offset:256
	;; [unrolled: 1-line block ×4, first 2 shown]
	s_wait_loadcnt 0x3
	ds_store_b64 v103, v[8:9]
	s_wait_loadcnt 0x2
	ds_store_b64 v103, v[2:3] offset:2112
	s_wait_loadcnt 0x1
	ds_store_b64 v103, v[4:5] offset:4224
	;; [unrolled: 2-line block ×3, first 2 shown]
.LBB10_55:                              ;   in Loop: Header=BB10_4 Depth=1
	v_add_co_u32 v2, vcc_lo, 0x100, v0
	s_wait_alu 0xfffd
	v_add_co_ci_u32_e64 v3, null, 0, v1, vcc_lo
	s_and_not1_b32 vcc_lo, exec_lo, s23
	s_wait_alu 0xfffe
	s_cbranch_vccnz .LBB10_67
; %bb.56:                               ;   in Loop: Header=BB10_4 Depth=1
	s_and_saveexec_b32 s23, s17
	s_wait_alu 0xfffe
	s_xor_b32 s23, exec_lo, s23
; %bb.57:                               ;   in Loop: Header=BB10_4 Depth=1
	v_mov_b32_e32 v32, v33
	ds_store_b64 v103, v[32:33]
; %bb.58:                               ;   in Loop: Header=BB10_4 Depth=1
	s_wait_alu 0xfffe
	s_or_saveexec_b32 s23, s23
	v_add_co_u32 v0, vcc_lo, v0, v34
	s_wait_alu 0xfffd
	v_add_co_ci_u32_e64 v1, null, v1, v35, vcc_lo
	s_lshl_b64 s[24:25], s[30:31], 3
	s_wait_alu 0xfffe
	v_add_co_u32 v0, vcc_lo, v0, s24
	s_wait_alu 0xfffd
	v_add_co_ci_u32_e64 v1, null, s25, v1, vcc_lo
	s_delay_alu instid0(VALU_DEP_2) | instskip(SKIP_1) | instid1(VALU_DEP_2)
	v_add_co_u32 v0, vcc_lo, v0, -8
	s_wait_alu 0xfffd
	v_add_co_ci_u32_e64 v1, null, -1, v1, vcc_lo
	s_delay_alu instid0(VALU_DEP_2) | instskip(NEXT) | instid1(VALU_DEP_2)
	v_cndmask_b32_e64 v0, v0, v2, s16
	v_cndmask_b32_e64 v1, v1, v3, s16
	s_xor_b32 exec_lo, exec_lo, s23
	s_cbranch_execnz .LBB10_126
; %bb.59:                               ;   in Loop: Header=BB10_4 Depth=1
	s_or_b32 exec_lo, exec_lo, s23
	s_and_saveexec_b32 s23, s18
	s_wait_alu 0xfffe
	s_xor_b32 s23, exec_lo, s23
	s_cbranch_execnz .LBB10_127
.LBB10_60:                              ;   in Loop: Header=BB10_4 Depth=1
	s_wait_alu 0xfffe
	s_and_not1_saveexec_b32 s23, s23
	s_cbranch_execnz .LBB10_128
.LBB10_61:                              ;   in Loop: Header=BB10_4 Depth=1
	s_wait_alu 0xfffe
	s_or_b32 exec_lo, exec_lo, s23
	s_and_saveexec_b32 s23, s19
	s_wait_alu 0xfffe
	s_xor_b32 s23, exec_lo, s23
	s_cbranch_execnz .LBB10_129
.LBB10_62:                              ;   in Loop: Header=BB10_4 Depth=1
	s_wait_alu 0xfffe
	s_and_not1_saveexec_b32 s23, s23
	s_cbranch_execnz .LBB10_130
.LBB10_63:                              ;   in Loop: Header=BB10_4 Depth=1
	s_wait_alu 0xfffe
	s_or_b32 exec_lo, exec_lo, s23
	s_and_saveexec_b32 s23, s20
	s_wait_alu 0xfffe
	s_xor_b32 s23, exec_lo, s23
	s_cbranch_execnz .LBB10_131
.LBB10_64:                              ;   in Loop: Header=BB10_4 Depth=1
	s_wait_alu 0xfffe
	s_and_not1_saveexec_b32 s23, s23
	s_cbranch_execz .LBB10_66
.LBB10_65:                              ;   in Loop: Header=BB10_4 Depth=1
	s_lshl_b64 s[24:25], s[52:53], 3
	s_wait_alu 0xfffe
	v_add_co_u32 v4, vcc_lo, v0, s24
	s_wait_alu 0xfffd
	v_add_co_ci_u32_e64 v5, null, s25, v1, vcc_lo
	global_load_b64 v[4:5], v[4:5], off
	s_wait_loadcnt 0x0
	ds_store_b64 v103, v[4:5] offset:6336
.LBB10_66:                              ;   in Loop: Header=BB10_4 Depth=1
	s_wait_alu 0xfffe
	s_or_b32 exec_lo, exec_lo, s23
	v_add_co_u32 v0, vcc_lo, v0, v108
	s_wait_alu 0xfffd
	v_add_co_ci_u32_e64 v1, null, 0, v1, vcc_lo
	s_lshl_b64 s[24:25], s[56:57], 3
	s_wait_alu 0xfffe
	v_add_co_u32 v0, vcc_lo, v0, s24
	s_wait_alu 0xfffd
	v_add_co_ci_u32_e64 v1, null, s25, v1, vcc_lo
	s_delay_alu instid0(VALU_DEP_2) | instskip(SKIP_1) | instid1(VALU_DEP_2)
	v_add_co_u32 v0, vcc_lo, 0x108, v0
	s_wait_alu 0xfffd
	v_add_co_ci_u32_e64 v1, null, 0, v1, vcc_lo
	s_delay_alu instid0(VALU_DEP_2) | instskip(NEXT) | instid1(VALU_DEP_2)
	v_cndmask_b32_e64 v2, v0, v2, s16
	v_cndmask_b32_e64 v3, v1, v3, s16
.LBB10_67:                              ;   in Loop: Header=BB10_4 Depth=1
	s_mov_b32 s23, 0
	s_wait_loadcnt_dscnt 0x0
	s_barrier_signal -1
	s_barrier_wait -1
	global_inv scope:SCOPE_SE
	s_and_saveexec_b32 s24, s7
	s_wait_alu 0xfffe
	s_xor_b32 s24, exec_lo, s24
; %bb.68:                               ;   in Loop: Header=BB10_4 Depth=1
	s_and_b32 s23, s8, exec_lo
; %bb.69:                               ;   in Loop: Header=BB10_4 Depth=1
	s_wait_alu 0xfffe
	s_or_saveexec_b32 s24, s24
	v_dual_mov_b32 v0, 0 :: v_dual_mov_b32 v1, v87
	s_wait_alu 0xfffe
	s_xor_b32 exec_lo, exec_lo, s24
	s_cbranch_execz .LBB10_71
; %bb.70:                               ;   in Loop: Header=BB10_4 Depth=1
	ds_load_b64 v[4:5], v104
	v_mov_b32_e32 v1, v88
	s_or_b32 s23, s23, exec_lo
	s_wait_dscnt 0x0
	v_xor_b32_e32 v0, 0x80000000, v5
	ds_store_b32 v88, v4
.LBB10_71:                              ;   in Loop: Header=BB10_4 Depth=1
	s_or_b32 exec_lo, exec_lo, s24
	s_wait_alu 0xfffe
	s_and_saveexec_b32 s24, s23
; %bb.72:                               ;   in Loop: Header=BB10_4 Depth=1
	ds_store_b32 v1, v0 offset:4
; %bb.73:                               ;   in Loop: Header=BB10_4 Depth=1
	s_wait_alu 0xfffe
	s_or_b32 exec_lo, exec_lo, s24
	s_mov_b32 s23, 0
	s_and_saveexec_b32 s24, s9
	s_wait_alu 0xfffe
	s_xor_b32 s24, exec_lo, s24
; %bb.74:                               ;   in Loop: Header=BB10_4 Depth=1
	s_and_b32 s23, s10, exec_lo
; %bb.75:                               ;   in Loop: Header=BB10_4 Depth=1
	s_wait_alu 0xfffe
	s_or_saveexec_b32 s24, s24
	v_dual_mov_b32 v0, 0 :: v_dual_mov_b32 v1, v87
	s_wait_alu 0xfffe
	s_xor_b32 exec_lo, exec_lo, s24
	s_cbranch_execz .LBB10_77
; %bb.76:                               ;   in Loop: Header=BB10_4 Depth=1
	ds_load_b64 v[4:5], v105
	v_mov_b32_e32 v1, v89
	s_or_b32 s23, s23, exec_lo
	s_wait_dscnt 0x0
	v_xor_b32_e32 v0, 0x80000000, v5
	ds_store_b32 v89, v4
.LBB10_77:                              ;   in Loop: Header=BB10_4 Depth=1
	s_or_b32 exec_lo, exec_lo, s24
	s_wait_alu 0xfffe
	s_and_saveexec_b32 s24, s23
; %bb.78:                               ;   in Loop: Header=BB10_4 Depth=1
	ds_store_b32 v1, v0 offset:4
; %bb.79:                               ;   in Loop: Header=BB10_4 Depth=1
	s_wait_alu 0xfffe
	s_or_b32 exec_lo, exec_lo, s24
	s_mov_b32 s23, 0
	s_and_saveexec_b32 s24, s11
	s_wait_alu 0xfffe
	s_xor_b32 s24, exec_lo, s24
; %bb.80:                               ;   in Loop: Header=BB10_4 Depth=1
	s_and_b32 s23, s12, exec_lo
; %bb.81:                               ;   in Loop: Header=BB10_4 Depth=1
	s_wait_alu 0xfffe
	s_or_saveexec_b32 s24, s24
	v_dual_mov_b32 v0, 0 :: v_dual_mov_b32 v1, v87
	s_wait_alu 0xfffe
	s_xor_b32 exec_lo, exec_lo, s24
	s_cbranch_execz .LBB10_83
; %bb.82:                               ;   in Loop: Header=BB10_4 Depth=1
	ds_load_b64 v[4:5], v105 offset:264
	v_mov_b32_e32 v1, v90
	s_or_b32 s23, s23, exec_lo
	s_wait_dscnt 0x0
	v_xor_b32_e32 v0, 0x80000000, v5
	ds_store_b32 v90, v4
.LBB10_83:                              ;   in Loop: Header=BB10_4 Depth=1
	s_or_b32 exec_lo, exec_lo, s24
	s_wait_alu 0xfffe
	s_and_saveexec_b32 s24, s23
; %bb.84:                               ;   in Loop: Header=BB10_4 Depth=1
	ds_store_b32 v1, v0 offset:4
; %bb.85:                               ;   in Loop: Header=BB10_4 Depth=1
	s_wait_alu 0xfffe
	s_or_b32 exec_lo, exec_lo, s24
	s_mov_b32 s23, 0
	s_and_saveexec_b32 s24, s13
	s_wait_alu 0xfffe
	s_xor_b32 s24, exec_lo, s24
; %bb.86:                               ;   in Loop: Header=BB10_4 Depth=1
	s_and_b32 s23, s14, exec_lo
; %bb.87:                               ;   in Loop: Header=BB10_4 Depth=1
	s_wait_alu 0xfffe
	s_or_saveexec_b32 s24, s24
	v_dual_mov_b32 v0, 0 :: v_dual_mov_b32 v1, v87
	s_wait_alu 0xfffe
	s_xor_b32 exec_lo, exec_lo, s24
	s_cbranch_execz .LBB10_89
; %bb.88:                               ;   in Loop: Header=BB10_4 Depth=1
	ds_load_b64 v[4:5], v105 offset:528
	v_mov_b32_e32 v1, v92
	s_or_b32 s23, s23, exec_lo
	s_wait_dscnt 0x0
	v_xor_b32_e32 v0, 0x80000000, v5
	ds_store_b32 v92, v4
.LBB10_89:                              ;   in Loop: Header=BB10_4 Depth=1
	s_or_b32 exec_lo, exec_lo, s24
	s_wait_alu 0xfffe
	s_and_saveexec_b32 s24, s23
; %bb.90:                               ;   in Loop: Header=BB10_4 Depth=1
	ds_store_b32 v1, v0 offset:4
; %bb.91:                               ;   in Loop: Header=BB10_4 Depth=1
	s_wait_alu 0xfffe
	s_or_b32 exec_lo, exec_lo, s24
	s_wait_loadcnt_dscnt 0x0
	s_barrier_signal -1
	s_barrier_wait -1
	global_inv scope:SCOPE_SE
	ds_load_b64 v[0:1], v104
	ds_load_b128 v[4:7], v93 offset:256
	ds_load_2addr_b64 v[8:11], v105 offset1:33
	ds_load_b128 v[12:15], v93 offset:272
	ds_load_b64 v[18:19], v105 offset:528
	s_wait_loadcnt_dscnt 0x0
	s_barrier_signal -1
	s_barrier_wait -1
	global_inv scope:SCOPE_SE
	v_mul_f32_e32 v20, v5, v1
	v_dual_mul_f32 v1, v4, v1 :: v_dual_mul_f32 v22, v13, v11
	v_mul_f32_e32 v11, v12, v11
	s_delay_alu instid0(VALU_DEP_3) | instskip(SKIP_3) | instid1(VALU_DEP_4)
	v_fma_f32 v4, v4, v0, -v20
	v_mul_f32_e32 v21, v7, v9
	v_mul_f32_e32 v9, v6, v9
	v_dual_fmac_f32 v1, v5, v0 :: v_dual_mul_f32 v0, v15, v19
	v_add_f32_e32 v4, 0, v4
	s_delay_alu instid0(VALU_DEP_4) | instskip(NEXT) | instid1(VALU_DEP_4)
	v_fma_f32 v5, v6, v8, -v21
	v_dual_fmac_f32 v9, v7, v8 :: v_dual_mul_f32 v6, v14, v19
	s_delay_alu instid0(VALU_DEP_4) | instskip(SKIP_1) | instid1(VALU_DEP_4)
	v_add_f32_e32 v1, 0, v1
	v_fma_f32 v7, v12, v10, -v22
	v_dual_add_f32 v4, v4, v5 :: v_dual_fmac_f32 v11, v13, v10
	v_fma_f32 v0, v14, v18, -v0
	v_fmac_f32_e32 v6, v15, v18
	s_delay_alu instid0(VALU_DEP_3) | instskip(NEXT) | instid1(VALU_DEP_1)
	v_dual_add_f32 v4, v4, v7 :: v_dual_add_f32 v1, v1, v9
	v_dual_add_f32 v0, v4, v0 :: v_dual_add_f32 v1, v1, v11
	s_delay_alu instid0(VALU_DEP_1)
	v_add_f32_e32 v1, v1, v6
	ds_store_b64 v94, v[0:1]
	s_wait_loadcnt_dscnt 0x0
	s_barrier_signal -1
	s_barrier_wait -1
	global_inv scope:SCOPE_SE
	s_and_saveexec_b32 s23, s21
	s_cbranch_execz .LBB10_93
; %bb.92:                               ;   in Loop: Header=BB10_4 Depth=1
	ds_load_2addr_b64 v[4:7], v91 offset1:7
	ds_load_2addr_b64 v[8:11], v91 offset0:1 offset1:2
	ds_load_2addr_b64 v[12:15], v91 offset0:3 offset1:4
	;; [unrolled: 1-line block ×3, first 2 shown]
	s_wait_dscnt 0x2
	v_dual_add_f32 v0, v8, v4 :: v_dual_add_f32 v1, v9, v5
	s_delay_alu instid0(VALU_DEP_1) | instskip(SKIP_1) | instid1(VALU_DEP_1)
	v_dual_add_f32 v0, v10, v0 :: v_dual_add_f32 v1, v11, v1
	s_wait_dscnt 0x1
	v_dual_add_f32 v0, v0, v12 :: v_dual_add_f32 v1, v1, v13
	s_delay_alu instid0(VALU_DEP_1) | instskip(SKIP_1) | instid1(VALU_DEP_1)
	v_dual_add_f32 v0, v0, v14 :: v_dual_add_f32 v1, v1, v15
	s_wait_dscnt 0x0
	v_dual_add_f32 v0, v0, v18 :: v_dual_add_f32 v1, v1, v19
	s_delay_alu instid0(VALU_DEP_1) | instskip(NEXT) | instid1(VALU_DEP_1)
	v_dual_add_f32 v0, v0, v20 :: v_dual_add_f32 v1, v1, v21
	v_dual_add_f32 v44, v0, v6 :: v_dual_add_f32 v45, v1, v7
.LBB10_93:                              ;   in Loop: Header=BB10_4 Depth=1
	s_wait_alu 0xfffe
	s_or_b32 exec_lo, exec_lo, s23
	v_add_co_u32 v18, vcc_lo, v2, s64
	s_wait_alu 0xfffd
	v_add_co_ci_u32_e64 v19, null, s65, v3, vcc_lo
	s_and_not1_b32 vcc_lo, exec_lo, s72
	s_mov_b32 s23, -1
	s_wait_loadcnt 0x0
	s_barrier_signal -1
	s_barrier_wait -1
	global_inv scope:SCOPE_SE
	s_wait_alu 0xfffe
	s_cbranch_vccnz .LBB10_95
; %bb.94:                               ;   in Loop: Header=BB10_4 Depth=1
	s_lshl_b64 s[24:25], s[42:43], 3
	s_mov_b32 s23, 0
	s_wait_alu 0xfffe
	v_add_co_u32 v0, vcc_lo, v18, s24
	s_wait_alu 0xfffd
	v_add_co_ci_u32_e64 v1, null, s25, v19, vcc_lo
	s_delay_alu instid0(VALU_DEP_2) | instskip(SKIP_1) | instid1(VALU_DEP_2)
	v_add_co_u32 v2, vcc_lo, v0, s54
	s_wait_alu 0xfffd
	v_add_co_ci_u32_e64 v3, null, s55, v1, vcc_lo
	s_delay_alu instid0(VALU_DEP_2) | instskip(SKIP_1) | instid1(VALU_DEP_2)
	v_add_co_u32 v4, vcc_lo, v2, s54
	s_wait_alu 0xfffd
	v_add_co_ci_u32_e64 v5, null, s55, v3, vcc_lo
	s_clause 0x3
	global_load_b64 v[6:7], v[18:19], off
	global_load_b64 v[0:1], v[0:1], off
	;; [unrolled: 1-line block ×4, first 2 shown]
	s_wait_loadcnt 0x3
	ds_store_b64 v103, v[6:7]
	s_wait_loadcnt 0x2
	ds_store_b64 v103, v[0:1] offset:2112
	s_wait_loadcnt 0x1
	ds_store_b64 v103, v[2:3] offset:4224
	;; [unrolled: 2-line block ×3, first 2 shown]
.LBB10_95:                              ;   in Loop: Header=BB10_4 Depth=1
	s_and_not1_b32 vcc_lo, exec_lo, s23
	s_wait_alu 0xfffe
	s_cbranch_vccnz .LBB10_107
; %bb.96:                               ;   in Loop: Header=BB10_4 Depth=1
	s_and_saveexec_b32 s23, s3
	s_wait_alu 0xfffe
	s_xor_b32 s23, exec_lo, s23
; %bb.97:                               ;   in Loop: Header=BB10_4 Depth=1
	v_mov_b32_e32 v32, v33
	ds_store_b64 v103, v[32:33]
; %bb.98:                               ;   in Loop: Header=BB10_4 Depth=1
	s_wait_alu 0xfffe
	s_or_saveexec_b32 s23, s23
	v_add_co_u32 v0, vcc_lo, v18, v34
	s_wait_alu 0xfffd
	v_add_co_ci_u32_e64 v1, null, v19, v35, vcc_lo
	s_lshl_b64 s[24:25], s[30:31], 3
	s_wait_alu 0xfffe
	v_add_co_u32 v0, vcc_lo, v0, s24
	s_wait_alu 0xfffd
	v_add_co_ci_u32_e64 v1, null, s25, v1, vcc_lo
	s_delay_alu instid0(VALU_DEP_2) | instskip(SKIP_1) | instid1(VALU_DEP_2)
	v_add_co_u32 v0, vcc_lo, 0xfffffef8, v0
	s_wait_alu 0xfffd
	v_add_co_ci_u32_e64 v1, null, -1, v1, vcc_lo
	s_delay_alu instid0(VALU_DEP_2) | instskip(NEXT) | instid1(VALU_DEP_2)
	v_cndmask_b32_e64 v0, v0, v18, s16
	v_cndmask_b32_e64 v1, v1, v19, s16
	s_xor_b32 exec_lo, exec_lo, s23
	s_cbranch_execnz .LBB10_132
; %bb.99:                               ;   in Loop: Header=BB10_4 Depth=1
	s_or_b32 exec_lo, exec_lo, s23
	s_and_saveexec_b32 s23, s4
	s_wait_alu 0xfffe
	s_xor_b32 s23, exec_lo, s23
	s_cbranch_execnz .LBB10_133
.LBB10_100:                             ;   in Loop: Header=BB10_4 Depth=1
	s_wait_alu 0xfffe
	s_and_not1_saveexec_b32 s23, s23
	s_cbranch_execnz .LBB10_134
.LBB10_101:                             ;   in Loop: Header=BB10_4 Depth=1
	s_wait_alu 0xfffe
	s_or_b32 exec_lo, exec_lo, s23
	s_and_saveexec_b32 s23, s5
	s_wait_alu 0xfffe
	s_xor_b32 s23, exec_lo, s23
	s_cbranch_execnz .LBB10_135
.LBB10_102:                             ;   in Loop: Header=BB10_4 Depth=1
	s_wait_alu 0xfffe
	s_and_not1_saveexec_b32 s23, s23
	s_cbranch_execnz .LBB10_136
.LBB10_103:                             ;   in Loop: Header=BB10_4 Depth=1
	s_wait_alu 0xfffe
	s_or_b32 exec_lo, exec_lo, s23
	s_and_saveexec_b32 s23, s6
	s_wait_alu 0xfffe
	s_xor_b32 s23, exec_lo, s23
	s_cbranch_execnz .LBB10_137
.LBB10_104:                             ;   in Loop: Header=BB10_4 Depth=1
	s_wait_alu 0xfffe
	s_and_not1_saveexec_b32 s23, s23
	s_cbranch_execz .LBB10_106
.LBB10_105:                             ;   in Loop: Header=BB10_4 Depth=1
	s_lshl_b64 s[24:25], s[52:53], 3
	s_wait_alu 0xfffe
	v_add_co_u32 v2, vcc_lo, v0, s24
	s_wait_alu 0xfffd
	v_add_co_ci_u32_e64 v3, null, s25, v1, vcc_lo
	global_load_b64 v[2:3], v[2:3], off
	s_wait_loadcnt 0x0
	ds_store_b64 v103, v[2:3] offset:6336
.LBB10_106:                             ;   in Loop: Header=BB10_4 Depth=1
	s_wait_alu 0xfffe
	s_or_b32 exec_lo, exec_lo, s23
	v_add_co_u32 v0, vcc_lo, v0, v108
	s_wait_alu 0xfffd
	v_add_co_ci_u32_e64 v1, null, 0, v1, vcc_lo
	s_lshl_b64 s[24:25], s[56:57], 3
	s_wait_alu 0xfffe
	v_add_co_u32 v0, vcc_lo, v0, s24
	s_wait_alu 0xfffd
	v_add_co_ci_u32_e64 v1, null, s25, v1, vcc_lo
	s_delay_alu instid0(VALU_DEP_2) | instskip(SKIP_1) | instid1(VALU_DEP_2)
	v_add_co_u32 v0, vcc_lo, 0x108, v0
	s_wait_alu 0xfffd
	v_add_co_ci_u32_e64 v1, null, 0, v1, vcc_lo
	s_delay_alu instid0(VALU_DEP_2) | instskip(NEXT) | instid1(VALU_DEP_2)
	v_cndmask_b32_e64 v18, v0, v18, s16
	v_cndmask_b32_e64 v19, v1, v19, s16
.LBB10_107:                             ;   in Loop: Header=BB10_4 Depth=1
	s_wait_loadcnt_dscnt 0x0
	s_barrier_signal -1
	s_barrier_wait -1
	global_inv scope:SCOPE_SE
	ds_load_b64 v[24:25], v106
	ds_load_b64 v[26:27], v103
	ds_load_b64 v[28:29], v103 offset:2112
	ds_load_2addr_b64 v[20:23], v102 offset0:8 offset1:16
	ds_load_b64 v[30:31], v103 offset:6336
	ds_load_b64 v[46:47], v103 offset:4224
	;; [unrolled: 1-line block ×3, first 2 shown]
	ds_load_b128 v[8:11], v93 offset:256
	ds_load_b128 v[0:3], v93 offset:272
	ds_load_2addr_b64 v[12:15], v95 offset1:1
	ds_load_2addr_b64 v[4:7], v95 offset0:2 offset1:3
	s_wait_loadcnt_dscnt 0x0
	s_barrier_signal -1
	s_barrier_wait -1
	global_inv scope:SCOPE_SE
	v_mul_f32_e32 v32, v25, v27
	v_dual_mul_f32 v27, v24, v27 :: v_dual_mul_f32 v50, v21, v29
	v_mul_f32_e32 v29, v20, v29
	s_delay_alu instid0(VALU_DEP_3) | instskip(SKIP_1) | instid1(VALU_DEP_4)
	v_fma_f32 v24, v24, v26, -v32
	v_mul_f32_e32 v52, v49, v31
	v_dual_fmac_f32 v27, v25, v26 :: v_dual_mul_f32 v26, v48, v31
	v_fma_f32 v20, v20, v28, -v50
	v_fmac_f32_e32 v29, v21, v28
	v_add_f32_e32 v21, 0, v24
	v_mul_f32_e32 v51, v23, v47
	v_dual_mul_f32 v25, v22, v47 :: v_dual_fmac_f32 v26, v49, v30
	v_add_f32_e32 v24, 0, v27
	s_delay_alu instid0(VALU_DEP_4) | instskip(NEXT) | instid1(VALU_DEP_4)
	v_add_f32_e32 v20, v21, v20
	v_fma_f32 v22, v22, v46, -v51
	s_delay_alu instid0(VALU_DEP_3) | instskip(NEXT) | instid1(VALU_DEP_2)
	v_add_f32_e32 v21, v24, v29
	v_add_f32_e32 v20, v20, v22
	v_fmac_f32_e32 v25, v23, v46
	v_fma_f32 v23, v48, v30, -v52
	s_delay_alu instid0(VALU_DEP_1) | instskip(NEXT) | instid1(VALU_DEP_1)
	v_dual_add_f32 v20, v20, v23 :: v_dual_add_f32 v21, v21, v25
	v_add_f32_e32 v21, v21, v26
	ds_store_b64 v94, v[20:21]
	s_wait_loadcnt_dscnt 0x0
	s_barrier_signal -1
	s_barrier_wait -1
	global_inv scope:SCOPE_SE
	s_and_saveexec_b32 s23, s21
	s_cbranch_execz .LBB10_109
; %bb.108:                              ;   in Loop: Header=BB10_4 Depth=1
	ds_load_2addr_b64 v[20:23], v91 offset1:1
	ds_load_2addr_b64 v[24:27], v91 offset0:2 offset1:3
	ds_load_2addr_b64 v[28:31], v91 offset0:4 offset1:5
	s_wait_dscnt 0x2
	v_dual_add_f32 v20, v44, v20 :: v_dual_add_f32 v21, v45, v21
	s_delay_alu instid0(VALU_DEP_1) | instskip(SKIP_1) | instid1(VALU_DEP_1)
	v_add_f32_e32 v44, v21, v23
	s_wait_dscnt 0x1
	v_add_f32_e32 v25, v44, v25
	s_delay_alu instid0(VALU_DEP_3) | instskip(SKIP_3) | instid1(VALU_DEP_1)
	v_add_f32_e32 v32, v20, v22
	ds_load_2addr_b64 v[20:23], v91 offset0:6 offset1:7
	v_dual_add_f32 v25, v25, v27 :: v_dual_add_f32 v24, v32, v24
	s_wait_dscnt 0x1
	v_dual_add_f32 v25, v25, v29 :: v_dual_add_f32 v24, v24, v26
	s_delay_alu instid0(VALU_DEP_1) | instskip(SKIP_1) | instid1(VALU_DEP_1)
	v_dual_add_f32 v25, v25, v31 :: v_dual_add_f32 v24, v24, v28
	s_wait_dscnt 0x0
	v_dual_add_f32 v21, v25, v21 :: v_dual_add_f32 v24, v24, v30
	s_delay_alu instid0(VALU_DEP_1) | instskip(NEXT) | instid1(VALU_DEP_1)
	v_dual_add_f32 v45, v21, v23 :: v_dual_add_f32 v20, v24, v20
	v_add_f32_e32 v44, v20, v22
.LBB10_109:                             ;   in Loop: Header=BB10_4 Depth=1
	s_wait_alu 0xfffe
	s_or_b32 exec_lo, exec_lo, s23
	v_dual_mul_f32 v20, v13, v9 :: v_dual_mul_f32 v21, v15, v11
	v_dual_mul_f32 v15, v15, v10 :: v_dual_mul_f32 v22, v5, v1
	s_wait_loadcnt 0x0
	s_delay_alu instid0(VALU_DEP_2) | instskip(NEXT) | instid1(VALU_DEP_2)
	v_dual_fmac_f32 v20, v12, v8 :: v_dual_fmac_f32 v21, v14, v10
	v_fma_f32 v11, v14, v11, -v15
	v_mul_f32_e32 v5, v5, v0
	v_fmac_f32_e32 v22, v4, v0
	s_delay_alu instid0(VALU_DEP_4)
	v_add_f32_e32 v10, 0, v20
	v_mul_f32_e32 v13, v13, v8
	s_barrier_signal -1
	v_fma_f32 v1, v4, v1, -v5
	s_barrier_wait -1
	v_add_f32_e32 v0, v10, v21
	v_fma_f32 v8, v12, v9, -v13
	v_mul_f32_e32 v9, v7, v3
	global_inv scope:SCOPE_SE
	v_dual_mul_f32 v7, v7, v2 :: v_dual_add_f32 v8, 0, v8
	v_fmac_f32_e32 v9, v6, v2
	v_add_f32_e32 v0, v0, v22
	s_delay_alu instid0(VALU_DEP_3) | instskip(NEXT) | instid1(VALU_DEP_4)
	v_fma_f32 v2, v6, v3, -v7
	v_add_f32_e32 v4, v8, v11
	s_delay_alu instid0(VALU_DEP_1) | instskip(NEXT) | instid1(VALU_DEP_1)
	v_add_f32_e32 v1, v4, v1
	v_dual_add_f32 v0, v0, v9 :: v_dual_add_f32 v1, v1, v2
	ds_store_b64 v94, v[0:1]
	s_wait_loadcnt_dscnt 0x0
	s_barrier_signal -1
	s_barrier_wait -1
	global_inv scope:SCOPE_SE
	s_and_saveexec_b32 s23, s15
	s_cbranch_execz .LBB10_111
; %bb.110:                              ;   in Loop: Header=BB10_4 Depth=1
	ds_load_2addr_b64 v[0:3], v91 offset1:1
	ds_load_2addr_b64 v[4:7], v91 offset0:2 offset1:3
	ds_load_2addr_b64 v[8:11], v91 offset0:4 offset1:5
	s_wait_dscnt 0x2
	v_dual_add_f32 v0, v44, v0 :: v_dual_add_f32 v1, v45, v1
	s_delay_alu instid0(VALU_DEP_1) | instskip(SKIP_3) | instid1(VALU_DEP_1)
	v_dual_add_f32 v12, v0, v2 :: v_dual_add_f32 v13, v1, v3
	ds_load_2addr_b64 v[0:3], v91 offset0:6 offset1:7
	s_wait_dscnt 0x2
	v_dual_add_f32 v4, v12, v4 :: v_dual_add_f32 v5, v13, v5
	v_dual_add_f32 v4, v4, v6 :: v_dual_add_f32 v5, v5, v7
	s_wait_dscnt 0x1
	s_delay_alu instid0(VALU_DEP_1) | instskip(NEXT) | instid1(VALU_DEP_1)
	v_dual_add_f32 v4, v4, v8 :: v_dual_add_f32 v5, v5, v9
	v_dual_add_f32 v4, v4, v10 :: v_dual_add_f32 v5, v5, v11
	s_wait_dscnt 0x0
	s_delay_alu instid0(VALU_DEP_1) | instskip(NEXT) | instid1(VALU_DEP_1)
	v_dual_add_f32 v0, v4, v0 :: v_dual_add_f32 v1, v5, v1
	v_dual_add_f32 v44, v0, v2 :: v_dual_add_f32 v45, v1, v3
.LBB10_111:                             ;   in Loop: Header=BB10_4 Depth=1
	s_wait_alu 0xfffe
	s_or_b32 exec_lo, exec_lo, s23
	s_mul_u64 s[24:25], s[34:35], s[26:27]
	s_and_not1_b32 vcc_lo, exec_lo, s73
	s_wait_alu 0xfffe
	s_lshl_b64 s[24:25], s[24:25], 3
	s_wait_loadcnt 0x0
	s_wait_alu 0xfffe
	s_add_nc_u64 s[24:25], s[40:41], s[24:25]
	s_barrier_signal -1
	s_barrier_wait -1
	global_inv scope:SCOPE_SE
	s_cbranch_vccnz .LBB10_118
; %bb.112:                              ;   in Loop: Header=BB10_4 Depth=1
	v_add_co_u32 v0, vcc_lo, v18, s68
	s_wait_alu 0xfffd
	v_add_co_ci_u32_e64 v1, null, s69, v19, vcc_lo
	s_lshl_b64 s[70:71], s[30:31], 3
	v_add_co_u32 v0, vcc_lo, v0, v36
	s_wait_alu 0xfffd
	v_add_co_ci_u32_e64 v1, null, v1, v37, vcc_lo
	v_mov_b32_e32 v32, v80
	s_delay_alu instid0(VALU_DEP_3) | instskip(SKIP_1) | instid1(VALU_DEP_3)
	v_add_co_u32 v0, vcc_lo, v0, v38
	s_wait_alu 0xfffd
	v_add_co_ci_u32_e64 v1, null, v1, v39, vcc_lo
	s_mov_b32 s23, ttmp9
	v_add_co_u32 v2, vcc_lo, v0, v40
	s_wait_alu 0xfffd
	v_add_co_ci_u32_e64 v3, null, v1, v41, vcc_lo
	s_wait_alu 0xfffe
	s_delay_alu instid0(VALU_DEP_2) | instskip(SKIP_1) | instid1(VALU_DEP_2)
	v_add_co_u32 v2, vcc_lo, v2, s70
	s_wait_alu 0xfffd
	v_add_co_ci_u32_e64 v3, null, s71, v3, vcc_lo
	v_add_co_u32 v0, vcc_lo, 0xffffff00, v0
	s_wait_alu 0xfffd
	v_add_co_ci_u32_e64 v1, null, -1, v1, vcc_lo
	v_add_co_u32 v2, vcc_lo, 0xfffffef8, v2
	s_wait_alu 0xfffd
	v_add_co_ci_u32_e64 v3, null, -1, v3, vcc_lo
	v_add_co_u32 v109, vcc_lo, v16, s66
	s_wait_alu 0xfffd
	v_add_co_ci_u32_e64 v110, null, s67, v17, vcc_lo
	s_delay_alu instid0(VALU_DEP_3)
	v_cndmask_b32_e64 v1, v1, v3, s1
	v_cndmask_b32_e64 v0, v0, v2, s1
	s_mov_b32 s70, 0
	s_branch .LBB10_114
.LBB10_113:                             ;   in Loop: Header=BB10_114 Depth=2
	s_wait_alu 0xfffe
	s_or_b32 exec_lo, exec_lo, s71
	v_mul_f32_e32 v111, v47, v1
	v_dual_mul_f32 v1, v46, v1 :: v_dual_mul_f32 v112, v51, v3
	v_mul_f32_e32 v3, v50, v3
	s_add_co_i32 s23, s23, -1
	s_delay_alu instid0(VALU_DEP_3) | instskip(NEXT) | instid1(VALU_DEP_3)
	v_fma_f32 v46, v46, v0, -v111
	v_fmac_f32_e32 v1, v47, v0
	v_fma_f32 v50, v50, v2, -v112
	s_add_co_i32 s70, s70, s74
	s_wait_alu 0xfffe
	s_cmp_eq_u32 s23, 0
	v_dual_add_f32 v44, v44, v46 :: v_dual_mul_f32 v113, v53, v5
	v_dual_mul_f32 v46, v61, v13 :: v_dual_fmac_f32 v3, v51, v2
	v_mul_f32_e32 v5, v52, v5
	s_delay_alu instid0(VALU_DEP_3) | instskip(NEXT) | instid1(VALU_DEP_4)
	v_add_f32_e32 v44, v44, v50
	v_fma_f32 v0, v52, v4, -v113
	v_mul_f32_e32 v111, v49, v7
	v_mul_f32_e32 v7, v48, v7
	;; [unrolled: 1-line block ×3, first 2 shown]
	s_wait_loadcnt 0x0
	s_wait_storecnt 0x0
	v_add_f32_e32 v0, v44, v0
	v_fma_f32 v2, v48, v6, -v111
	s_barrier_signal -1
	s_barrier_wait -1
	global_inv scope:SCOPE_SE
	v_add_nc_u32_e32 v32, 64, v32
	v_dual_add_f32 v0, v0, v2 :: v_dual_add_f32 v1, v45, v1
	v_mul_f32_e32 v2, v57, v9
	v_dual_fmac_f32 v7, v49, v6 :: v_dual_mul_f32 v6, v72, v31
	s_delay_alu instid0(VALU_DEP_3) | instskip(SKIP_1) | instid1(VALU_DEP_4)
	v_add_f32_e32 v1, v1, v3
	v_fma_f32 v3, v60, v12, -v46
	v_fma_f32 v2, v56, v8, -v2
	s_delay_alu instid0(VALU_DEP_4) | instskip(NEXT) | instid1(VALU_DEP_3)
	v_fmac_f32_e32 v6, v73, v30
	v_add_f32_e32 v0, v0, v3
	v_mul_f32_e32 v47, v59, v15
	v_mul_f32_e32 v3, v55, v11
	s_delay_alu instid0(VALU_DEP_1) | instskip(SKIP_1) | instid1(VALU_DEP_4)
	v_fma_f32 v3, v54, v10, -v3
	v_fmac_f32_e32 v5, v53, v4
	v_fma_f32 v4, v58, v14, -v47
	s_delay_alu instid0(VALU_DEP_1) | instskip(SKIP_1) | instid1(VALU_DEP_2)
	v_dual_add_f32 v0, v0, v4 :: v_dual_mul_f32 v15, v58, v15
	v_mul_f32_e32 v4, v56, v9
	v_add_f32_e32 v0, v0, v2
	s_delay_alu instid0(VALU_DEP_3) | instskip(NEXT) | instid1(VALU_DEP_3)
	v_dual_mul_f32 v2, v69, v17 :: v_dual_fmac_f32 v15, v59, v14
	v_fmac_f32_e32 v4, v57, v8
	s_delay_alu instid0(VALU_DEP_3) | instskip(NEXT) | instid1(VALU_DEP_3)
	v_add_f32_e32 v0, v0, v3
	v_fma_f32 v2, v68, v16, -v2
	v_mul_f32_e32 v3, v67, v19
	s_delay_alu instid0(VALU_DEP_2) | instskip(NEXT) | instid1(VALU_DEP_2)
	v_dual_add_f32 v1, v1, v5 :: v_dual_add_f32 v0, v0, v2
	v_fma_f32 v2, v66, v18, -v3
	v_mul_f32_e32 v3, v65, v21
	s_delay_alu instid0(VALU_DEP_2) | instskip(NEXT) | instid1(VALU_DEP_2)
	v_dual_fmac_f32 v13, v61, v12 :: v_dual_add_f32 v0, v0, v2
	v_fma_f32 v2, v64, v20, -v3
	v_add_f32_e32 v1, v1, v7
	s_delay_alu instid0(VALU_DEP_2) | instskip(NEXT) | instid1(VALU_DEP_1)
	v_dual_mul_f32 v3, v63, v23 :: v_dual_add_f32 v0, v0, v2
	v_fma_f32 v2, v62, v22, -v3
	s_delay_alu instid0(VALU_DEP_3) | instskip(NEXT) | instid1(VALU_DEP_2)
	v_add_f32_e32 v1, v1, v13
	v_dual_mul_f32 v3, v79, v25 :: v_dual_add_f32 v0, v0, v2
	s_delay_alu instid0(VALU_DEP_2) | instskip(NEXT) | instid1(VALU_DEP_2)
	v_add_f32_e32 v1, v1, v15
	v_fma_f32 v2, v78, v24, -v3
	v_mul_f32_e32 v5, v54, v11
	v_mul_f32_e32 v3, v77, v27
	s_delay_alu instid0(VALU_DEP_4) | instskip(NEXT) | instid1(VALU_DEP_4)
	v_dual_add_f32 v1, v1, v4 :: v_dual_mul_f32 v4, v68, v17
	v_add_f32_e32 v0, v0, v2
	s_delay_alu instid0(VALU_DEP_4) | instskip(NEXT) | instid1(VALU_DEP_4)
	v_fmac_f32_e32 v5, v55, v10
	v_fma_f32 v2, v76, v26, -v3
	s_delay_alu instid0(VALU_DEP_4) | instskip(NEXT) | instid1(VALU_DEP_2)
	v_dual_mul_f32 v3, v76, v27 :: v_dual_fmac_f32 v4, v69, v16
	v_add_f32_e32 v0, v0, v2
	v_mul_f32_e32 v2, v74, v29
	v_add_f32_e32 v1, v1, v5
	v_mul_f32_e32 v5, v66, v19
	s_delay_alu instid0(VALU_DEP_3) | instskip(NEXT) | instid1(VALU_DEP_3)
	v_dual_fmac_f32 v3, v77, v26 :: v_dual_fmac_f32 v2, v75, v28
	v_add_f32_e32 v1, v1, v4
	s_delay_alu instid0(VALU_DEP_3) | instskip(NEXT) | instid1(VALU_DEP_1)
	v_dual_fmac_f32 v5, v67, v18 :: v_dual_mul_f32 v4, v64, v21
	v_add_f32_e32 v1, v1, v5
	s_delay_alu instid0(VALU_DEP_2) | instskip(NEXT) | instid1(VALU_DEP_1)
	v_dual_fmac_f32 v4, v65, v20 :: v_dual_mul_f32 v5, v62, v23
	v_add_f32_e32 v1, v1, v4
	s_delay_alu instid0(VALU_DEP_2) | instskip(NEXT) | instid1(VALU_DEP_1)
	v_dual_fmac_f32 v5, v63, v22 :: v_dual_mul_f32 v4, v78, v25
	v_dual_add_f32 v1, v1, v5 :: v_dual_fmac_f32 v4, v79, v24
	v_mul_f32_e32 v5, v75, v29
	s_delay_alu instid0(VALU_DEP_2) | instskip(NEXT) | instid1(VALU_DEP_2)
	v_add_f32_e32 v1, v1, v4
	v_fma_f32 v4, v74, v28, -v5
	v_mul_f32_e32 v5, v73, v31
	s_delay_alu instid0(VALU_DEP_2) | instskip(NEXT) | instid1(VALU_DEP_2)
	v_dual_add_f32 v1, v1, v3 :: v_dual_add_f32 v0, v0, v4
	v_fma_f32 v3, v72, v30, -v5
	s_delay_alu instid0(VALU_DEP_1) | instskip(SKIP_1) | instid1(VALU_DEP_2)
	v_dual_add_f32 v1, v1, v2 :: v_dual_add_f32 v44, v0, v3
	v_add_co_u32 v0, vcc_lo, v70, s60
	v_add_f32_e32 v45, v1, v6
	s_wait_alu 0xfffd
	v_add_co_ci_u32_e64 v1, null, s61, v71, vcc_lo
	s_cbranch_scc1 .LBB10_118
.LBB10_114:                             ;   Parent Loop BB10_4 Depth=1
                                        ; =>  This Inner Loop Header: Depth=2
	s_and_saveexec_b32 s76, s0
	s_cbranch_execz .LBB10_116
; %bb.115:                              ;   in Loop: Header=BB10_114 Depth=2
	s_wait_alu 0xfffe
	s_ashr_i32 s71, s70, 31
	v_add_nc_u32_e32 v4, 0x2180, v83
	s_wait_alu 0xfffe
	s_lshl_b64 s[78:79], s[70:71], 3
	s_wait_alu 0xfffe
	v_add_co_u32 v2, vcc_lo, v109, s78
	s_wait_alu 0xfffd
	v_add_co_ci_u32_e64 v3, null, s79, v110, vcc_lo
	global_load_b64 v[2:3], v[2:3], off
	s_wait_loadcnt 0x0
	ds_store_b64 v4, v[2:3]
.LBB10_116:                             ;   in Loop: Header=BB10_114 Depth=2
	s_or_b32 exec_lo, exec_lo, s76
	v_add_co_u32 v2, vcc_lo, v0, s58
	s_wait_alu 0xfffd
	v_add_co_ci_u32_e64 v3, null, s59, v1, vcc_lo
	s_wait_loadcnt_dscnt 0x0
	s_barrier_signal -1
	s_barrier_wait -1
	global_inv scope:SCOPE_SE
	s_clause 0x1
	global_load_b64 v[46:47], v[0:1], off
	global_load_b64 v[50:51], v[2:3], off
	v_add_co_u32 v0, vcc_lo, v2, s58
	s_wait_alu 0xfffd
	v_add_co_ci_u32_e64 v1, null, s59, v3, vcc_lo
	s_delay_alu instid0(VALU_DEP_2) | instskip(SKIP_1) | instid1(VALU_DEP_2)
	v_add_co_u32 v8, vcc_lo, v0, s58
	s_wait_alu 0xfffd
	v_add_co_ci_u32_e64 v9, null, s59, v1, vcc_lo
	s_clause 0x1
	global_load_b64 v[52:53], v[0:1], off
	global_load_b64 v[48:49], v[8:9], off
	ds_load_b64 v[10:11], v84
	ds_load_b128 v[0:3], v96
	ds_load_b128 v[4:7], v96 offset:16
	v_add_co_u32 v8, vcc_lo, v8, s60
	s_wait_alu 0xfffd
	v_add_co_ci_u32_e64 v9, null, s61, v9, vcc_lo
	s_delay_alu instid0(VALU_DEP_2) | instskip(SKIP_1) | instid1(VALU_DEP_2)
	v_add_co_u32 v16, vcc_lo, v8, s58
	s_wait_alu 0xfffd
	v_add_co_ci_u32_e64 v17, null, s59, v9, vcc_lo
	s_wait_loadcnt_dscnt 0x302
	v_mul_f32_e32 v12, v47, v11
	v_mul_f32_e32 v13, v47, v10
	s_wait_loadcnt 0x2
	v_mul_f32_e32 v14, v51, v11
	s_wait_loadcnt 0x1
	v_dual_mul_f32 v15, v51, v10 :: v_dual_mul_f32 v18, v53, v11
	s_wait_loadcnt 0x0
	v_mul_f32_e32 v20, v49, v11
	v_mul_f32_e32 v19, v53, v10
	;; [unrolled: 1-line block ×3, first 2 shown]
	v_fmac_f32_e32 v12, v46, v10
	v_fma_f32 v13, v46, v11, -v13
	v_fmac_f32_e32 v14, v50, v10
	v_fma_f32 v15, v50, v11, -v15
	v_fmac_f32_e32 v18, v52, v10
	v_fmac_f32_e32 v20, v48, v10
	v_add_co_u32 v10, vcc_lo, v16, s58
	v_fma_f32 v19, v52, v11, -v19
	v_fma_f32 v21, v48, v11, -v21
	s_wait_alu 0xfffd
	v_add_co_ci_u32_e64 v11, null, s59, v17, vcc_lo
	ds_store_2addr_b64 v97, v[12:13], v[14:15] offset1:67
	ds_store_2addr_b64 v97, v[18:19], v[20:21] offset0:134 offset1:201
	s_wait_dscnt 0x0
	s_barrier_signal -1
	s_barrier_wait -1
	global_inv scope:SCOPE_SE
	ds_load_2addr_b64 v[24:27], v98 offset1:1
	ds_load_2addr_b64 v[28:31], v98 offset0:2 offset1:3
	s_wait_loadcnt_dscnt 0x0
	s_barrier_signal -1
	s_barrier_wait -1
	global_inv scope:SCOPE_SE
	global_load_b64 v[60:61], v[8:9], off
	v_add_co_u32 v8, vcc_lo, v10, s58
	s_wait_alu 0xfffd
	v_add_co_ci_u32_e64 v9, null, s59, v11, vcc_lo
	s_clause 0x2
	global_load_b64 v[58:59], v[16:17], off
	global_load_b64 v[56:57], v[10:11], off
	;; [unrolled: 1-line block ×3, first 2 shown]
	ds_load_b64 v[10:11], v84
	ds_load_b128 v[12:15], v96 offset:128
	v_add_co_u32 v16, vcc_lo, v8, s60
	s_wait_alu 0xfffd
	v_add_co_ci_u32_e64 v17, null, s61, v9, vcc_lo
	v_add_f32_e32 v25, 0, v25
	s_delay_alu instid0(VALU_DEP_3) | instskip(SKIP_1) | instid1(VALU_DEP_3)
	v_add_co_u32 v18, vcc_lo, v16, s58
	s_wait_alu 0xfffd
	v_add_co_ci_u32_e64 v19, null, s59, v17, vcc_lo
	s_delay_alu instid0(VALU_DEP_3) | instskip(NEXT) | instid1(VALU_DEP_3)
	v_add_f32_e32 v25, v25, v27
	v_add_co_u32 v70, vcc_lo, v18, s58
	s_wait_alu 0xfffd
	s_delay_alu instid0(VALU_DEP_3) | instskip(NEXT) | instid1(VALU_DEP_3)
	v_add_co_ci_u32_e64 v71, null, s59, v19, vcc_lo
	v_add_f32_e32 v25, v25, v29
	s_wait_loadcnt_dscnt 0x301
	v_mul_f32_e32 v20, v61, v11
	v_mul_f32_e32 v8, v61, v10
	s_wait_loadcnt 0x1
	v_dual_mul_f32 v22, v59, v11 :: v_dual_mul_f32 v63, v57, v10
	v_dual_mul_f32 v9, v59, v10 :: v_dual_mul_f32 v62, v57, v11
	s_wait_loadcnt 0x0
	v_mul_f32_e32 v65, v55, v10
	v_mul_f32_e32 v64, v55, v11
	v_fmac_f32_e32 v20, v60, v10
	v_fma_f32 v21, v60, v11, -v8
	v_fmac_f32_e32 v22, v58, v10
	v_fma_f32 v23, v58, v11, -v9
	;; [unrolled: 2-line block ×4, first 2 shown]
	ds_load_b128 v[8:11], v96 offset:144
	ds_store_2addr_b64 v97, v[20:21], v[22:23] offset1:67
	ds_store_2addr_b64 v97, v[62:63], v[64:65] offset0:134 offset1:201
	s_wait_dscnt 0x0
	s_barrier_signal -1
	s_barrier_wait -1
	global_inv scope:SCOPE_SE
	ds_load_2addr_b64 v[111:114], v98 offset1:1
	ds_load_2addr_b64 v[115:118], v98 offset0:2 offset1:3
	s_wait_loadcnt_dscnt 0x0
	s_barrier_signal -1
	s_barrier_wait -1
	global_inv scope:SCOPE_SE
	global_load_b64 v[68:69], v[16:17], off
	v_add_co_u32 v16, vcc_lo, v70, s58
	s_wait_alu 0xfffd
	v_add_co_ci_u32_e64 v17, null, s59, v71, vcc_lo
	s_clause 0x1
	global_load_b64 v[66:67], v[18:19], off
	global_load_b64 v[64:65], v[70:71], off
	;; [unrolled: 1-line block ×3, first 2 shown]
	ds_load_b64 v[20:21], v84
	v_add_f32_e32 v24, 0, v24
	v_add_co_u32 v70, vcc_lo, v16, s60
	s_wait_alu 0xfffd
	v_add_co_ci_u32_e64 v71, null, s61, v17, vcc_lo
	s_delay_alu instid0(VALU_DEP_3) | instskip(NEXT) | instid1(VALU_DEP_3)
	v_add_f32_e32 v24, v24, v26
	v_add_co_u32 v72, vcc_lo, v70, s58
	ds_load_b128 v[16:19], v96 offset:256
	s_wait_alu 0xfffd
	v_add_co_ci_u32_e64 v73, null, s59, v71, vcc_lo
	v_add_f32_e32 v24, v24, v28
	v_add_co_u32 v127, vcc_lo, v72, s58
	s_wait_alu 0xfffd
	s_delay_alu instid0(VALU_DEP_3) | instskip(NEXT) | instid1(VALU_DEP_3)
	v_add_co_ci_u32_e64 v128, null, s59, v73, vcc_lo
	v_dual_add_f32 v129, v24, v30 :: v_dual_add_f32 v24, 0, v111
	s_delay_alu instid0(VALU_DEP_1)
	v_add_f32_e32 v131, v24, v113
	s_wait_loadcnt_dscnt 0x301
	v_mul_f32_e32 v74, v69, v21
	v_mul_f32_e32 v22, v69, v20
	s_wait_loadcnt 0x2
	v_mul_f32_e32 v76, v67, v21
	s_wait_loadcnt 0x1
	v_dual_mul_f32 v23, v67, v20 :: v_dual_mul_f32 v78, v65, v21
	v_mul_f32_e32 v79, v65, v20
	s_wait_loadcnt 0x0
	v_mul_f32_e32 v119, v63, v21
	v_mul_f32_e32 v120, v63, v20
	v_fmac_f32_e32 v74, v68, v20
	v_fma_f32 v75, v68, v21, -v22
	v_fmac_f32_e32 v76, v66, v20
	v_fma_f32 v77, v66, v21, -v23
	;; [unrolled: 2-line block ×4, first 2 shown]
	ds_load_b128 v[20:23], v96 offset:272
	ds_store_2addr_b64 v97, v[74:75], v[76:77] offset1:67
	ds_store_2addr_b64 v97, v[78:79], v[119:120] offset0:134 offset1:201
	s_wait_dscnt 0x0
	s_barrier_signal -1
	s_barrier_wait -1
	global_inv scope:SCOPE_SE
	ds_load_2addr_b64 v[119:122], v98 offset1:1
	ds_load_2addr_b64 v[123:126], v98 offset0:2 offset1:3
	s_wait_loadcnt_dscnt 0x0
	s_barrier_signal -1
	s_barrier_wait -1
	global_inv scope:SCOPE_SE
	global_load_b64 v[78:79], v[70:71], off
	global_load_b64 v[76:77], v[72:73], off
	v_add_co_u32 v70, vcc_lo, v127, s58
	s_wait_alu 0xfffd
	v_add_co_ci_u32_e64 v71, null, s59, v128, vcc_lo
	global_load_b64 v[74:75], v[127:128], off
	global_load_b64 v[72:73], v[70:71], off
	ds_load_b64 v[127:128], v84
	v_add_f32_e32 v130, v25, v31
	v_dual_add_f32 v28, 0, v119 :: v_dual_add_f32 v29, 0, v120
	s_delay_alu instid0(VALU_DEP_1) | instskip(NEXT) | instid1(VALU_DEP_2)
	v_dual_add_f32 v133, v28, v121 :: v_dual_add_f32 v26, 0, v112
	v_add_f32_e32 v134, v29, v122
	s_delay_alu instid0(VALU_DEP_2)
	v_add_f32_e32 v132, v26, v114
	ds_load_b128 v[24:27], v96 offset:384
	s_wait_loadcnt_dscnt 0x301
	v_mul_f32_e32 v28, v79, v128
	v_mul_f32_e32 v29, v79, v127
	s_wait_loadcnt 0x2
	v_mul_f32_e32 v31, v77, v127
	v_mul_f32_e32 v30, v77, v128
	v_fmac_f32_e32 v28, v78, v127
	v_fma_f32 v29, v78, v128, -v29
	s_wait_loadcnt 0x1
	v_mul_f32_e32 v112, v75, v127
	v_mul_f32_e32 v111, v75, v128
	s_wait_loadcnt 0x0
	v_mul_f32_e32 v113, v73, v128
	v_mul_f32_e32 v114, v73, v127
	v_fma_f32 v31, v76, v128, -v31
	v_fma_f32 v112, v74, v128, -v112
	v_fmac_f32_e32 v30, v76, v127
	v_fmac_f32_e32 v111, v74, v127
	;; [unrolled: 1-line block ×3, first 2 shown]
	v_fma_f32 v114, v72, v128, -v114
	ds_store_2addr_b64 v97, v[28:29], v[30:31] offset1:67
	ds_load_b128 v[28:31], v96 offset:400
	ds_store_2addr_b64 v97, v[111:112], v[113:114] offset0:134 offset1:201
	s_wait_dscnt 0x0
	s_barrier_signal -1
	s_barrier_wait -1
	global_inv scope:SCOPE_SE
	ds_load_2addr_b64 v[111:114], v98 offset1:1
	ds_load_2addr_b64 v[119:122], v98 offset0:2 offset1:3
	s_wait_loadcnt_dscnt 0x0
	s_barrier_signal -1
	s_barrier_wait -1
	global_inv scope:SCOPE_SE
	v_add_f32_e32 v111, 0, v111
	s_delay_alu instid0(VALU_DEP_1) | instskip(SKIP_1) | instid1(VALU_DEP_1)
	v_add_f32_e32 v113, v111, v113
	v_add_f32_e32 v111, 0, v112
	;; [unrolled: 1-line block ×5, first 2 shown]
	s_delay_alu instid0(VALU_DEP_2) | instskip(SKIP_1) | instid1(VALU_DEP_3)
	v_add_f32_e32 v111, v111, v117
	v_dual_add_f32 v117, v113, v119 :: v_dual_add_f32 v112, v132, v116
	v_dual_add_f32 v116, v134, v124 :: v_dual_add_f32 v113, v115, v125
	s_delay_alu instid0(VALU_DEP_2) | instskip(SKIP_1) | instid1(VALU_DEP_3)
	v_dual_add_f32 v115, v117, v121 :: v_dual_add_f32 v112, v112, v118
	v_add_f32_e32 v118, v114, v120
	v_add_f32_e32 v114, v116, v126
	s_delay_alu instid0(VALU_DEP_2)
	v_add_f32_e32 v116, v118, v122
	ds_store_2addr_b64 v107, v[129:130], v[111:112] offset1:16
	ds_store_2addr_b64 v107, v[113:114], v[115:116] offset0:32 offset1:48
	s_wait_loadcnt_dscnt 0x0
	s_barrier_signal -1
	s_barrier_wait -1
	global_inv scope:SCOPE_SE
	s_and_saveexec_b32 s71, s22
	s_cbranch_execz .LBB10_113
; %bb.117:                              ;   in Loop: Header=BB10_114 Depth=2
	ds_load_b64 v[123:124], v99
	ds_load_2addr_b64 v[111:114], v99 offset0:1 offset1:2
	ds_load_2addr_b64 v[115:118], v99 offset0:3 offset1:4
	;; [unrolled: 1-line block ×3, first 2 shown]
	s_wait_dscnt 0x2
	v_dual_add_f32 v111, v111, v123 :: v_dual_add_f32 v112, v112, v124
	s_delay_alu instid0(VALU_DEP_1) | instskip(SKIP_3) | instid1(VALU_DEP_1)
	v_dual_add_f32 v123, v113, v111 :: v_dual_add_f32 v124, v114, v112
	ds_load_2addr_b64 v[111:114], v99 offset0:7 offset1:8
	s_wait_dscnt 0x2
	v_dual_add_f32 v115, v123, v115 :: v_dual_add_f32 v116, v124, v116
	v_dual_add_f32 v123, v115, v117 :: v_dual_add_f32 v124, v116, v118
	ds_load_2addr_b64 v[115:118], v99 offset0:9 offset1:10
	s_wait_dscnt 0x2
	v_dual_add_f32 v119, v123, v119 :: v_dual_add_f32 v120, v124, v120
	s_delay_alu instid0(VALU_DEP_1) | instskip(SKIP_3) | instid1(VALU_DEP_1)
	v_dual_add_f32 v123, v119, v121 :: v_dual_add_f32 v124, v120, v122
	ds_load_2addr_b64 v[119:122], v99 offset0:11 offset1:12
	s_wait_dscnt 0x2
	v_dual_add_f32 v111, v123, v111 :: v_dual_add_f32 v112, v124, v112
	v_dual_add_f32 v123, v111, v113 :: v_dual_add_f32 v124, v112, v114
	ds_load_2addr_b64 v[111:114], v99 offset0:13 offset1:14
	s_wait_dscnt 0x2
	v_dual_add_f32 v115, v123, v115 :: v_dual_add_f32 v116, v124, v116
	s_delay_alu instid0(VALU_DEP_1) | instskip(SKIP_3) | instid1(VALU_DEP_1)
	v_dual_add_f32 v117, v115, v117 :: v_dual_add_f32 v118, v116, v118
	ds_load_b64 v[115:116], v100
	s_wait_dscnt 0x2
	v_dual_add_f32 v117, v117, v119 :: v_dual_add_f32 v118, v118, v120
	v_dual_add_f32 v117, v117, v121 :: v_dual_add_f32 v118, v118, v122
	s_wait_dscnt 0x1
	s_delay_alu instid0(VALU_DEP_1) | instskip(NEXT) | instid1(VALU_DEP_1)
	v_dual_add_f32 v111, v117, v111 :: v_dual_add_f32 v112, v118, v112
	v_dual_add_f32 v113, v111, v113 :: v_dual_add_f32 v114, v112, v114
	v_lshlrev_b64_e32 v[111:112], 3, v[32:33]
	s_wait_dscnt 0x0
	s_delay_alu instid0(VALU_DEP_2) | instskip(SKIP_1) | instid1(VALU_DEP_2)
	v_dual_add_f32 v113, v113, v115 :: v_dual_add_f32 v114, v114, v116
	s_wait_alu 0xfffe
	v_add_co_u32 v111, vcc_lo, s24, v111
	s_wait_alu 0xfffd
	v_add_co_ci_u32_e64 v112, null, s25, v112, vcc_lo
	global_store_b64 v[111:112], v[113:114], off
	s_branch .LBB10_113
.LBB10_118:                             ;   in Loop: Header=BB10_4 Depth=1
	ds_store_b64 v101, v[44:45]
	s_wait_loadcnt_dscnt 0x0
	s_barrier_signal -1
	s_barrier_wait -1
	global_inv scope:SCOPE_SE
	s_and_saveexec_b32 s23, s75
	s_cbranch_execz .LBB10_2
; %bb.119:                              ;   in Loop: Header=BB10_4 Depth=1
	ds_load_2addr_b64 v[0:3], v83 offset1:67
	ds_load_2addr_b64 v[4:7], v83 offset0:134 offset1:201
	s_wait_dscnt 0x1
	v_dual_add_f32 v0, v2, v0 :: v_dual_add_f32 v1, v3, v1
	s_wait_alu 0xfffe
	v_add_co_u32 v2, vcc_lo, s24, v42
	s_wait_alu 0xfffd
	v_add_co_ci_u32_e64 v3, null, s25, v43, vcc_lo
	s_wait_dscnt 0x0
	v_dual_add_f32 v0, v4, v0 :: v_dual_add_f32 v1, v5, v1
	s_delay_alu instid0(VALU_DEP_1)
	v_dual_add_f32 v0, v0, v6 :: v_dual_add_f32 v1, v1, v7
	global_store_b64 v[2:3], v[0:1], off
	s_branch .LBB10_2
.LBB10_120:                             ;   in Loop: Header=BB10_4 Depth=1
	global_load_b64 v[4:5], v[2:3], off
	s_wait_loadcnt 0x0
	ds_store_b64 v103, v[4:5]
	s_or_b32 exec_lo, exec_lo, s23
	s_and_saveexec_b32 s23, s4
	s_wait_alu 0xfffe
	s_xor_b32 s23, exec_lo, s23
	s_cbranch_execz .LBB10_20
.LBB10_121:                             ;   in Loop: Header=BB10_4 Depth=1
	v_mov_b32_e32 v32, v33
	ds_store_b64 v103, v[32:33] offset:2112
	s_wait_alu 0xfffe
	s_and_not1_saveexec_b32 s23, s23
	s_cbranch_execz .LBB10_21
.LBB10_122:                             ;   in Loop: Header=BB10_4 Depth=1
	s_lshl_b64 s[24:25], s[42:43], 3
	s_wait_alu 0xfffe
	v_add_co_u32 v4, vcc_lo, v2, s24
	s_wait_alu 0xfffd
	v_add_co_ci_u32_e64 v5, null, s25, v3, vcc_lo
	global_load_b64 v[4:5], v[4:5], off
	s_wait_loadcnt 0x0
	ds_store_b64 v103, v[4:5] offset:2112
	s_or_b32 exec_lo, exec_lo, s23
	s_and_saveexec_b32 s23, s5
	s_wait_alu 0xfffe
	s_xor_b32 s23, exec_lo, s23
	s_cbranch_execz .LBB10_22
.LBB10_123:                             ;   in Loop: Header=BB10_4 Depth=1
	v_mov_b32_e32 v32, v33
	ds_store_b64 v103, v[32:33] offset:4224
	s_wait_alu 0xfffe
	s_and_not1_saveexec_b32 s23, s23
	s_cbranch_execz .LBB10_23
.LBB10_124:                             ;   in Loop: Header=BB10_4 Depth=1
	s_lshl_b64 s[24:25], s[50:51], 3
	s_wait_alu 0xfffe
	v_add_co_u32 v4, vcc_lo, v2, s24
	s_wait_alu 0xfffd
	v_add_co_ci_u32_e64 v5, null, s25, v3, vcc_lo
	global_load_b64 v[4:5], v[4:5], off
	s_wait_loadcnt 0x0
	ds_store_b64 v103, v[4:5] offset:4224
	s_or_b32 exec_lo, exec_lo, s23
	s_and_saveexec_b32 s23, s6
	s_wait_alu 0xfffe
	s_xor_b32 s23, exec_lo, s23
	s_cbranch_execz .LBB10_24
.LBB10_125:                             ;   in Loop: Header=BB10_4 Depth=1
	v_mov_b32_e32 v32, v33
	ds_store_b64 v103, v[32:33] offset:6336
	s_wait_alu 0xfffe
	s_and_not1_saveexec_b32 s23, s23
	s_cbranch_execnz .LBB10_25
	s_branch .LBB10_26
.LBB10_126:                             ;   in Loop: Header=BB10_4 Depth=1
	global_load_b64 v[4:5], v[0:1], off
	s_wait_loadcnt 0x0
	ds_store_b64 v103, v[4:5]
	s_or_b32 exec_lo, exec_lo, s23
	s_and_saveexec_b32 s23, s18
	s_wait_alu 0xfffe
	s_xor_b32 s23, exec_lo, s23
	s_cbranch_execz .LBB10_60
.LBB10_127:                             ;   in Loop: Header=BB10_4 Depth=1
	v_mov_b32_e32 v32, v33
	ds_store_b64 v103, v[32:33] offset:2112
	s_wait_alu 0xfffe
	s_and_not1_saveexec_b32 s23, s23
	s_cbranch_execz .LBB10_61
.LBB10_128:                             ;   in Loop: Header=BB10_4 Depth=1
	s_lshl_b64 s[24:25], s[42:43], 3
	s_wait_alu 0xfffe
	v_add_co_u32 v4, vcc_lo, v0, s24
	s_wait_alu 0xfffd
	v_add_co_ci_u32_e64 v5, null, s25, v1, vcc_lo
	global_load_b64 v[4:5], v[4:5], off
	s_wait_loadcnt 0x0
	ds_store_b64 v103, v[4:5] offset:2112
	s_or_b32 exec_lo, exec_lo, s23
	s_and_saveexec_b32 s23, s19
	s_wait_alu 0xfffe
	s_xor_b32 s23, exec_lo, s23
	s_cbranch_execz .LBB10_62
.LBB10_129:                             ;   in Loop: Header=BB10_4 Depth=1
	v_mov_b32_e32 v32, v33
	ds_store_b64 v103, v[32:33] offset:4224
	s_wait_alu 0xfffe
	s_and_not1_saveexec_b32 s23, s23
	s_cbranch_execz .LBB10_63
.LBB10_130:                             ;   in Loop: Header=BB10_4 Depth=1
	s_lshl_b64 s[24:25], s[50:51], 3
	s_wait_alu 0xfffe
	v_add_co_u32 v4, vcc_lo, v0, s24
	s_wait_alu 0xfffd
	v_add_co_ci_u32_e64 v5, null, s25, v1, vcc_lo
	global_load_b64 v[4:5], v[4:5], off
	s_wait_loadcnt 0x0
	ds_store_b64 v103, v[4:5] offset:4224
	s_or_b32 exec_lo, exec_lo, s23
	s_and_saveexec_b32 s23, s20
	s_wait_alu 0xfffe
	s_xor_b32 s23, exec_lo, s23
	s_cbranch_execz .LBB10_64
.LBB10_131:                             ;   in Loop: Header=BB10_4 Depth=1
	v_mov_b32_e32 v32, v33
	ds_store_b64 v103, v[32:33] offset:6336
	s_wait_alu 0xfffe
	s_and_not1_saveexec_b32 s23, s23
	s_cbranch_execnz .LBB10_65
	s_branch .LBB10_66
.LBB10_132:                             ;   in Loop: Header=BB10_4 Depth=1
	global_load_b64 v[2:3], v[0:1], off
	s_wait_loadcnt 0x0
	ds_store_b64 v103, v[2:3]
	s_or_b32 exec_lo, exec_lo, s23
	s_and_saveexec_b32 s23, s4
	s_wait_alu 0xfffe
	s_xor_b32 s23, exec_lo, s23
	s_cbranch_execz .LBB10_100
.LBB10_133:                             ;   in Loop: Header=BB10_4 Depth=1
	v_mov_b32_e32 v32, v33
	ds_store_b64 v103, v[32:33] offset:2112
	s_wait_alu 0xfffe
	s_and_not1_saveexec_b32 s23, s23
	s_cbranch_execz .LBB10_101
.LBB10_134:                             ;   in Loop: Header=BB10_4 Depth=1
	s_lshl_b64 s[24:25], s[42:43], 3
	s_wait_alu 0xfffe
	v_add_co_u32 v2, vcc_lo, v0, s24
	s_wait_alu 0xfffd
	v_add_co_ci_u32_e64 v3, null, s25, v1, vcc_lo
	global_load_b64 v[2:3], v[2:3], off
	s_wait_loadcnt 0x0
	ds_store_b64 v103, v[2:3] offset:2112
	s_or_b32 exec_lo, exec_lo, s23
	s_and_saveexec_b32 s23, s5
	s_wait_alu 0xfffe
	s_xor_b32 s23, exec_lo, s23
	s_cbranch_execz .LBB10_102
.LBB10_135:                             ;   in Loop: Header=BB10_4 Depth=1
	v_mov_b32_e32 v32, v33
	ds_store_b64 v103, v[32:33] offset:4224
	s_wait_alu 0xfffe
	s_and_not1_saveexec_b32 s23, s23
	s_cbranch_execz .LBB10_103
.LBB10_136:                             ;   in Loop: Header=BB10_4 Depth=1
	s_lshl_b64 s[24:25], s[50:51], 3
	s_wait_alu 0xfffe
	v_add_co_u32 v2, vcc_lo, v0, s24
	s_wait_alu 0xfffd
	v_add_co_ci_u32_e64 v3, null, s25, v1, vcc_lo
	global_load_b64 v[2:3], v[2:3], off
	s_wait_loadcnt 0x0
	ds_store_b64 v103, v[2:3] offset:4224
	s_or_b32 exec_lo, exec_lo, s23
	s_and_saveexec_b32 s23, s6
	s_wait_alu 0xfffe
	s_xor_b32 s23, exec_lo, s23
	s_cbranch_execz .LBB10_104
.LBB10_137:                             ;   in Loop: Header=BB10_4 Depth=1
	v_mov_b32_e32 v32, v33
	ds_store_b64 v103, v[32:33] offset:6336
	s_wait_alu 0xfffe
	s_and_not1_saveexec_b32 s23, s23
	s_cbranch_execnz .LBB10_105
	s_branch .LBB10_106
.LBB10_138:
	s_nop 0
	s_sendmsg sendmsg(MSG_DEALLOC_VGPRS)
	s_endpgm
	.section	.rodata,"a",@progbits
	.p2align	6, 0x0
	.amdhsa_kernel _ZL26rocblas_hemvn_kernel_lowerILb1ELi64ELi4ELi33ELi32ELi16EiPK19rocblas_complex_numIfES3_PS1_EviT6_lT7_lT5_lS6_lS7_lS5_lT8_i
		.amdhsa_group_segment_fixed_size 9600
		.amdhsa_private_segment_fixed_size 0
		.amdhsa_kernarg_size 376
		.amdhsa_user_sgpr_count 2
		.amdhsa_user_sgpr_dispatch_ptr 0
		.amdhsa_user_sgpr_queue_ptr 0
		.amdhsa_user_sgpr_kernarg_segment_ptr 1
		.amdhsa_user_sgpr_dispatch_id 0
		.amdhsa_user_sgpr_private_segment_size 0
		.amdhsa_wavefront_size32 1
		.amdhsa_uses_dynamic_stack 0
		.amdhsa_enable_private_segment 0
		.amdhsa_system_sgpr_workgroup_id_x 1
		.amdhsa_system_sgpr_workgroup_id_y 0
		.amdhsa_system_sgpr_workgroup_id_z 1
		.amdhsa_system_sgpr_workgroup_info 0
		.amdhsa_system_vgpr_workitem_id 1
		.amdhsa_next_free_vgpr 135
		.amdhsa_next_free_sgpr 80
		.amdhsa_reserve_vcc 1
		.amdhsa_float_round_mode_32 0
		.amdhsa_float_round_mode_16_64 0
		.amdhsa_float_denorm_mode_32 3
		.amdhsa_float_denorm_mode_16_64 3
		.amdhsa_fp16_overflow 0
		.amdhsa_workgroup_processor_mode 1
		.amdhsa_memory_ordered 1
		.amdhsa_forward_progress 1
		.amdhsa_inst_pref_size 76
		.amdhsa_round_robin_scheduling 0
		.amdhsa_exception_fp_ieee_invalid_op 0
		.amdhsa_exception_fp_denorm_src 0
		.amdhsa_exception_fp_ieee_div_zero 0
		.amdhsa_exception_fp_ieee_overflow 0
		.amdhsa_exception_fp_ieee_underflow 0
		.amdhsa_exception_fp_ieee_inexact 0
		.amdhsa_exception_int_div_zero 0
	.end_amdhsa_kernel
	.section	.text._ZL26rocblas_hemvn_kernel_lowerILb1ELi64ELi4ELi33ELi32ELi16EiPK19rocblas_complex_numIfES3_PS1_EviT6_lT7_lT5_lS6_lS7_lS5_lT8_i,"axG",@progbits,_ZL26rocblas_hemvn_kernel_lowerILb1ELi64ELi4ELi33ELi32ELi16EiPK19rocblas_complex_numIfES3_PS1_EviT6_lT7_lT5_lS6_lS7_lS5_lT8_i,comdat
.Lfunc_end10:
	.size	_ZL26rocblas_hemvn_kernel_lowerILb1ELi64ELi4ELi33ELi32ELi16EiPK19rocblas_complex_numIfES3_PS1_EviT6_lT7_lT5_lS6_lS7_lS5_lT8_i, .Lfunc_end10-_ZL26rocblas_hemvn_kernel_lowerILb1ELi64ELi4ELi33ELi32ELi16EiPK19rocblas_complex_numIfES3_PS1_EviT6_lT7_lT5_lS6_lS7_lS5_lT8_i
                                        ; -- End function
	.set _ZL26rocblas_hemvn_kernel_lowerILb1ELi64ELi4ELi33ELi32ELi16EiPK19rocblas_complex_numIfES3_PS1_EviT6_lT7_lT5_lS6_lS7_lS5_lT8_i.num_vgpr, 135
	.set _ZL26rocblas_hemvn_kernel_lowerILb1ELi64ELi4ELi33ELi32ELi16EiPK19rocblas_complex_numIfES3_PS1_EviT6_lT7_lT5_lS6_lS7_lS5_lT8_i.num_agpr, 0
	.set _ZL26rocblas_hemvn_kernel_lowerILb1ELi64ELi4ELi33ELi32ELi16EiPK19rocblas_complex_numIfES3_PS1_EviT6_lT7_lT5_lS6_lS7_lS5_lT8_i.numbered_sgpr, 80
	.set _ZL26rocblas_hemvn_kernel_lowerILb1ELi64ELi4ELi33ELi32ELi16EiPK19rocblas_complex_numIfES3_PS1_EviT6_lT7_lT5_lS6_lS7_lS5_lT8_i.num_named_barrier, 0
	.set _ZL26rocblas_hemvn_kernel_lowerILb1ELi64ELi4ELi33ELi32ELi16EiPK19rocblas_complex_numIfES3_PS1_EviT6_lT7_lT5_lS6_lS7_lS5_lT8_i.private_seg_size, 0
	.set _ZL26rocblas_hemvn_kernel_lowerILb1ELi64ELi4ELi33ELi32ELi16EiPK19rocblas_complex_numIfES3_PS1_EviT6_lT7_lT5_lS6_lS7_lS5_lT8_i.uses_vcc, 1
	.set _ZL26rocblas_hemvn_kernel_lowerILb1ELi64ELi4ELi33ELi32ELi16EiPK19rocblas_complex_numIfES3_PS1_EviT6_lT7_lT5_lS6_lS7_lS5_lT8_i.uses_flat_scratch, 0
	.set _ZL26rocblas_hemvn_kernel_lowerILb1ELi64ELi4ELi33ELi32ELi16EiPK19rocblas_complex_numIfES3_PS1_EviT6_lT7_lT5_lS6_lS7_lS5_lT8_i.has_dyn_sized_stack, 0
	.set _ZL26rocblas_hemvn_kernel_lowerILb1ELi64ELi4ELi33ELi32ELi16EiPK19rocblas_complex_numIfES3_PS1_EviT6_lT7_lT5_lS6_lS7_lS5_lT8_i.has_recursion, 0
	.set _ZL26rocblas_hemvn_kernel_lowerILb1ELi64ELi4ELi33ELi32ELi16EiPK19rocblas_complex_numIfES3_PS1_EviT6_lT7_lT5_lS6_lS7_lS5_lT8_i.has_indirect_call, 0
	.section	.AMDGPU.csdata,"",@progbits
; Kernel info:
; codeLenInByte = 9632
; TotalNumSgprs: 82
; NumVgprs: 135
; ScratchSize: 0
; MemoryBound: 1
; FloatMode: 240
; IeeeMode: 1
; LDSByteSize: 9600 bytes/workgroup (compile time only)
; SGPRBlocks: 0
; VGPRBlocks: 16
; NumSGPRsForWavesPerEU: 82
; NumVGPRsForWavesPerEU: 135
; Occupancy: 10
; WaveLimiterHint : 0
; COMPUTE_PGM_RSRC2:SCRATCH_EN: 0
; COMPUTE_PGM_RSRC2:USER_SGPR: 2
; COMPUTE_PGM_RSRC2:TRAP_HANDLER: 0
; COMPUTE_PGM_RSRC2:TGID_X_EN: 1
; COMPUTE_PGM_RSRC2:TGID_Y_EN: 0
; COMPUTE_PGM_RSRC2:TGID_Z_EN: 1
; COMPUTE_PGM_RSRC2:TIDIG_COMP_CNT: 1
	.section	.text._ZL36rocblas_hemvn_kernel_lower_block_sumILi64EiPK19rocblas_complex_numIfEPS1_S1_EviT1_lS5_lT2_lT0_lPT3_i,"axG",@progbits,_ZL36rocblas_hemvn_kernel_lower_block_sumILi64EiPK19rocblas_complex_numIfEPS1_S1_EviT1_lS5_lT2_lT0_lPT3_i,comdat
	.globl	_ZL36rocblas_hemvn_kernel_lower_block_sumILi64EiPK19rocblas_complex_numIfEPS1_S1_EviT1_lS5_lT2_lT0_lPT3_i ; -- Begin function _ZL36rocblas_hemvn_kernel_lower_block_sumILi64EiPK19rocblas_complex_numIfEPS1_S1_EviT1_lS5_lT2_lT0_lPT3_i
	.p2align	8
	.type	_ZL36rocblas_hemvn_kernel_lower_block_sumILi64EiPK19rocblas_complex_numIfEPS1_S1_EviT1_lS5_lT2_lT0_lPT3_i,@function
_ZL36rocblas_hemvn_kernel_lower_block_sumILi64EiPK19rocblas_complex_numIfEPS1_S1_EviT1_lS5_lT2_lT0_lPT3_i: ; @_ZL36rocblas_hemvn_kernel_lower_block_sumILi64EiPK19rocblas_complex_numIfEPS1_S1_EviT1_lS5_lT2_lT0_lPT3_i
; %bb.0:
	s_load_b32 s3, s[0:1], 0x50
	s_lshr_b32 s16, ttmp7, 16
	s_wait_kmcnt 0x0
	s_cmp_ge_u32 s16, s3
	s_cbranch_scc1 .LBB11_23
; %bb.1:
	s_clause 0x2
	s_load_b32 s24, s[0:1], 0x0
	s_load_b32 s2, s[0:1], 0x38
	s_load_b128 s[20:23], s[0:1], 0x28
	v_lshl_or_b32 v0, ttmp9, 6, v0
	s_clause 0x1
	s_load_b128 s[12:15], s[0:1], 0x40
	s_load_b256 s[4:11], s[0:1], 0x8
	s_add_nc_u64 s[0:1], s[0:1], 0x58
	s_mov_b32 s17, 0
	s_wait_kmcnt 0x0
	s_wait_alu 0xfffe
	v_mad_co_u64_u32 v[1:2], null, s24, ttmp9, v[0:1]
	v_mul_lo_u32 v3, s2, v0
	v_cmp_gt_i32_e64 s2, s24, v0
	s_lshl_b64 s[18:19], s[22:23], 3
	s_ashr_i32 s25, s24, 31
	s_add_nc_u64 s[18:19], s[20:21], s[18:19]
	v_ashrrev_i32_e32 v2, 31, v1
	v_ashrrev_i32_e32 v4, 31, v3
	s_delay_alu instid0(VALU_DEP_2) | instskip(NEXT) | instid1(VALU_DEP_1)
	v_lshlrev_b64_e32 v[1:2], 3, v[1:2]
	v_add_co_u32 v5, vcc_lo, s14, v1
	s_delay_alu instid0(VALU_DEP_1) | instskip(NEXT) | instid1(VALU_DEP_4)
	v_add_co_ci_u32_e64 v6, null, s15, v2, vcc_lo
	v_lshlrev_b64_e32 v[0:1], 3, v[3:4]
	s_delay_alu instid0(VALU_DEP_3) | instskip(SKIP_1) | instid1(VALU_DEP_3)
	v_add_co_u32 v2, vcc_lo, v5, 4
	s_wait_alu 0xfffd
	v_add_co_ci_u32_e64 v3, null, 0, v6, vcc_lo
	s_wait_alu 0xfffe
	s_lshl_b64 s[14:15], s[24:25], 3
	s_branch .LBB11_5
.LBB11_2:                               ;   in Loop: Header=BB11_5 Depth=1
	v_add_co_u32 v6, vcc_lo, s22, v0
	s_wait_alu 0xfffd
	v_add_co_ci_u32_e64 v7, null, s23, v1, vcc_lo
	global_store_b64 v[6:7], v[4:5], off
.LBB11_3:                               ;   in Loop: Header=BB11_5 Depth=1
	s_or_b32 exec_lo, exec_lo, s28
.LBB11_4:                               ;   in Loop: Header=BB11_5 Depth=1
	s_add_co_i32 s16, s16, 0x10000
	s_wait_alu 0xfffe
	s_cmp_lt_u32 s16, s3
	s_cbranch_scc0 .LBB11_23
.LBB11_5:                               ; =>This Loop Header: Depth=1
                                        ;     Child Loop BB11_18 Depth 2
	s_mul_u64 s[20:21], s[6:7], s[16:17]
	s_wait_alu 0xfffe
	s_lshl_b64 s[20:21], s[20:21], 3
	s_wait_alu 0xfffe
	s_add_nc_u64 s[20:21], s[4:5], s[20:21]
	s_load_b64 s[24:25], s[20:21], 0x0
	s_mul_u64 s[20:21], s[10:11], s[16:17]
	s_wait_alu 0xfffe
	s_lshl_b64 s[20:21], s[20:21], 3
	s_wait_alu 0xfffe
	s_add_nc_u64 s[20:21], s[8:9], s[20:21]
	s_load_b64 s[20:21], s[20:21], 0x0
	s_wait_kmcnt 0x0
	s_or_b32 s22, s24, s25
	s_wait_alu 0xfffe
	s_bitset0_b32 s22, 31
	s_wait_alu 0xfffe
	s_cmp_eq_u32 s22, 0
	s_cselect_b32 s26, -1, 0
	s_cmp_lg_u32 s22, 0
	s_mov_b32 s22, -1
	s_cbranch_scc1 .LBB11_7
; %bb.6:                                ;   in Loop: Header=BB11_5 Depth=1
	s_cmp_neq_f32 s20, 1.0
	s_cselect_b32 s22, -1, 0
	s_cmp_neq_f32 s21, 0
	s_cselect_b32 s23, -1, 0
	s_wait_alu 0xfffe
	s_or_b32 s22, s22, s23
.LBB11_7:                               ;   in Loop: Header=BB11_5 Depth=1
	s_wait_alu 0xfffe
	s_and_not1_b32 vcc_lo, exec_lo, s22
	s_wait_alu 0xfffe
	s_cbranch_vccnz .LBB11_4
; %bb.8:                                ;   in Loop: Header=BB11_5 Depth=1
	s_mul_u64 s[22:23], s[12:13], s[16:17]
	s_and_not1_b32 vcc_lo, exec_lo, s26
	s_wait_alu 0xfffe
	s_lshl_b64 s[22:23], s[22:23], 3
	s_mov_b32 s26, -1
	s_wait_alu 0xfffe
	s_add_nc_u64 s[22:23], s[18:19], s[22:23]
	s_cbranch_vccnz .LBB11_14
; %bb.9:                                ;   in Loop: Header=BB11_5 Depth=1
	s_and_saveexec_b32 s26, s2
	s_cbranch_execz .LBB11_13
; %bb.10:                               ;   in Loop: Header=BB11_5 Depth=1
	s_cmp_neq_f32 s20, 0
	v_dual_mov_b32 v4, 0 :: v_dual_mov_b32 v5, 0
	s_cselect_b32 s27, -1, 0
	s_cmp_neq_f32 s21, 0
	s_cselect_b32 s28, -1, 0
	s_delay_alu instid0(SALU_CYCLE_1) | instskip(NEXT) | instid1(SALU_CYCLE_1)
	s_or_b32 s27, s27, s28
	s_and_not1_b32 vcc_lo, exec_lo, s27
	s_wait_alu 0xfffe
	s_cbranch_vccnz .LBB11_12
; %bb.11:                               ;   in Loop: Header=BB11_5 Depth=1
	v_add_co_u32 v4, vcc_lo, s22, v0
	s_wait_alu 0xfffd
	v_add_co_ci_u32_e64 v5, null, s23, v1, vcc_lo
	global_load_b64 v[6:7], v[4:5], off
	s_wait_loadcnt 0x0
	v_mul_f32_e32 v5, s20, v7
	s_delay_alu instid0(VALU_DEP_1) | instskip(NEXT) | instid1(VALU_DEP_1)
	v_dual_mul_f32 v4, s21, v7 :: v_dual_fmac_f32 v5, s21, v6
	v_fma_f32 v4, v6, s20, -v4
.LBB11_12:                              ;   in Loop: Header=BB11_5 Depth=1
	v_add_co_u32 v6, vcc_lo, s22, v0
	s_wait_alu 0xfffd
	v_add_co_ci_u32_e64 v7, null, s23, v1, vcc_lo
	global_store_b64 v[6:7], v[4:5], off
.LBB11_13:                              ;   in Loop: Header=BB11_5 Depth=1
	s_or_b32 exec_lo, exec_lo, s26
	s_mov_b32 s26, 0
.LBB11_14:                              ;   in Loop: Header=BB11_5 Depth=1
	s_delay_alu instid0(SALU_CYCLE_1)
	s_and_not1_b32 vcc_lo, exec_lo, s26
	s_wait_alu 0xfffe
	s_cbranch_vccnz .LBB11_4
; %bb.15:                               ;   in Loop: Header=BB11_5 Depth=1
	s_and_saveexec_b32 s28, s2
	s_cbranch_execz .LBB11_3
; %bb.16:                               ;   in Loop: Header=BB11_5 Depth=1
	s_load_b32 s26, s[0:1], 0x0
	v_dual_mov_b32 v6, 0 :: v_dual_mov_b32 v7, 0
	s_wait_kmcnt 0x0
	s_cmp_ge_i32 ttmp9, s26
	s_cbranch_scc1 .LBB11_19
; %bb.17:                               ;   in Loop: Header=BB11_5 Depth=1
	s_mov_b32 s27, s17
	s_mov_b32 s29, ttmp9
	s_mul_u64 s[30:31], s[14:15], s[26:27]
	v_mov_b32_e32 v7, 0
	s_wait_alu 0xfffe
	v_mad_co_u64_u32 v[4:5], null, s30, s16, v[2:3]
	s_delay_alu instid0(VALU_DEP_1)
	v_mad_co_u64_u32 v[5:6], null, s31, s16, v[5:6]
	v_mov_b32_e32 v6, 0
.LBB11_18:                              ;   Parent Loop BB11_5 Depth=1
                                        ; =>  This Inner Loop Header: Depth=2
	global_load_b64 v[8:9], v[4:5], off offset:-4
	v_add_co_u32 v4, vcc_lo, v4, s14
	s_wait_alu 0xfffd
	v_add_co_ci_u32_e64 v5, null, s15, v5, vcc_lo
	s_add_co_i32 s29, s29, 1
	s_delay_alu instid0(SALU_CYCLE_1)
	s_cmp_ge_i32 s29, s26
	s_wait_loadcnt 0x0
	v_dual_add_f32 v7, v7, v8 :: v_dual_add_f32 v6, v6, v9
	s_cbranch_scc0 .LBB11_18
.LBB11_19:                              ;   in Loop: Header=BB11_5 Depth=1
	s_cmp_neq_f32 s20, 0
	s_delay_alu instid0(VALU_DEP_1) | instskip(SKIP_3) | instid1(VALU_DEP_2)
	v_mul_f32_e32 v5, s24, v6
	v_mul_f32_e32 v4, s25, v6
	s_cselect_b32 s26, -1, 0
	s_cmp_neq_f32 s21, 0
	v_fmac_f32_e32 v5, s25, v7
	s_delay_alu instid0(VALU_DEP_2) | instskip(SKIP_2) | instid1(SALU_CYCLE_1)
	v_fma_f32 v4, v7, s24, -v4
	s_mov_b32 s24, -1
	s_cselect_b32 s27, -1, 0
	s_or_b32 s26, s26, s27
	s_delay_alu instid0(SALU_CYCLE_1)
	s_and_not1_b32 vcc_lo, exec_lo, s26
	s_wait_alu 0xfffe
	s_cbranch_vccz .LBB11_21
; %bb.20:                               ;   in Loop: Header=BB11_5 Depth=1
	s_mov_b32 s24, 0
.LBB11_21:                              ;   in Loop: Header=BB11_5 Depth=1
	s_wait_alu 0xfffe
	s_and_not1_b32 vcc_lo, exec_lo, s24
	s_wait_alu 0xfffe
	s_cbranch_vccnz .LBB11_2
; %bb.22:                               ;   in Loop: Header=BB11_5 Depth=1
	v_add_co_u32 v6, vcc_lo, s22, v0
	s_wait_alu 0xfffd
	v_add_co_ci_u32_e64 v7, null, s23, v1, vcc_lo
	global_load_b64 v[6:7], v[6:7], off
	s_wait_loadcnt 0x0
	v_mul_f32_e32 v8, s21, v7
	v_mul_f32_e32 v7, s20, v7
	s_delay_alu instid0(VALU_DEP_1) | instskip(NEXT) | instid1(VALU_DEP_3)
	v_fmac_f32_e32 v7, s21, v6
	v_fma_f32 v8, v6, s20, -v8
	s_delay_alu instid0(VALU_DEP_1)
	v_dual_add_f32 v5, v5, v7 :: v_dual_add_f32 v4, v4, v8
	s_branch .LBB11_2
.LBB11_23:
	s_endpgm
	.section	.rodata,"a",@progbits
	.p2align	6, 0x0
	.amdhsa_kernel _ZL36rocblas_hemvn_kernel_lower_block_sumILi64EiPK19rocblas_complex_numIfEPS1_S1_EviT1_lS5_lT2_lT0_lPT3_i
		.amdhsa_group_segment_fixed_size 0
		.amdhsa_private_segment_fixed_size 0
		.amdhsa_kernarg_size 344
		.amdhsa_user_sgpr_count 2
		.amdhsa_user_sgpr_dispatch_ptr 0
		.amdhsa_user_sgpr_queue_ptr 0
		.amdhsa_user_sgpr_kernarg_segment_ptr 1
		.amdhsa_user_sgpr_dispatch_id 0
		.amdhsa_user_sgpr_private_segment_size 0
		.amdhsa_wavefront_size32 1
		.amdhsa_uses_dynamic_stack 0
		.amdhsa_enable_private_segment 0
		.amdhsa_system_sgpr_workgroup_id_x 1
		.amdhsa_system_sgpr_workgroup_id_y 0
		.amdhsa_system_sgpr_workgroup_id_z 1
		.amdhsa_system_sgpr_workgroup_info 0
		.amdhsa_system_vgpr_workitem_id 0
		.amdhsa_next_free_vgpr 10
		.amdhsa_next_free_sgpr 32
		.amdhsa_reserve_vcc 1
		.amdhsa_float_round_mode_32 0
		.amdhsa_float_round_mode_16_64 0
		.amdhsa_float_denorm_mode_32 3
		.amdhsa_float_denorm_mode_16_64 3
		.amdhsa_fp16_overflow 0
		.amdhsa_workgroup_processor_mode 1
		.amdhsa_memory_ordered 1
		.amdhsa_forward_progress 1
		.amdhsa_inst_pref_size 8
		.amdhsa_round_robin_scheduling 0
		.amdhsa_exception_fp_ieee_invalid_op 0
		.amdhsa_exception_fp_denorm_src 0
		.amdhsa_exception_fp_ieee_div_zero 0
		.amdhsa_exception_fp_ieee_overflow 0
		.amdhsa_exception_fp_ieee_underflow 0
		.amdhsa_exception_fp_ieee_inexact 0
		.amdhsa_exception_int_div_zero 0
	.end_amdhsa_kernel
	.section	.text._ZL36rocblas_hemvn_kernel_lower_block_sumILi64EiPK19rocblas_complex_numIfEPS1_S1_EviT1_lS5_lT2_lT0_lPT3_i,"axG",@progbits,_ZL36rocblas_hemvn_kernel_lower_block_sumILi64EiPK19rocblas_complex_numIfEPS1_S1_EviT1_lS5_lT2_lT0_lPT3_i,comdat
.Lfunc_end11:
	.size	_ZL36rocblas_hemvn_kernel_lower_block_sumILi64EiPK19rocblas_complex_numIfEPS1_S1_EviT1_lS5_lT2_lT0_lPT3_i, .Lfunc_end11-_ZL36rocblas_hemvn_kernel_lower_block_sumILi64EiPK19rocblas_complex_numIfEPS1_S1_EviT1_lS5_lT2_lT0_lPT3_i
                                        ; -- End function
	.set _ZL36rocblas_hemvn_kernel_lower_block_sumILi64EiPK19rocblas_complex_numIfEPS1_S1_EviT1_lS5_lT2_lT0_lPT3_i.num_vgpr, 10
	.set _ZL36rocblas_hemvn_kernel_lower_block_sumILi64EiPK19rocblas_complex_numIfEPS1_S1_EviT1_lS5_lT2_lT0_lPT3_i.num_agpr, 0
	.set _ZL36rocblas_hemvn_kernel_lower_block_sumILi64EiPK19rocblas_complex_numIfEPS1_S1_EviT1_lS5_lT2_lT0_lPT3_i.numbered_sgpr, 32
	.set _ZL36rocblas_hemvn_kernel_lower_block_sumILi64EiPK19rocblas_complex_numIfEPS1_S1_EviT1_lS5_lT2_lT0_lPT3_i.num_named_barrier, 0
	.set _ZL36rocblas_hemvn_kernel_lower_block_sumILi64EiPK19rocblas_complex_numIfEPS1_S1_EviT1_lS5_lT2_lT0_lPT3_i.private_seg_size, 0
	.set _ZL36rocblas_hemvn_kernel_lower_block_sumILi64EiPK19rocblas_complex_numIfEPS1_S1_EviT1_lS5_lT2_lT0_lPT3_i.uses_vcc, 1
	.set _ZL36rocblas_hemvn_kernel_lower_block_sumILi64EiPK19rocblas_complex_numIfEPS1_S1_EviT1_lS5_lT2_lT0_lPT3_i.uses_flat_scratch, 0
	.set _ZL36rocblas_hemvn_kernel_lower_block_sumILi64EiPK19rocblas_complex_numIfEPS1_S1_EviT1_lS5_lT2_lT0_lPT3_i.has_dyn_sized_stack, 0
	.set _ZL36rocblas_hemvn_kernel_lower_block_sumILi64EiPK19rocblas_complex_numIfEPS1_S1_EviT1_lS5_lT2_lT0_lPT3_i.has_recursion, 0
	.set _ZL36rocblas_hemvn_kernel_lower_block_sumILi64EiPK19rocblas_complex_numIfEPS1_S1_EviT1_lS5_lT2_lT0_lPT3_i.has_indirect_call, 0
	.section	.AMDGPU.csdata,"",@progbits
; Kernel info:
; codeLenInByte = 912
; TotalNumSgprs: 34
; NumVgprs: 10
; ScratchSize: 0
; MemoryBound: 0
; FloatMode: 240
; IeeeMode: 1
; LDSByteSize: 0 bytes/workgroup (compile time only)
; SGPRBlocks: 0
; VGPRBlocks: 1
; NumSGPRsForWavesPerEU: 34
; NumVGPRsForWavesPerEU: 10
; Occupancy: 16
; WaveLimiterHint : 0
; COMPUTE_PGM_RSRC2:SCRATCH_EN: 0
; COMPUTE_PGM_RSRC2:USER_SGPR: 2
; COMPUTE_PGM_RSRC2:TRAP_HANDLER: 0
; COMPUTE_PGM_RSRC2:TGID_X_EN: 1
; COMPUTE_PGM_RSRC2:TGID_Y_EN: 0
; COMPUTE_PGM_RSRC2:TGID_Z_EN: 1
; COMPUTE_PGM_RSRC2:TIDIG_COMP_CNT: 0
	.section	.text._ZL26rocblas_hemvn_kernel_lowerILb1ELi64ELi4ELi33ELi32ELi16El19rocblas_complex_numIfEPKS1_PS1_EviT6_lT7_lT5_lS6_lS7_lS5_lT8_i,"axG",@progbits,_ZL26rocblas_hemvn_kernel_lowerILb1ELi64ELi4ELi33ELi32ELi16El19rocblas_complex_numIfEPKS1_PS1_EviT6_lT7_lT5_lS6_lS7_lS5_lT8_i,comdat
	.globl	_ZL26rocblas_hemvn_kernel_lowerILb1ELi64ELi4ELi33ELi32ELi16El19rocblas_complex_numIfEPKS1_PS1_EviT6_lT7_lT5_lS6_lS7_lS5_lT8_i ; -- Begin function _ZL26rocblas_hemvn_kernel_lowerILb1ELi64ELi4ELi33ELi32ELi16El19rocblas_complex_numIfEPKS1_PS1_EviT6_lT7_lT5_lS6_lS7_lS5_lT8_i
	.p2align	8
	.type	_ZL26rocblas_hemvn_kernel_lowerILb1ELi64ELi4ELi33ELi32ELi16El19rocblas_complex_numIfEPKS1_PS1_EviT6_lT7_lT5_lS6_lS7_lS5_lT8_i,@function
_ZL26rocblas_hemvn_kernel_lowerILb1ELi64ELi4ELi33ELi32ELi16El19rocblas_complex_numIfEPKS1_PS1_EviT6_lT7_lT5_lS6_lS7_lS5_lT8_i: ; @_ZL26rocblas_hemvn_kernel_lowerILb1ELi64ELi4ELi33ELi32ELi16El19rocblas_complex_numIfEPKS1_PS1_EviT6_lT7_lT5_lS6_lS7_lS5_lT8_i
; %bb.0:
	s_clause 0x1
	s_load_b64 s[2:3], s[0:1], 0x84
	s_load_b32 s33, s[0:1], 0x70
	s_lshr_b32 s24, ttmp7, 16
	s_wait_kmcnt 0x0
	s_lshr_b32 s4, s2, 16
	s_and_b32 s2, s2, 0xffff
	s_and_b32 s3, s3, 0xffff
	s_mul_i32 s2, s4, s2
	s_delay_alu instid0(SALU_CYCLE_1) | instskip(NEXT) | instid1(SALU_CYCLE_1)
	s_mul_i32 s2, s2, s3
	s_cmp_lg_u32 s2, 0x100
	s_cselect_b32 s2, -1, 0
	s_cmp_ge_u32 s24, s33
	s_cselect_b32 s3, -1, 0
	s_delay_alu instid0(SALU_CYCLE_1) | instskip(NEXT) | instid1(SALU_CYCLE_1)
	s_or_b32 s2, s2, s3
	s_and_b32 vcc_lo, exec_lo, s2
	s_cbranch_vccnz .LBB12_136
; %bb.1:
	s_clause 0x4
	s_load_b32 s2, s[0:1], 0x0
	s_load_b64 s[4:5], s[0:1], 0x4
	s_load_b512 s[36:51], s[0:1], 0x18
	s_load_b64 s[6:7], s[0:1], 0x58
	s_load_b64 s[8:9], s[0:1], 0x68
	v_dual_mov_b32 v33, 0 :: v_dual_and_b32 v78, 0x3ff, v0
	v_bfe_u32 v11, v0, 10, 10
	s_add_nc_u64 s[0:1], s[0:1], 0x78
	v_and_b32_e32 v32, 31, v0
	s_load_b32 s26, s[0:1], 0x0
	s_mov_b32 s27, 0
	v_lshl_add_u32 v12, v11, 6, v78
	v_cmp_eq_u32_e64 s0, 0, v11
	v_lshlrev_b32_e32 v13, 3, v32
	v_mul_u32_u24_e32 v20, 33, v32
	v_lshl_add_u32 v95, v11, 5, 0x2180
	v_lshrrev_b32_e32 v10, 5, v12
	v_and_b32_e32 v17, 0x7fe0, v12
	v_lshl_or_b32 v16, v32, 8, v13
	v_lshlrev_b32_e32 v89, 3, v20
	s_wait_kmcnt 0x0
	s_ashr_i32 s3, s2, 31
	s_or_b32 s10, s4, s5
	s_lshl_b64 s[4:5], s[46:47], 3
	s_and_b32 s12, s10, 0x7fffffff
	s_lshl_b64 s[10:11], s[38:39], 3
	s_cmp_lg_u32 s12, 0
	v_mad_co_u64_u32 v[1:2], null, s40, v10, v[32:33]
	s_cselect_b32 s25, -1, 0
	s_cmp_neq_f32 s6, 1.0
	s_mul_u64 s[28:29], s[26:27], s[2:3]
	s_mul_i32 s6, s2, ttmp9
	s_add_nc_u64 s[4:5], s[44:45], s[4:5]
	s_cselect_b32 s54, -1, 0
	s_cmp_neq_f32 s7, 0
	v_add_nc_u32_e32 v86, v16, v17
	s_add_nc_u64 s[10:11], s[36:37], s[10:11]
	v_add_nc_u32_e32 v91, 0x2380, v17
	s_cselect_b32 s55, -1, 0
	s_lshl_b32 s22, ttmp9, 6
	s_lshr_b32 s1, s3, 26
	v_add_nc_u32_e32 v3, s22, v78
	s_add_co_i32 s1, s2, s1
	s_add_co_i32 s3, s26, -1
	s_and_not1_b32 s1, s1, 63
	v_lshlrev_b32_e32 v17, 2, v11
	v_ashrrev_i32_e32 v4, 31, v3
	v_mad_co_u64_u32 v[5:6], null, s41, v10, v[2:3]
	v_mul_lo_u32 v8, s49, v3
	v_mad_co_u64_u32 v[6:7], null, s48, v3, 0
	s_delay_alu instid0(VALU_DEP_4) | instskip(SKIP_2) | instid1(VALU_DEP_4)
	v_mul_lo_u32 v9, s48, v4
	s_sub_co_i32 s1, s2, s1
	s_cmp_eq_u32 ttmp9, s3
	v_dual_mov_b32 v2, v5 :: v_dual_lshlrev_b32 v79, 3, v78
	s_cselect_b32 s30, s1, 0
	v_add_nc_u32_e32 v15, 24, v10
	s_cmp_eq_u32 s30, 0
	s_delay_alu instid0(VALU_DEP_3)
	v_add3_u32 v7, v7, v9, v8
	s_cselect_b32 s64, -1, 0
	s_cmp_lg_u32 s30, 0
	v_cmp_le_i32_e32 vcc_lo, s30, v78
	v_lshlrev_b32_e32 v9, 2, v10
	v_lshlrev_b64_e32 v[6:7], 3, v[6:7]
	s_cselect_b32 s1, -1, 0
	s_ashr_i32 s7, s6, 31
	s_and_b32 s1, s1, vcc_lo
	s_lshl_b64 s[2:3], s[6:7], 3
	v_cmp_ge_u32_e64 s7, v9, v32
	v_add_co_u32 v81, vcc_lo, s4, v6
	s_add_nc_u64 s[34:35], s[8:9], s[2:3]
	v_or_b32_e32 v18, 1, v9
	v_cmp_eq_u32_e64 s8, v9, v32
	v_or_b32_e32 v16, 2, v9
	v_or_b32_e32 v9, 3, v9
	v_add_co_ci_u32_e64 v82, null, s5, v7, vcc_lo
	s_ashr_i32 s23, s22, 31
	v_lshlrev_b64_e32 v[6:7], 3, v[1:2]
	s_wait_alu 0xfffe
	s_lshl_b64 s[4:5], s[22:23], 3
	v_add_nc_u32_e32 v8, 16, v10
	v_cmp_ge_u32_e64 s13, v9, v32
	v_cmp_eq_u32_e64 s14, v9, v32
	v_or_b32_e32 v9, 32, v32
	s_wait_alu 0xfffe
	s_add_nc_u64 s[2:3], s[10:11], s[4:5]
	s_sub_co_i32 s20, s30, 32
	v_add_co_u32 v2, vcc_lo, s2, v6
	s_mul_u64 s[52:53], s[40:41], s[22:23]
	v_cmp_le_i32_e64 s5, s30, v8
	v_cmp_gt_i32_e64 s16, s30, v9
	v_cmp_le_i32_e64 s19, s20, v8
	v_mad_co_u64_u32 v[8:9], null, s40, v17, 0
	s_wait_alu 0xfffd
	v_add_co_ci_u32_e64 v6, null, s3, v7, vcc_lo
	s_lshl_b64 s[2:3], s[52:53], 3
	v_cmp_ge_u32_e64 s11, v16, v32
	s_wait_alu 0xfffe
	v_add_co_u32 v83, vcc_lo, v2, s2
	v_add_nc_u32_e32 v2, 8, v10
	v_cmp_eq_u32_e64 s12, v16, v32
	v_lshlrev_b32_e32 v16, 3, v10
	s_wait_alu 0xfffd
	v_add_co_ci_u32_e64 v84, null, s3, v6, vcc_lo
	v_cmp_le_i32_e64 s4, s30, v2
	v_cmp_le_i32_e64 s18, s20, v2
	v_add_nc_u32_e32 v92, v89, v16
	v_mov_b32_e32 v2, v9
	v_sub_co_u32 v6, s3, 0, v32
	v_mul_u32_u24_e32 v14, 0x108, v10
	s_wait_alu 0xf1ff
	v_sub_co_ci_u32_e64 v7, null, 0, 0, s3
	v_cmp_le_i32_e64 s3, s30, v10
	v_cmp_le_i32_e64 s6, s30, v15
	v_mul_u32_u24_e32 v19, 0x420, v10
	v_cmp_le_i32_e64 s17, s20, v10
	v_cmp_le_i32_e64 s20, s20, v15
	v_cmp_eq_u32_e64 s21, 1, v10
	v_mul_i32_i24_e32 v15, 0xffffffe8, v10
	v_mad_u32_u24 v93, v10, 24, v92
	v_mad_co_u64_u32 v[9:10], null, s41, v17, v[2:3]
	v_lshrrev_b32_e32 v10, 4, v12
	v_sub_co_u32 v1, vcc_lo, 0, v1
	v_and_b32_e32 v17, 15, v0
	s_wait_alu 0xfffd
	v_sub_co_ci_u32_e64 v2, null, 0, v5, vcc_lo
	v_and_b32_e32 v0, 48, v0
	v_lshlrev_b32_e32 v5, 5, v10
	v_cmp_ge_u32_e64 s9, v18, v32
	v_cmp_eq_u32_e64 s10, v18, v32
	v_mul_u32_u24_e32 v18, 0x108, v18
	v_lshlrev_b32_e32 v0, 3, v0
	v_or_b32_e32 v20, 0x78, v79
	v_mad_u32_u24 v97, 0x218, v17, v5
	v_mul_i32_i24_e32 v5, 0xffffffe8, v10
	s_lshl_b64 s[36:37], s[40:41], 6
	s_lshl_b64 s[38:39], s[40:41], 7
	s_ashr_i32 s31, s30, 31
	s_lshl_b64 s[46:47], s[40:41], 5
	s_xor_b32 s26, s1, -1
	s_mul_u64 s[22:23], s[48:49], s[22:23]
	s_cmp_gt_i32 ttmp9, 0
	v_lshlrev_b64_e32 v[34:35], 3, v[6:7]
	v_lshlrev_b64_e32 v[36:37], 3, v[1:2]
	v_lshlrev_b64_e32 v[38:39], 3, v[8:9]
	v_lshlrev_b64_e32 v[40:41], 3, v[3:4]
	v_add_nc_u32_e32 v80, 0x2380, v79
	v_cmp_gt_i32_e64 s2, s30, v32
	v_mad_u32_u24 v85, 0x108, v32, v13
	v_add_nc_u32_e32 v87, 8, v86
	v_add_nc_u32_e32 v88, 16, v86
	;; [unrolled: 1-line block ×3, first 2 shown]
	v_cmp_gt_u32_e64 s15, 32, v12
	s_wait_alu 0xfffe
	s_sub_nc_u64 s[58:59], 0, s[22:23]
	v_add_nc_u32_e32 v94, 0x2180, v79
	v_mad_u32_u24 v96, 0x860, v11, v79
	v_cmp_gt_u32_e64 s22, 64, v12
	v_mad_u32_u24 v98, 0x218, v17, v0
	v_mad_u32_u24 v99, 0x218, v17, v20
	v_mad_u32_u24 v100, 0x218, v11, v79
	v_add_nc_u32_e32 v101, 0x2380, v16
	v_cndmask_b32_e64 v102, 0, 1, s25
	v_add_nc_u32_e32 v103, v13, v14
	v_add_nc_u32_e32 v104, v13, v19
	v_add_nc_u32_e32 v105, v13, v18
	v_add_nc_u32_e32 v106, v91, v15
	v_add_nc_u32_e32 v107, v97, v5
	v_lshlrev_b32_e32 v108, 3, v32
	s_sub_nc_u64 s[56:57], 0, s[46:47]
	s_cselect_b32 s23, -1, 0
	s_sub_nc_u64 s[60:61], 0, s[52:53]
	s_and_b32 s65, s0, s26
	s_or_b32 s26, s54, s55
	s_mul_u64 s[44:45], s[40:41], 0xc0
	s_sub_nc_u64 s[52:53], 0, s[30:31]
	s_lshl_b64 s[54:55], s[40:41], 3
	s_mul_u64 s[40:41], s[40:41], 0x68
	s_or_b32 s66, s26, s25
	s_lshl_b64 s[56:57], s[56:57], 3
	s_lshl_b64 s[58:59], s[58:59], 3
	;; [unrolled: 1-line block ×3, first 2 shown]
	s_branch .LBB12_4
.LBB12_2:                               ;   in Loop: Header=BB12_4 Depth=1
	s_wait_alu 0xfffe
	s_or_b32 exec_lo, exec_lo, s25
.LBB12_3:                               ;   in Loop: Header=BB12_4 Depth=1
	s_add_co_i32 s24, s24, 0x10000
	s_wait_alu 0xfffe
	s_cmp_lt_u32 s24, s33
	s_cbranch_scc0 .LBB12_136
.LBB12_4:                               ; =>This Loop Header: Depth=1
                                        ;     Child Loop BB12_112 Depth 2
	s_and_not1_b32 vcc_lo, exec_lo, s66
	s_wait_alu 0xfffe
	s_cbranch_vccnz .LBB12_3
; %bb.5:                                ;   in Loop: Header=BB12_4 Depth=1
	v_cmp_ne_u32_e32 vcc_lo, 1, v102
	s_cbranch_vccnz .LBB12_3
; %bb.6:                                ;   in Loop: Header=BB12_4 Depth=1
	s_mov_b32 s25, s27
	s_wait_alu 0xfffe
	s_mul_u64 s[62:63], s[50:51], s[24:25]
	s_wait_alu 0xfffe
	s_lshl_b64 s[62:63], s[62:63], 3
	s_wait_alu 0xfffe
	v_add_co_u32 v16, vcc_lo, v81, s62
	s_wait_alu 0xfffd
	v_add_co_ci_u32_e64 v17, null, s63, v82, vcc_lo
	s_and_saveexec_b32 s26, s0
	s_cbranch_execz .LBB12_11
; %bb.7:                                ;   in Loop: Header=BB12_4 Depth=1
	s_and_saveexec_b32 s62, s1
	s_wait_alu 0xfffe
	s_xor_b32 s62, exec_lo, s62
; %bb.8:                                ;   in Loop: Header=BB12_4 Depth=1
	v_mov_b32_e32 v32, v33
	ds_store_b64 v80, v[32:33]
; %bb.9:                                ;   in Loop: Header=BB12_4 Depth=1
	s_wait_alu 0xfffe
	s_and_not1_saveexec_b32 s62, s62
	s_cbranch_execz .LBB12_11
; %bb.10:                               ;   in Loop: Header=BB12_4 Depth=1
	global_load_b64 v[0:1], v[16:17], off
	s_wait_loadcnt 0x0
	ds_store_b64 v80, v[0:1]
.LBB12_11:                              ;   in Loop: Header=BB12_4 Depth=1
	s_wait_alu 0xfffe
	s_or_b32 exec_lo, exec_lo, s26
	s_mul_u64 s[62:63], s[42:43], s[24:25]
	s_mov_b32 s26, -1
	s_wait_alu 0xfffe
	s_lshl_b64 s[62:63], s[62:63], 3
	s_wait_alu 0xfffe
	v_add_co_u32 v0, vcc_lo, v83, s62
	s_wait_alu 0xfffd
	v_add_co_ci_u32_e64 v1, null, s63, v84, vcc_lo
	s_and_not1_b32 vcc_lo, exec_lo, s64
	s_wait_alu 0xfffe
	s_cbranch_vccnz .LBB12_13
; %bb.12:                               ;   in Loop: Header=BB12_4 Depth=1
	v_add_co_u32 v2, vcc_lo, v0, s36
	s_wait_alu 0xfffd
	v_add_co_ci_u32_e64 v3, null, s37, v1, vcc_lo
	s_mov_b32 s26, 0
	v_add_co_u32 v4, vcc_lo, v2, s36
	s_wait_alu 0xfffd
	v_add_co_ci_u32_e64 v5, null, s37, v3, vcc_lo
	s_delay_alu instid0(VALU_DEP_2) | instskip(SKIP_1) | instid1(VALU_DEP_2)
	v_add_co_u32 v6, vcc_lo, v4, s36
	s_wait_alu 0xfffd
	v_add_co_ci_u32_e64 v7, null, s37, v5, vcc_lo
	s_clause 0x3
	global_load_b64 v[8:9], v[0:1], off
	global_load_b64 v[2:3], v[2:3], off
	;; [unrolled: 1-line block ×4, first 2 shown]
	s_wait_loadcnt 0x3
	ds_store_b64 v103, v[8:9]
	s_wait_loadcnt 0x2
	ds_store_b64 v103, v[2:3] offset:2112
	s_wait_loadcnt 0x1
	ds_store_b64 v103, v[4:5] offset:4224
	;; [unrolled: 2-line block ×3, first 2 shown]
.LBB12_13:                              ;   in Loop: Header=BB12_4 Depth=1
	s_wait_alu 0xfffe
	s_and_not1_b32 vcc_lo, exec_lo, s26
	s_wait_alu 0xfffe
	s_cbranch_vccnz .LBB12_25
; %bb.14:                               ;   in Loop: Header=BB12_4 Depth=1
	s_and_saveexec_b32 s26, s3
	s_wait_alu 0xfffe
	s_xor_b32 s26, exec_lo, s26
; %bb.15:                               ;   in Loop: Header=BB12_4 Depth=1
	v_mov_b32_e32 v32, v33
	ds_store_b64 v103, v[32:33]
; %bb.16:                               ;   in Loop: Header=BB12_4 Depth=1
	s_wait_alu 0xfffe
	s_or_saveexec_b32 s26, s26
	v_add_co_u32 v2, vcc_lo, v0, v34
	s_wait_alu 0xfffd
	v_add_co_ci_u32_e64 v3, null, v1, v35, vcc_lo
	s_lshl_b64 s[62:63], s[30:31], 3
	s_wait_alu 0xfffe
	v_add_co_u32 v2, vcc_lo, v2, s62
	s_wait_alu 0xfffd
	v_add_co_ci_u32_e64 v3, null, s63, v3, vcc_lo
	s_delay_alu instid0(VALU_DEP_2) | instskip(SKIP_1) | instid1(VALU_DEP_2)
	v_add_co_u32 v2, vcc_lo, v2, -8
	s_wait_alu 0xfffd
	v_add_co_ci_u32_e64 v3, null, -1, v3, vcc_lo
	s_delay_alu instid0(VALU_DEP_2) | instskip(NEXT) | instid1(VALU_DEP_2)
	v_cndmask_b32_e64 v2, v2, v0, s2
	v_cndmask_b32_e64 v3, v3, v1, s2
	s_xor_b32 exec_lo, exec_lo, s26
	s_cbranch_execnz .LBB12_118
; %bb.17:                               ;   in Loop: Header=BB12_4 Depth=1
	s_or_b32 exec_lo, exec_lo, s26
	s_and_saveexec_b32 s26, s4
	s_wait_alu 0xfffe
	s_xor_b32 s26, exec_lo, s26
	s_cbranch_execnz .LBB12_119
.LBB12_18:                              ;   in Loop: Header=BB12_4 Depth=1
	s_wait_alu 0xfffe
	s_and_not1_saveexec_b32 s26, s26
	s_cbranch_execnz .LBB12_120
.LBB12_19:                              ;   in Loop: Header=BB12_4 Depth=1
	s_wait_alu 0xfffe
	s_or_b32 exec_lo, exec_lo, s26
	s_and_saveexec_b32 s26, s5
	s_wait_alu 0xfffe
	s_xor_b32 s26, exec_lo, s26
	s_cbranch_execnz .LBB12_121
.LBB12_20:                              ;   in Loop: Header=BB12_4 Depth=1
	s_wait_alu 0xfffe
	s_and_not1_saveexec_b32 s26, s26
	s_cbranch_execnz .LBB12_122
.LBB12_21:                              ;   in Loop: Header=BB12_4 Depth=1
	s_wait_alu 0xfffe
	s_or_b32 exec_lo, exec_lo, s26
	s_and_saveexec_b32 s26, s6
	s_wait_alu 0xfffe
	s_xor_b32 s26, exec_lo, s26
	s_cbranch_execnz .LBB12_123
.LBB12_22:                              ;   in Loop: Header=BB12_4 Depth=1
	s_wait_alu 0xfffe
	s_and_not1_saveexec_b32 s26, s26
	s_cbranch_execz .LBB12_24
.LBB12_23:                              ;   in Loop: Header=BB12_4 Depth=1
	v_add_co_u32 v4, vcc_lo, v2, s44
	s_wait_alu 0xfffd
	v_add_co_ci_u32_e64 v5, null, s45, v3, vcc_lo
	global_load_b64 v[4:5], v[4:5], off
	s_wait_loadcnt 0x0
	ds_store_b64 v103, v[4:5] offset:6336
.LBB12_24:                              ;   in Loop: Header=BB12_4 Depth=1
	s_wait_alu 0xfffe
	s_or_b32 exec_lo, exec_lo, s26
	v_add_co_u32 v2, vcc_lo, v2, v108
	s_wait_alu 0xfffd
	v_add_co_ci_u32_e64 v3, null, 0, v3, vcc_lo
	s_lshl_b64 s[62:63], s[52:53], 3
	s_wait_alu 0xfffe
	v_add_co_u32 v2, vcc_lo, v2, s62
	s_wait_alu 0xfffd
	v_add_co_ci_u32_e64 v3, null, s63, v3, vcc_lo
	s_delay_alu instid0(VALU_DEP_2) | instskip(SKIP_1) | instid1(VALU_DEP_2)
	v_add_co_u32 v2, vcc_lo, v2, 8
	s_wait_alu 0xfffd
	v_add_co_ci_u32_e64 v3, null, 0, v3, vcc_lo
	s_delay_alu instid0(VALU_DEP_2) | instskip(NEXT) | instid1(VALU_DEP_2)
	v_cndmask_b32_e64 v0, v2, v0, s2
	v_cndmask_b32_e64 v1, v3, v1, s2
.LBB12_25:                              ;   in Loop: Header=BB12_4 Depth=1
	s_mov_b32 s26, 0
	s_wait_dscnt 0x0
	s_barrier_signal -1
	s_barrier_wait -1
	global_inv scope:SCOPE_SE
	s_and_saveexec_b32 s62, s7
	s_wait_alu 0xfffe
	s_xor_b32 s62, exec_lo, s62
; %bb.26:                               ;   in Loop: Header=BB12_4 Depth=1
	s_and_b32 s26, s8, exec_lo
; %bb.27:                               ;   in Loop: Header=BB12_4 Depth=1
	s_wait_alu 0xfffe
	s_or_saveexec_b32 s62, s62
	v_dual_mov_b32 v2, 0 :: v_dual_mov_b32 v3, v85
	s_wait_alu 0xfffe
	s_xor_b32 exec_lo, exec_lo, s62
	s_cbranch_execz .LBB12_29
; %bb.28:                               ;   in Loop: Header=BB12_4 Depth=1
	ds_load_b64 v[4:5], v104
	v_mov_b32_e32 v3, v86
	s_or_b32 s26, s26, exec_lo
	s_wait_dscnt 0x0
	v_xor_b32_e32 v2, 0x80000000, v5
	ds_store_b32 v86, v4
.LBB12_29:                              ;   in Loop: Header=BB12_4 Depth=1
	s_or_b32 exec_lo, exec_lo, s62
	s_wait_alu 0xfffe
	s_and_saveexec_b32 s62, s26
; %bb.30:                               ;   in Loop: Header=BB12_4 Depth=1
	ds_store_b32 v3, v2 offset:4
; %bb.31:                               ;   in Loop: Header=BB12_4 Depth=1
	s_wait_alu 0xfffe
	s_or_b32 exec_lo, exec_lo, s62
	s_mov_b32 s26, 0
	s_and_saveexec_b32 s62, s9
	s_wait_alu 0xfffe
	s_xor_b32 s62, exec_lo, s62
; %bb.32:                               ;   in Loop: Header=BB12_4 Depth=1
	s_and_b32 s26, s10, exec_lo
; %bb.33:                               ;   in Loop: Header=BB12_4 Depth=1
	s_wait_alu 0xfffe
	s_or_saveexec_b32 s62, s62
	v_dual_mov_b32 v2, 0 :: v_dual_mov_b32 v3, v85
	s_wait_alu 0xfffe
	s_xor_b32 exec_lo, exec_lo, s62
	s_cbranch_execz .LBB12_35
; %bb.34:                               ;   in Loop: Header=BB12_4 Depth=1
	ds_load_b64 v[4:5], v105
	v_mov_b32_e32 v3, v87
	s_or_b32 s26, s26, exec_lo
	s_wait_dscnt 0x0
	v_xor_b32_e32 v2, 0x80000000, v5
	ds_store_b32 v87, v4
.LBB12_35:                              ;   in Loop: Header=BB12_4 Depth=1
	s_or_b32 exec_lo, exec_lo, s62
	s_wait_alu 0xfffe
	s_and_saveexec_b32 s62, s26
; %bb.36:                               ;   in Loop: Header=BB12_4 Depth=1
	ds_store_b32 v3, v2 offset:4
; %bb.37:                               ;   in Loop: Header=BB12_4 Depth=1
	s_wait_alu 0xfffe
	s_or_b32 exec_lo, exec_lo, s62
	s_mov_b32 s26, 0
	s_and_saveexec_b32 s62, s11
	s_wait_alu 0xfffe
	s_xor_b32 s62, exec_lo, s62
; %bb.38:                               ;   in Loop: Header=BB12_4 Depth=1
	s_and_b32 s26, s12, exec_lo
; %bb.39:                               ;   in Loop: Header=BB12_4 Depth=1
	s_wait_alu 0xfffe
	s_or_saveexec_b32 s62, s62
	v_dual_mov_b32 v2, 0 :: v_dual_mov_b32 v3, v85
	s_wait_alu 0xfffe
	s_xor_b32 exec_lo, exec_lo, s62
	s_cbranch_execz .LBB12_41
; %bb.40:                               ;   in Loop: Header=BB12_4 Depth=1
	ds_load_b64 v[4:5], v105 offset:264
	v_mov_b32_e32 v3, v88
	s_or_b32 s26, s26, exec_lo
	s_wait_dscnt 0x0
	v_xor_b32_e32 v2, 0x80000000, v5
	ds_store_b32 v88, v4
.LBB12_41:                              ;   in Loop: Header=BB12_4 Depth=1
	s_or_b32 exec_lo, exec_lo, s62
	s_wait_alu 0xfffe
	s_and_saveexec_b32 s62, s26
; %bb.42:                               ;   in Loop: Header=BB12_4 Depth=1
	ds_store_b32 v3, v2 offset:4
; %bb.43:                               ;   in Loop: Header=BB12_4 Depth=1
	s_wait_alu 0xfffe
	s_or_b32 exec_lo, exec_lo, s62
	s_mov_b32 s26, 0
	s_and_saveexec_b32 s62, s13
	s_wait_alu 0xfffe
	s_xor_b32 s62, exec_lo, s62
; %bb.44:                               ;   in Loop: Header=BB12_4 Depth=1
	s_and_b32 s26, s14, exec_lo
; %bb.45:                               ;   in Loop: Header=BB12_4 Depth=1
	s_wait_alu 0xfffe
	s_or_saveexec_b32 s62, s62
	v_dual_mov_b32 v2, 0 :: v_dual_mov_b32 v3, v85
	s_wait_alu 0xfffe
	s_xor_b32 exec_lo, exec_lo, s62
	s_cbranch_execz .LBB12_47
; %bb.46:                               ;   in Loop: Header=BB12_4 Depth=1
	ds_load_b64 v[4:5], v105 offset:528
	v_mov_b32_e32 v3, v90
	s_or_b32 s26, s26, exec_lo
	s_wait_dscnt 0x0
	v_xor_b32_e32 v2, 0x80000000, v5
	ds_store_b32 v90, v4
.LBB12_47:                              ;   in Loop: Header=BB12_4 Depth=1
	s_or_b32 exec_lo, exec_lo, s62
	s_wait_alu 0xfffe
	s_and_saveexec_b32 s62, s26
; %bb.48:                               ;   in Loop: Header=BB12_4 Depth=1
	ds_store_b32 v3, v2 offset:4
; %bb.49:                               ;   in Loop: Header=BB12_4 Depth=1
	s_wait_alu 0xfffe
	s_or_b32 exec_lo, exec_lo, s62
	s_wait_loadcnt_dscnt 0x0
	s_barrier_signal -1
	s_barrier_wait -1
	global_inv scope:SCOPE_SE
	ds_load_b64 v[14:15], v104
	ds_load_b128 v[2:5], v91
	ds_load_2addr_b64 v[6:9], v105 offset1:33
	ds_load_b128 v[10:13], v91 offset:16
	ds_load_b64 v[18:19], v105 offset:528
	s_wait_loadcnt_dscnt 0x0
	s_barrier_signal -1
	s_barrier_wait -1
	global_inv scope:SCOPE_SE
	v_dual_mov_b32 v43, 0 :: v_dual_mul_f32 v20, v3, v15
	v_dual_mul_f32 v15, v2, v15 :: v_dual_mul_f32 v22, v11, v9
	v_mul_f32_e32 v9, v10, v9
	s_delay_alu instid0(VALU_DEP_3) | instskip(SKIP_1) | instid1(VALU_DEP_4)
	v_fma_f32 v2, v2, v14, -v20
	v_mul_f32_e32 v21, v5, v7
	v_fmac_f32_e32 v15, v3, v14
	s_delay_alu instid0(VALU_DEP_4) | instskip(SKIP_3) | instid1(VALU_DEP_1)
	v_fmac_f32_e32 v9, v11, v8
	v_fma_f32 v10, v10, v8, -v22
	v_dual_add_f32 v2, 0, v2 :: v_dual_mul_f32 v7, v4, v7
	v_fma_f32 v4, v4, v6, -v21
	v_dual_add_f32 v2, v2, v4 :: v_dual_fmac_f32 v7, v5, v6
	v_mul_f32_e32 v6, v12, v19
	v_add_f32_e32 v5, 0, v15
	s_delay_alu instid0(VALU_DEP_3) | instskip(NEXT) | instid1(VALU_DEP_3)
	v_dual_mul_f32 v3, v13, v19 :: v_dual_add_f32 v2, v2, v10
	v_fmac_f32_e32 v6, v13, v18
	s_delay_alu instid0(VALU_DEP_3) | instskip(NEXT) | instid1(VALU_DEP_3)
	v_add_f32_e32 v4, v5, v7
	v_fma_f32 v3, v12, v18, -v3
	s_delay_alu instid0(VALU_DEP_2) | instskip(SKIP_1) | instid1(VALU_DEP_2)
	v_add_f32_e32 v4, v4, v9
	v_mov_b32_e32 v42, 0
	v_dual_add_f32 v2, v2, v3 :: v_dual_add_f32 v3, v4, v6
	ds_store_b64 v92, v[2:3]
	s_wait_loadcnt_dscnt 0x0
	s_barrier_signal -1
	s_barrier_wait -1
	global_inv scope:SCOPE_SE
	s_and_saveexec_b32 s26, s15
	s_cbranch_execz .LBB12_51
; %bb.50:                               ;   in Loop: Header=BB12_4 Depth=1
	ds_load_2addr_b64 v[2:5], v89 offset1:7
	ds_load_2addr_b64 v[6:9], v89 offset0:1 offset1:2
	ds_load_2addr_b64 v[10:13], v89 offset0:3 offset1:4
	;; [unrolled: 1-line block ×3, first 2 shown]
	s_wait_dscnt 0x2
	v_dual_add_f32 v2, v6, v2 :: v_dual_add_f32 v3, v7, v3
	s_delay_alu instid0(VALU_DEP_1) | instskip(SKIP_1) | instid1(VALU_DEP_1)
	v_dual_add_f32 v2, v8, v2 :: v_dual_add_f32 v3, v9, v3
	s_wait_dscnt 0x1
	v_dual_add_f32 v2, v2, v10 :: v_dual_add_f32 v3, v3, v11
	s_delay_alu instid0(VALU_DEP_1) | instskip(SKIP_1) | instid1(VALU_DEP_1)
	v_dual_add_f32 v2, v2, v12 :: v_dual_add_f32 v3, v3, v13
	s_wait_dscnt 0x0
	v_dual_add_f32 v2, v2, v18 :: v_dual_add_f32 v3, v3, v19
	s_delay_alu instid0(VALU_DEP_1) | instskip(NEXT) | instid1(VALU_DEP_1)
	v_dual_add_f32 v2, v2, v20 :: v_dual_add_f32 v3, v3, v21
	v_dual_add_f32 v42, v2, v4 :: v_dual_add_f32 v43, v3, v5
.LBB12_51:                              ;   in Loop: Header=BB12_4 Depth=1
	s_wait_alu 0xfffe
	s_or_b32 exec_lo, exec_lo, s26
	s_lshl_b64 s[62:63], s[46:47], 3
	s_mov_b32 s26, -1
	s_wait_alu 0xfffe
	v_add_co_u32 v0, vcc_lo, v0, s62
	s_wait_alu 0xfffd
	v_add_co_ci_u32_e64 v1, null, s63, v1, vcc_lo
	s_and_not1_b32 vcc_lo, exec_lo, s64
	s_wait_loadcnt 0x0
	s_barrier_signal -1
	s_barrier_wait -1
	global_inv scope:SCOPE_SE
	s_wait_alu 0xfffe
	s_cbranch_vccnz .LBB12_53
; %bb.52:                               ;   in Loop: Header=BB12_4 Depth=1
	v_add_co_u32 v2, vcc_lo, v0, s36
	s_wait_alu 0xfffd
	v_add_co_ci_u32_e64 v3, null, s37, v1, vcc_lo
	s_mov_b32 s26, 0
	v_add_co_u32 v4, vcc_lo, v2, s36
	s_wait_alu 0xfffd
	v_add_co_ci_u32_e64 v5, null, s37, v3, vcc_lo
	s_delay_alu instid0(VALU_DEP_2) | instskip(SKIP_1) | instid1(VALU_DEP_2)
	v_add_co_u32 v6, vcc_lo, v4, s36
	s_wait_alu 0xfffd
	v_add_co_ci_u32_e64 v7, null, s37, v5, vcc_lo
	s_clause 0x3
	global_load_b64 v[8:9], v[0:1], off offset:256
	global_load_b64 v[2:3], v[2:3], off offset:256
	;; [unrolled: 1-line block ×4, first 2 shown]
	s_wait_loadcnt 0x3
	ds_store_b64 v103, v[8:9]
	s_wait_loadcnt 0x2
	ds_store_b64 v103, v[2:3] offset:2112
	s_wait_loadcnt 0x1
	ds_store_b64 v103, v[4:5] offset:4224
	;; [unrolled: 2-line block ×3, first 2 shown]
.LBB12_53:                              ;   in Loop: Header=BB12_4 Depth=1
	v_add_co_u32 v2, vcc_lo, 0x100, v0
	s_wait_alu 0xfffd
	v_add_co_ci_u32_e64 v3, null, 0, v1, vcc_lo
	s_wait_alu 0xfffe
	s_and_not1_b32 vcc_lo, exec_lo, s26
	s_wait_alu 0xfffe
	s_cbranch_vccnz .LBB12_65
; %bb.54:                               ;   in Loop: Header=BB12_4 Depth=1
	s_and_saveexec_b32 s26, s17
	s_wait_alu 0xfffe
	s_xor_b32 s26, exec_lo, s26
; %bb.55:                               ;   in Loop: Header=BB12_4 Depth=1
	v_mov_b32_e32 v32, v33
	ds_store_b64 v103, v[32:33]
; %bb.56:                               ;   in Loop: Header=BB12_4 Depth=1
	s_wait_alu 0xfffe
	s_or_saveexec_b32 s26, s26
	v_add_co_u32 v0, vcc_lo, v0, v34
	s_wait_alu 0xfffd
	v_add_co_ci_u32_e64 v1, null, v1, v35, vcc_lo
	s_lshl_b64 s[62:63], s[30:31], 3
	s_wait_alu 0xfffe
	v_add_co_u32 v0, vcc_lo, v0, s62
	s_wait_alu 0xfffd
	v_add_co_ci_u32_e64 v1, null, s63, v1, vcc_lo
	s_delay_alu instid0(VALU_DEP_2) | instskip(SKIP_1) | instid1(VALU_DEP_2)
	v_add_co_u32 v0, vcc_lo, v0, -8
	s_wait_alu 0xfffd
	v_add_co_ci_u32_e64 v1, null, -1, v1, vcc_lo
	s_delay_alu instid0(VALU_DEP_2) | instskip(NEXT) | instid1(VALU_DEP_2)
	v_cndmask_b32_e64 v0, v0, v2, s16
	v_cndmask_b32_e64 v1, v1, v3, s16
	s_xor_b32 exec_lo, exec_lo, s26
	s_cbranch_execnz .LBB12_124
; %bb.57:                               ;   in Loop: Header=BB12_4 Depth=1
	s_or_b32 exec_lo, exec_lo, s26
	s_and_saveexec_b32 s26, s18
	s_wait_alu 0xfffe
	s_xor_b32 s26, exec_lo, s26
	s_cbranch_execnz .LBB12_125
.LBB12_58:                              ;   in Loop: Header=BB12_4 Depth=1
	s_wait_alu 0xfffe
	s_and_not1_saveexec_b32 s26, s26
	s_cbranch_execnz .LBB12_126
.LBB12_59:                              ;   in Loop: Header=BB12_4 Depth=1
	s_wait_alu 0xfffe
	s_or_b32 exec_lo, exec_lo, s26
	s_and_saveexec_b32 s26, s19
	s_wait_alu 0xfffe
	s_xor_b32 s26, exec_lo, s26
	s_cbranch_execnz .LBB12_127
.LBB12_60:                              ;   in Loop: Header=BB12_4 Depth=1
	s_wait_alu 0xfffe
	s_and_not1_saveexec_b32 s26, s26
	s_cbranch_execnz .LBB12_128
.LBB12_61:                              ;   in Loop: Header=BB12_4 Depth=1
	s_wait_alu 0xfffe
	s_or_b32 exec_lo, exec_lo, s26
	s_and_saveexec_b32 s26, s20
	s_wait_alu 0xfffe
	s_xor_b32 s26, exec_lo, s26
	s_cbranch_execnz .LBB12_129
.LBB12_62:                              ;   in Loop: Header=BB12_4 Depth=1
	s_wait_alu 0xfffe
	s_and_not1_saveexec_b32 s26, s26
	s_cbranch_execz .LBB12_64
.LBB12_63:                              ;   in Loop: Header=BB12_4 Depth=1
	v_add_co_u32 v4, vcc_lo, v0, s44
	s_wait_alu 0xfffd
	v_add_co_ci_u32_e64 v5, null, s45, v1, vcc_lo
	global_load_b64 v[4:5], v[4:5], off
	s_wait_loadcnt 0x0
	ds_store_b64 v103, v[4:5] offset:6336
.LBB12_64:                              ;   in Loop: Header=BB12_4 Depth=1
	s_wait_alu 0xfffe
	s_or_b32 exec_lo, exec_lo, s26
	v_add_co_u32 v0, vcc_lo, v0, v108
	s_wait_alu 0xfffd
	v_add_co_ci_u32_e64 v1, null, 0, v1, vcc_lo
	s_lshl_b64 s[62:63], s[52:53], 3
	s_wait_alu 0xfffe
	v_add_co_u32 v0, vcc_lo, v0, s62
	s_wait_alu 0xfffd
	v_add_co_ci_u32_e64 v1, null, s63, v1, vcc_lo
	s_delay_alu instid0(VALU_DEP_2) | instskip(SKIP_1) | instid1(VALU_DEP_2)
	v_add_co_u32 v0, vcc_lo, 0x108, v0
	s_wait_alu 0xfffd
	v_add_co_ci_u32_e64 v1, null, 0, v1, vcc_lo
	s_delay_alu instid0(VALU_DEP_2) | instskip(NEXT) | instid1(VALU_DEP_2)
	v_cndmask_b32_e64 v2, v0, v2, s16
	v_cndmask_b32_e64 v3, v1, v3, s16
.LBB12_65:                              ;   in Loop: Header=BB12_4 Depth=1
	s_mov_b32 s26, 0
	s_wait_loadcnt_dscnt 0x0
	s_barrier_signal -1
	s_barrier_wait -1
	global_inv scope:SCOPE_SE
	s_and_saveexec_b32 s62, s7
	s_wait_alu 0xfffe
	s_xor_b32 s62, exec_lo, s62
; %bb.66:                               ;   in Loop: Header=BB12_4 Depth=1
	s_and_b32 s26, s8, exec_lo
; %bb.67:                               ;   in Loop: Header=BB12_4 Depth=1
	s_wait_alu 0xfffe
	s_or_saveexec_b32 s62, s62
	v_dual_mov_b32 v0, 0 :: v_dual_mov_b32 v1, v85
	s_wait_alu 0xfffe
	s_xor_b32 exec_lo, exec_lo, s62
	s_cbranch_execz .LBB12_69
; %bb.68:                               ;   in Loop: Header=BB12_4 Depth=1
	ds_load_b64 v[4:5], v104
	v_mov_b32_e32 v1, v86
	s_or_b32 s26, s26, exec_lo
	s_wait_dscnt 0x0
	v_xor_b32_e32 v0, 0x80000000, v5
	ds_store_b32 v86, v4
.LBB12_69:                              ;   in Loop: Header=BB12_4 Depth=1
	s_or_b32 exec_lo, exec_lo, s62
	s_wait_alu 0xfffe
	s_and_saveexec_b32 s62, s26
; %bb.70:                               ;   in Loop: Header=BB12_4 Depth=1
	ds_store_b32 v1, v0 offset:4
; %bb.71:                               ;   in Loop: Header=BB12_4 Depth=1
	s_wait_alu 0xfffe
	s_or_b32 exec_lo, exec_lo, s62
	s_mov_b32 s26, 0
	s_and_saveexec_b32 s62, s9
	s_wait_alu 0xfffe
	s_xor_b32 s62, exec_lo, s62
; %bb.72:                               ;   in Loop: Header=BB12_4 Depth=1
	s_and_b32 s26, s10, exec_lo
; %bb.73:                               ;   in Loop: Header=BB12_4 Depth=1
	s_wait_alu 0xfffe
	s_or_saveexec_b32 s62, s62
	v_dual_mov_b32 v0, 0 :: v_dual_mov_b32 v1, v85
	s_wait_alu 0xfffe
	s_xor_b32 exec_lo, exec_lo, s62
	s_cbranch_execz .LBB12_75
; %bb.74:                               ;   in Loop: Header=BB12_4 Depth=1
	ds_load_b64 v[4:5], v105
	v_mov_b32_e32 v1, v87
	s_or_b32 s26, s26, exec_lo
	s_wait_dscnt 0x0
	v_xor_b32_e32 v0, 0x80000000, v5
	ds_store_b32 v87, v4
.LBB12_75:                              ;   in Loop: Header=BB12_4 Depth=1
	s_or_b32 exec_lo, exec_lo, s62
	s_wait_alu 0xfffe
	s_and_saveexec_b32 s62, s26
; %bb.76:                               ;   in Loop: Header=BB12_4 Depth=1
	ds_store_b32 v1, v0 offset:4
; %bb.77:                               ;   in Loop: Header=BB12_4 Depth=1
	s_wait_alu 0xfffe
	s_or_b32 exec_lo, exec_lo, s62
	s_mov_b32 s26, 0
	s_and_saveexec_b32 s62, s11
	s_wait_alu 0xfffe
	s_xor_b32 s62, exec_lo, s62
; %bb.78:                               ;   in Loop: Header=BB12_4 Depth=1
	s_and_b32 s26, s12, exec_lo
; %bb.79:                               ;   in Loop: Header=BB12_4 Depth=1
	s_wait_alu 0xfffe
	s_or_saveexec_b32 s62, s62
	v_dual_mov_b32 v0, 0 :: v_dual_mov_b32 v1, v85
	s_wait_alu 0xfffe
	s_xor_b32 exec_lo, exec_lo, s62
	s_cbranch_execz .LBB12_81
; %bb.80:                               ;   in Loop: Header=BB12_4 Depth=1
	ds_load_b64 v[4:5], v105 offset:264
	v_mov_b32_e32 v1, v88
	s_or_b32 s26, s26, exec_lo
	s_wait_dscnt 0x0
	v_xor_b32_e32 v0, 0x80000000, v5
	ds_store_b32 v88, v4
.LBB12_81:                              ;   in Loop: Header=BB12_4 Depth=1
	s_or_b32 exec_lo, exec_lo, s62
	s_wait_alu 0xfffe
	s_and_saveexec_b32 s62, s26
; %bb.82:                               ;   in Loop: Header=BB12_4 Depth=1
	ds_store_b32 v1, v0 offset:4
; %bb.83:                               ;   in Loop: Header=BB12_4 Depth=1
	s_wait_alu 0xfffe
	s_or_b32 exec_lo, exec_lo, s62
	s_mov_b32 s26, 0
	s_and_saveexec_b32 s62, s13
	s_wait_alu 0xfffe
	s_xor_b32 s62, exec_lo, s62
; %bb.84:                               ;   in Loop: Header=BB12_4 Depth=1
	s_and_b32 s26, s14, exec_lo
; %bb.85:                               ;   in Loop: Header=BB12_4 Depth=1
	s_wait_alu 0xfffe
	s_or_saveexec_b32 s62, s62
	v_dual_mov_b32 v0, 0 :: v_dual_mov_b32 v1, v85
	s_wait_alu 0xfffe
	s_xor_b32 exec_lo, exec_lo, s62
	s_cbranch_execz .LBB12_87
; %bb.86:                               ;   in Loop: Header=BB12_4 Depth=1
	ds_load_b64 v[4:5], v105 offset:528
	v_mov_b32_e32 v1, v90
	s_or_b32 s26, s26, exec_lo
	s_wait_dscnt 0x0
	v_xor_b32_e32 v0, 0x80000000, v5
	ds_store_b32 v90, v4
.LBB12_87:                              ;   in Loop: Header=BB12_4 Depth=1
	s_or_b32 exec_lo, exec_lo, s62
	s_wait_alu 0xfffe
	s_and_saveexec_b32 s62, s26
; %bb.88:                               ;   in Loop: Header=BB12_4 Depth=1
	ds_store_b32 v1, v0 offset:4
; %bb.89:                               ;   in Loop: Header=BB12_4 Depth=1
	s_wait_alu 0xfffe
	s_or_b32 exec_lo, exec_lo, s62
	s_wait_loadcnt_dscnt 0x0
	s_barrier_signal -1
	s_barrier_wait -1
	global_inv scope:SCOPE_SE
	ds_load_b64 v[0:1], v104
	ds_load_b128 v[4:7], v91 offset:256
	ds_load_2addr_b64 v[8:11], v105 offset1:33
	ds_load_b128 v[12:15], v91 offset:272
	ds_load_b64 v[18:19], v105 offset:528
	s_wait_loadcnt_dscnt 0x0
	s_barrier_signal -1
	s_barrier_wait -1
	global_inv scope:SCOPE_SE
	v_mul_f32_e32 v20, v5, v1
	v_dual_mul_f32 v1, v4, v1 :: v_dual_mul_f32 v22, v13, v11
	v_mul_f32_e32 v11, v12, v11
	s_delay_alu instid0(VALU_DEP_3) | instskip(SKIP_3) | instid1(VALU_DEP_4)
	v_fma_f32 v4, v4, v0, -v20
	v_mul_f32_e32 v21, v7, v9
	v_mul_f32_e32 v9, v6, v9
	v_dual_fmac_f32 v1, v5, v0 :: v_dual_mul_f32 v0, v15, v19
	v_add_f32_e32 v4, 0, v4
	s_delay_alu instid0(VALU_DEP_4) | instskip(NEXT) | instid1(VALU_DEP_4)
	v_fma_f32 v5, v6, v8, -v21
	v_dual_fmac_f32 v9, v7, v8 :: v_dual_mul_f32 v6, v14, v19
	s_delay_alu instid0(VALU_DEP_4) | instskip(SKIP_1) | instid1(VALU_DEP_4)
	v_add_f32_e32 v1, 0, v1
	v_fma_f32 v7, v12, v10, -v22
	v_dual_add_f32 v4, v4, v5 :: v_dual_fmac_f32 v11, v13, v10
	v_fma_f32 v0, v14, v18, -v0
	v_fmac_f32_e32 v6, v15, v18
	s_delay_alu instid0(VALU_DEP_3) | instskip(NEXT) | instid1(VALU_DEP_1)
	v_dual_add_f32 v4, v4, v7 :: v_dual_add_f32 v1, v1, v9
	v_dual_add_f32 v0, v4, v0 :: v_dual_add_f32 v1, v1, v11
	s_delay_alu instid0(VALU_DEP_1)
	v_add_f32_e32 v1, v1, v6
	ds_store_b64 v92, v[0:1]
	s_wait_loadcnt_dscnt 0x0
	s_barrier_signal -1
	s_barrier_wait -1
	global_inv scope:SCOPE_SE
	s_and_saveexec_b32 s26, s21
	s_cbranch_execz .LBB12_91
; %bb.90:                               ;   in Loop: Header=BB12_4 Depth=1
	ds_load_2addr_b64 v[4:7], v89 offset1:7
	ds_load_2addr_b64 v[8:11], v89 offset0:1 offset1:2
	ds_load_2addr_b64 v[12:15], v89 offset0:3 offset1:4
	ds_load_2addr_b64 v[18:21], v89 offset0:5 offset1:6
	s_wait_dscnt 0x2
	v_dual_add_f32 v0, v8, v4 :: v_dual_add_f32 v1, v9, v5
	s_delay_alu instid0(VALU_DEP_1) | instskip(SKIP_1) | instid1(VALU_DEP_1)
	v_dual_add_f32 v0, v10, v0 :: v_dual_add_f32 v1, v11, v1
	s_wait_dscnt 0x1
	v_dual_add_f32 v0, v0, v12 :: v_dual_add_f32 v1, v1, v13
	s_delay_alu instid0(VALU_DEP_1) | instskip(SKIP_1) | instid1(VALU_DEP_1)
	v_dual_add_f32 v0, v0, v14 :: v_dual_add_f32 v1, v1, v15
	s_wait_dscnt 0x0
	v_dual_add_f32 v0, v0, v18 :: v_dual_add_f32 v1, v1, v19
	s_delay_alu instid0(VALU_DEP_1) | instskip(NEXT) | instid1(VALU_DEP_1)
	v_dual_add_f32 v0, v0, v20 :: v_dual_add_f32 v1, v1, v21
	v_dual_add_f32 v42, v0, v6 :: v_dual_add_f32 v43, v1, v7
.LBB12_91:                              ;   in Loop: Header=BB12_4 Depth=1
	s_wait_alu 0xfffe
	s_or_b32 exec_lo, exec_lo, s26
	v_add_co_u32 v18, vcc_lo, v2, s56
	s_wait_alu 0xfffd
	v_add_co_ci_u32_e64 v19, null, s57, v3, vcc_lo
	s_and_not1_b32 vcc_lo, exec_lo, s64
	s_mov_b32 s26, -1
	s_wait_loadcnt 0x0
	s_barrier_signal -1
	s_barrier_wait -1
	global_inv scope:SCOPE_SE
	s_wait_alu 0xfffe
	s_cbranch_vccnz .LBB12_93
; %bb.92:                               ;   in Loop: Header=BB12_4 Depth=1
	v_add_co_u32 v0, vcc_lo, v18, s36
	s_wait_alu 0xfffd
	v_add_co_ci_u32_e64 v1, null, s37, v19, vcc_lo
	s_mov_b32 s26, 0
	v_add_co_u32 v2, vcc_lo, v0, s36
	s_wait_alu 0xfffd
	v_add_co_ci_u32_e64 v3, null, s37, v1, vcc_lo
	s_delay_alu instid0(VALU_DEP_2) | instskip(SKIP_1) | instid1(VALU_DEP_2)
	v_add_co_u32 v4, vcc_lo, v2, s36
	s_wait_alu 0xfffd
	v_add_co_ci_u32_e64 v5, null, s37, v3, vcc_lo
	s_clause 0x3
	global_load_b64 v[6:7], v[18:19], off
	global_load_b64 v[0:1], v[0:1], off
	global_load_b64 v[2:3], v[2:3], off
	global_load_b64 v[4:5], v[4:5], off
	s_wait_loadcnt 0x3
	ds_store_b64 v103, v[6:7]
	s_wait_loadcnt 0x2
	ds_store_b64 v103, v[0:1] offset:2112
	s_wait_loadcnt 0x1
	ds_store_b64 v103, v[2:3] offset:4224
	;; [unrolled: 2-line block ×3, first 2 shown]
.LBB12_93:                              ;   in Loop: Header=BB12_4 Depth=1
	s_wait_alu 0xfffe
	s_and_not1_b32 vcc_lo, exec_lo, s26
	s_wait_alu 0xfffe
	s_cbranch_vccnz .LBB12_105
; %bb.94:                               ;   in Loop: Header=BB12_4 Depth=1
	s_and_saveexec_b32 s26, s3
	s_wait_alu 0xfffe
	s_xor_b32 s26, exec_lo, s26
; %bb.95:                               ;   in Loop: Header=BB12_4 Depth=1
	v_mov_b32_e32 v32, v33
	ds_store_b64 v103, v[32:33]
; %bb.96:                               ;   in Loop: Header=BB12_4 Depth=1
	s_wait_alu 0xfffe
	s_or_saveexec_b32 s26, s26
	v_add_co_u32 v0, vcc_lo, v18, v34
	s_wait_alu 0xfffd
	v_add_co_ci_u32_e64 v1, null, v19, v35, vcc_lo
	s_lshl_b64 s[62:63], s[30:31], 3
	s_wait_alu 0xfffe
	v_add_co_u32 v0, vcc_lo, v0, s62
	s_wait_alu 0xfffd
	v_add_co_ci_u32_e64 v1, null, s63, v1, vcc_lo
	s_delay_alu instid0(VALU_DEP_2) | instskip(SKIP_1) | instid1(VALU_DEP_2)
	v_add_co_u32 v0, vcc_lo, 0xfffffef8, v0
	s_wait_alu 0xfffd
	v_add_co_ci_u32_e64 v1, null, -1, v1, vcc_lo
	s_delay_alu instid0(VALU_DEP_2) | instskip(NEXT) | instid1(VALU_DEP_2)
	v_cndmask_b32_e64 v0, v0, v18, s16
	v_cndmask_b32_e64 v1, v1, v19, s16
	s_xor_b32 exec_lo, exec_lo, s26
	s_cbranch_execnz .LBB12_130
; %bb.97:                               ;   in Loop: Header=BB12_4 Depth=1
	s_or_b32 exec_lo, exec_lo, s26
	s_and_saveexec_b32 s26, s4
	s_wait_alu 0xfffe
	s_xor_b32 s26, exec_lo, s26
	s_cbranch_execnz .LBB12_131
.LBB12_98:                              ;   in Loop: Header=BB12_4 Depth=1
	s_wait_alu 0xfffe
	s_and_not1_saveexec_b32 s26, s26
	s_cbranch_execnz .LBB12_132
.LBB12_99:                              ;   in Loop: Header=BB12_4 Depth=1
	s_wait_alu 0xfffe
	s_or_b32 exec_lo, exec_lo, s26
	s_and_saveexec_b32 s26, s5
	s_wait_alu 0xfffe
	s_xor_b32 s26, exec_lo, s26
	s_cbranch_execnz .LBB12_133
.LBB12_100:                             ;   in Loop: Header=BB12_4 Depth=1
	s_wait_alu 0xfffe
	s_and_not1_saveexec_b32 s26, s26
	s_cbranch_execnz .LBB12_134
.LBB12_101:                             ;   in Loop: Header=BB12_4 Depth=1
	s_wait_alu 0xfffe
	s_or_b32 exec_lo, exec_lo, s26
	s_and_saveexec_b32 s26, s6
	s_wait_alu 0xfffe
	s_xor_b32 s26, exec_lo, s26
	s_cbranch_execnz .LBB12_135
.LBB12_102:                             ;   in Loop: Header=BB12_4 Depth=1
	s_wait_alu 0xfffe
	s_and_not1_saveexec_b32 s26, s26
	s_cbranch_execz .LBB12_104
.LBB12_103:                             ;   in Loop: Header=BB12_4 Depth=1
	v_add_co_u32 v2, vcc_lo, v0, s44
	s_wait_alu 0xfffd
	v_add_co_ci_u32_e64 v3, null, s45, v1, vcc_lo
	global_load_b64 v[2:3], v[2:3], off
	s_wait_loadcnt 0x0
	ds_store_b64 v103, v[2:3] offset:6336
.LBB12_104:                             ;   in Loop: Header=BB12_4 Depth=1
	s_wait_alu 0xfffe
	s_or_b32 exec_lo, exec_lo, s26
	v_add_co_u32 v0, vcc_lo, v0, v108
	s_wait_alu 0xfffd
	v_add_co_ci_u32_e64 v1, null, 0, v1, vcc_lo
	s_lshl_b64 s[62:63], s[52:53], 3
	s_wait_alu 0xfffe
	v_add_co_u32 v0, vcc_lo, v0, s62
	s_wait_alu 0xfffd
	v_add_co_ci_u32_e64 v1, null, s63, v1, vcc_lo
	s_delay_alu instid0(VALU_DEP_2) | instskip(SKIP_1) | instid1(VALU_DEP_2)
	v_add_co_u32 v0, vcc_lo, 0x108, v0
	s_wait_alu 0xfffd
	v_add_co_ci_u32_e64 v1, null, 0, v1, vcc_lo
	s_delay_alu instid0(VALU_DEP_2) | instskip(NEXT) | instid1(VALU_DEP_2)
	v_cndmask_b32_e64 v18, v0, v18, s16
	v_cndmask_b32_e64 v19, v1, v19, s16
.LBB12_105:                             ;   in Loop: Header=BB12_4 Depth=1
	s_wait_loadcnt_dscnt 0x0
	s_barrier_signal -1
	s_barrier_wait -1
	global_inv scope:SCOPE_SE
	ds_load_b64 v[24:25], v106
	ds_load_b64 v[26:27], v103
	ds_load_b64 v[28:29], v103 offset:2112
	ds_load_2addr_b64 v[20:23], v101 offset0:8 offset1:16
	ds_load_b64 v[30:31], v103 offset:6336
	ds_load_b64 v[44:45], v103 offset:4224
	;; [unrolled: 1-line block ×3, first 2 shown]
	ds_load_b128 v[8:11], v91 offset:256
	ds_load_b128 v[0:3], v91 offset:272
	ds_load_2addr_b64 v[12:15], v93 offset1:1
	ds_load_2addr_b64 v[4:7], v93 offset0:2 offset1:3
	s_wait_loadcnt_dscnt 0x0
	s_barrier_signal -1
	s_barrier_wait -1
	global_inv scope:SCOPE_SE
	v_mul_f32_e32 v32, v25, v27
	v_dual_mul_f32 v27, v24, v27 :: v_dual_mul_f32 v48, v21, v29
	v_mul_f32_e32 v29, v20, v29
	v_mul_f32_e32 v49, v23, v45
	;; [unrolled: 1-line block ×3, first 2 shown]
	v_fma_f32 v24, v24, v26, -v32
	v_dual_fmac_f32 v27, v25, v26 :: v_dual_mul_f32 v26, v46, v31
	v_mul_f32_e32 v25, v22, v45
	v_fma_f32 v20, v20, v28, -v48
	v_fmac_f32_e32 v29, v21, v28
	v_fma_f32 v22, v22, v44, -v49
	v_dual_add_f32 v21, 0, v24 :: v_dual_add_f32 v24, 0, v27
	v_fmac_f32_e32 v26, v47, v30
	s_delay_alu instid0(VALU_DEP_2) | instskip(NEXT) | instid1(VALU_DEP_1)
	v_dual_add_f32 v20, v21, v20 :: v_dual_add_f32 v21, v24, v29
	v_dual_add_f32 v20, v20, v22 :: v_dual_fmac_f32 v25, v23, v44
	v_fma_f32 v23, v46, v30, -v50
	s_delay_alu instid0(VALU_DEP_1) | instskip(NEXT) | instid1(VALU_DEP_1)
	v_dual_add_f32 v20, v20, v23 :: v_dual_add_f32 v21, v21, v25
	v_add_f32_e32 v21, v21, v26
	ds_store_b64 v92, v[20:21]
	s_wait_loadcnt_dscnt 0x0
	s_barrier_signal -1
	s_barrier_wait -1
	global_inv scope:SCOPE_SE
	s_and_saveexec_b32 s26, s21
	s_cbranch_execz .LBB12_107
; %bb.106:                              ;   in Loop: Header=BB12_4 Depth=1
	ds_load_2addr_b64 v[20:23], v89 offset1:1
	ds_load_2addr_b64 v[24:27], v89 offset0:2 offset1:3
	ds_load_2addr_b64 v[28:31], v89 offset0:4 offset1:5
	s_wait_dscnt 0x2
	v_dual_add_f32 v20, v42, v20 :: v_dual_add_f32 v21, v43, v21
	s_delay_alu instid0(VALU_DEP_1) | instskip(NEXT) | instid1(VALU_DEP_2)
	v_add_f32_e32 v42, v21, v23
	v_add_f32_e32 v32, v20, v22
	ds_load_2addr_b64 v[20:23], v89 offset0:6 offset1:7
	s_wait_dscnt 0x2
	v_dual_add_f32 v25, v42, v25 :: v_dual_add_f32 v24, v32, v24
	s_delay_alu instid0(VALU_DEP_1) | instskip(SKIP_1) | instid1(VALU_DEP_1)
	v_dual_add_f32 v25, v25, v27 :: v_dual_add_f32 v24, v24, v26
	s_wait_dscnt 0x1
	v_dual_add_f32 v25, v25, v29 :: v_dual_add_f32 v24, v24, v28
	s_delay_alu instid0(VALU_DEP_1) | instskip(SKIP_1) | instid1(VALU_DEP_1)
	v_dual_add_f32 v25, v25, v31 :: v_dual_add_f32 v24, v24, v30
	s_wait_dscnt 0x0
	v_dual_add_f32 v21, v25, v21 :: v_dual_add_f32 v20, v24, v20
	s_delay_alu instid0(VALU_DEP_1)
	v_dual_add_f32 v43, v21, v23 :: v_dual_add_f32 v42, v20, v22
.LBB12_107:                             ;   in Loop: Header=BB12_4 Depth=1
	s_wait_alu 0xfffe
	s_or_b32 exec_lo, exec_lo, s26
	v_dual_mul_f32 v20, v13, v9 :: v_dual_mul_f32 v21, v15, v11
	v_dual_mul_f32 v15, v15, v10 :: v_dual_mul_f32 v22, v5, v1
	s_wait_loadcnt 0x0
	s_delay_alu instid0(VALU_DEP_2) | instskip(NEXT) | instid1(VALU_DEP_2)
	v_dual_fmac_f32 v20, v12, v8 :: v_dual_fmac_f32 v21, v14, v10
	v_fma_f32 v11, v14, v11, -v15
	v_mul_f32_e32 v5, v5, v0
	v_fmac_f32_e32 v22, v4, v0
	s_delay_alu instid0(VALU_DEP_4)
	v_add_f32_e32 v10, 0, v20
	v_mul_f32_e32 v13, v13, v8
	s_barrier_signal -1
	v_fma_f32 v1, v4, v1, -v5
	s_barrier_wait -1
	v_add_f32_e32 v0, v10, v21
	v_fma_f32 v8, v12, v9, -v13
	v_mul_f32_e32 v9, v7, v3
	global_inv scope:SCOPE_SE
	v_dual_mul_f32 v7, v7, v2 :: v_dual_add_f32 v8, 0, v8
	v_fmac_f32_e32 v9, v6, v2
	v_add_f32_e32 v0, v0, v22
	s_delay_alu instid0(VALU_DEP_3) | instskip(NEXT) | instid1(VALU_DEP_4)
	v_fma_f32 v2, v6, v3, -v7
	v_add_f32_e32 v4, v8, v11
	s_delay_alu instid0(VALU_DEP_1) | instskip(NEXT) | instid1(VALU_DEP_1)
	v_add_f32_e32 v1, v4, v1
	v_dual_add_f32 v0, v0, v9 :: v_dual_add_f32 v1, v1, v2
	ds_store_b64 v92, v[0:1]
	s_wait_loadcnt_dscnt 0x0
	s_barrier_signal -1
	s_barrier_wait -1
	global_inv scope:SCOPE_SE
	s_and_saveexec_b32 s26, s15
	s_cbranch_execz .LBB12_109
; %bb.108:                              ;   in Loop: Header=BB12_4 Depth=1
	ds_load_2addr_b64 v[0:3], v89 offset1:1
	ds_load_2addr_b64 v[4:7], v89 offset0:2 offset1:3
	ds_load_2addr_b64 v[8:11], v89 offset0:4 offset1:5
	s_wait_dscnt 0x2
	v_dual_add_f32 v0, v42, v0 :: v_dual_add_f32 v1, v43, v1
	s_delay_alu instid0(VALU_DEP_1) | instskip(SKIP_3) | instid1(VALU_DEP_1)
	v_dual_add_f32 v12, v0, v2 :: v_dual_add_f32 v13, v1, v3
	ds_load_2addr_b64 v[0:3], v89 offset0:6 offset1:7
	s_wait_dscnt 0x2
	v_dual_add_f32 v4, v12, v4 :: v_dual_add_f32 v5, v13, v5
	v_dual_add_f32 v4, v4, v6 :: v_dual_add_f32 v5, v5, v7
	s_wait_dscnt 0x1
	s_delay_alu instid0(VALU_DEP_1) | instskip(NEXT) | instid1(VALU_DEP_1)
	v_dual_add_f32 v4, v4, v8 :: v_dual_add_f32 v5, v5, v9
	v_dual_add_f32 v4, v4, v10 :: v_dual_add_f32 v5, v5, v11
	s_wait_dscnt 0x0
	s_delay_alu instid0(VALU_DEP_1) | instskip(NEXT) | instid1(VALU_DEP_1)
	v_dual_add_f32 v0, v4, v0 :: v_dual_add_f32 v1, v5, v1
	v_dual_add_f32 v42, v0, v2 :: v_dual_add_f32 v43, v1, v3
.LBB12_109:                             ;   in Loop: Header=BB12_4 Depth=1
	s_wait_alu 0xfffe
	s_or_b32 exec_lo, exec_lo, s26
	s_mul_u64 s[62:63], s[28:29], s[24:25]
	s_and_not1_b32 vcc_lo, exec_lo, s23
	s_wait_alu 0xfffe
	s_lshl_b64 s[62:63], s[62:63], 3
	s_wait_loadcnt 0x0
	s_wait_alu 0xfffe
	s_add_nc_u64 s[62:63], s[34:35], s[62:63]
	s_barrier_signal -1
	s_barrier_wait -1
	global_inv scope:SCOPE_SE
	s_cbranch_vccnz .LBB12_116
; %bb.110:                              ;   in Loop: Header=BB12_4 Depth=1
	v_add_co_u32 v0, vcc_lo, v18, s60
	s_wait_alu 0xfffd
	v_add_co_ci_u32_e64 v1, null, s61, v19, vcc_lo
	v_lshlrev_b32_e32 v2, 3, v78
	s_delay_alu instid0(VALU_DEP_3) | instskip(SKIP_1) | instid1(VALU_DEP_3)
	v_add_co_u32 v0, vcc_lo, v0, v36
	s_wait_alu 0xfffd
	v_add_co_ci_u32_e64 v1, null, v1, v37, vcc_lo
	s_lshl_b64 s[68:69], s[30:31], 3
	v_add_co_u32 v0, vcc_lo, v0, v38
	s_wait_alu 0xfffd
	v_add_co_ci_u32_e64 v1, null, v1, v39, vcc_lo
	s_mov_b32 s25, ttmp9
	s_wait_alu 0xfffe
	v_add_co_u32 v3, vcc_lo, v0, s68
	s_wait_alu 0xfffd
	v_add_co_ci_u32_e64 v4, null, s69, v1, vcc_lo
	v_add_co_u32 v0, vcc_lo, v0, v2
	s_wait_alu 0xfffd
	v_add_co_ci_u32_e64 v1, null, 0, v1, vcc_lo
	v_add_co_u32 v2, vcc_lo, 0xfffffef8, v3
	s_wait_alu 0xfffd
	v_add_co_ci_u32_e64 v3, null, -1, v4, vcc_lo
	v_add_co_u32 v0, vcc_lo, 0xffffff00, v0
	s_wait_alu 0xfffd
	v_add_co_ci_u32_e64 v1, null, -1, v1, vcc_lo
	v_add_co_u32 v109, vcc_lo, v16, s58
	s_wait_alu 0xfffd
	v_add_co_ci_u32_e64 v110, null, s59, v17, vcc_lo
	s_delay_alu instid0(VALU_DEP_3)
	v_cndmask_b32_e64 v1, v1, v3, s1
	v_cndmask_b32_e64 v0, v0, v2, s1
	s_mov_b32 s26, 0
	s_branch .LBB12_112
.LBB12_111:                             ;   in Loop: Header=BB12_112 Depth=2
	s_or_b32 exec_lo, exec_lo, s67
	v_mul_f32_e32 v32, v45, v1
	v_dual_mul_f32 v111, v49, v3 :: v_dual_mul_f32 v112, v51, v5
	v_mul_f32_e32 v3, v48, v3
	v_mul_f32_e32 v1, v44, v1
	s_delay_alu instid0(VALU_DEP_4)
	v_fma_f32 v32, v44, v0, -v32
	v_mul_f32_e32 v44, v47, v7
	v_fma_f32 v48, v48, v2, -v111
	v_fmac_f32_e32 v3, v49, v2
	v_mul_f32_e32 v7, v46, v7
	v_add_f32_e32 v32, v42, v32
	v_fma_f32 v2, v46, v6, -v44
	v_fmac_f32_e32 v1, v45, v0
	v_fma_f32 v0, v50, v4, -v112
	v_mul_f32_e32 v45, v57, v15
	v_dual_mul_f32 v5, v50, v5 :: v_dual_add_f32 v32, v32, v48
	v_mul_f32_e32 v42, v59, v13
	v_mul_f32_e32 v13, v58, v13
	;; [unrolled: 1-line block ×3, first 2 shown]
	s_wait_alu 0xfffe
	s_add_co_i32 s25, s25, -1
	v_add_f32_e32 v0, v32, v0
	s_add_co_i32 s26, s26, 64
	v_fmac_f32_e32 v13, v59, v12
	s_wait_alu 0xfffe
	s_cmp_eq_u32 s25, 0
	s_wait_loadcnt 0x0
	s_wait_storecnt 0x0
	v_dual_add_f32 v0, v0, v2 :: v_dual_add_f32 v1, v43, v1
	v_mul_f32_e32 v2, v55, v9
	s_barrier_signal -1
	s_barrier_wait -1
	global_inv scope:SCOPE_SE
	v_fma_f32 v2, v54, v8, -v2
	v_fmac_f32_e32 v5, v51, v4
	v_fma_f32 v4, v56, v14, -v45
	v_add_f32_e32 v1, v1, v3
	v_fma_f32 v3, v58, v12, -v42
	s_delay_alu instid0(VALU_DEP_1) | instskip(NEXT) | instid1(VALU_DEP_1)
	v_add_f32_e32 v0, v0, v3
	v_dual_mul_f32 v3, v53, v11 :: v_dual_add_f32 v0, v0, v4
	v_dual_mul_f32 v4, v54, v9 :: v_dual_fmac_f32 v15, v57, v14
	s_delay_alu instid0(VALU_DEP_2) | instskip(SKIP_1) | instid1(VALU_DEP_4)
	v_add_f32_e32 v0, v0, v2
	v_mul_f32_e32 v2, v67, v17
	v_fma_f32 v3, v52, v10, -v3
	v_fmac_f32_e32 v7, v47, v6
	v_dual_add_f32 v1, v1, v5 :: v_dual_fmac_f32 v4, v55, v8
	s_delay_alu instid0(VALU_DEP_4) | instskip(NEXT) | instid1(VALU_DEP_4)
	v_fma_f32 v2, v66, v16, -v2
	v_add_f32_e32 v0, v0, v3
	v_mul_f32_e32 v3, v65, v19
	s_delay_alu instid0(VALU_DEP_4)
	v_add_f32_e32 v1, v1, v7
	v_mul_f32_e32 v5, v52, v11
	v_mul_f32_e32 v6, v70, v31
	v_add_f32_e32 v0, v0, v2
	v_fma_f32 v2, v64, v18, -v3
	v_mul_f32_e32 v3, v63, v21
	v_add_f32_e32 v1, v1, v13
	v_fmac_f32_e32 v5, v53, v10
	v_fmac_f32_e32 v6, v71, v30
	v_add_f32_e32 v0, v0, v2
	v_fma_f32 v2, v62, v20, -v3
	v_mul_f32_e32 v3, v61, v23
	s_delay_alu instid0(VALU_DEP_2) | instskip(NEXT) | instid1(VALU_DEP_2)
	v_dual_add_f32 v1, v1, v15 :: v_dual_add_f32 v0, v0, v2
	v_fma_f32 v2, v60, v22, -v3
	v_mul_f32_e32 v3, v77, v25
	s_delay_alu instid0(VALU_DEP_3) | instskip(NEXT) | instid1(VALU_DEP_3)
	v_dual_add_f32 v1, v1, v4 :: v_dual_mul_f32 v4, v66, v17
	v_add_f32_e32 v0, v0, v2
	s_delay_alu instid0(VALU_DEP_3) | instskip(SKIP_1) | instid1(VALU_DEP_4)
	v_fma_f32 v2, v76, v24, -v3
	v_mul_f32_e32 v3, v75, v27
	v_fmac_f32_e32 v4, v67, v16
	s_delay_alu instid0(VALU_DEP_3) | instskip(NEXT) | instid1(VALU_DEP_3)
	v_add_f32_e32 v0, v0, v2
	v_fma_f32 v2, v74, v26, -v3
	v_add_f32_e32 v1, v1, v5
	v_mul_f32_e32 v5, v64, v19
	s_delay_alu instid0(VALU_DEP_3) | instskip(NEXT) | instid1(VALU_DEP_3)
	v_dual_mul_f32 v3, v74, v27 :: v_dual_add_f32 v0, v0, v2
	v_add_f32_e32 v1, v1, v4
	s_delay_alu instid0(VALU_DEP_3) | instskip(NEXT) | instid1(VALU_DEP_3)
	v_dual_fmac_f32 v5, v65, v18 :: v_dual_mul_f32 v4, v62, v21
	v_dual_mul_f32 v2, v72, v29 :: v_dual_fmac_f32 v3, v75, v26
	s_delay_alu instid0(VALU_DEP_2) | instskip(NEXT) | instid1(VALU_DEP_2)
	v_dual_add_f32 v1, v1, v5 :: v_dual_fmac_f32 v4, v63, v20
	v_dual_mul_f32 v5, v60, v23 :: v_dual_fmac_f32 v2, v73, v28
	s_delay_alu instid0(VALU_DEP_2) | instskip(NEXT) | instid1(VALU_DEP_2)
	v_add_f32_e32 v1, v1, v4
	v_dual_fmac_f32 v5, v61, v22 :: v_dual_mul_f32 v4, v76, v25
	s_delay_alu instid0(VALU_DEP_1) | instskip(NEXT) | instid1(VALU_DEP_2)
	v_add_f32_e32 v1, v1, v5
	v_fmac_f32_e32 v4, v77, v24
	v_mul_f32_e32 v5, v73, v29
	s_delay_alu instid0(VALU_DEP_2) | instskip(NEXT) | instid1(VALU_DEP_2)
	v_add_f32_e32 v1, v1, v4
	v_fma_f32 v4, v72, v28, -v5
	v_mul_f32_e32 v5, v71, v31
	s_delay_alu instid0(VALU_DEP_2) | instskip(NEXT) | instid1(VALU_DEP_2)
	v_dual_add_f32 v1, v1, v3 :: v_dual_add_f32 v0, v0, v4
	v_fma_f32 v3, v70, v30, -v5
	s_delay_alu instid0(VALU_DEP_1) | instskip(SKIP_1) | instid1(VALU_DEP_2)
	v_dual_add_f32 v1, v1, v2 :: v_dual_add_f32 v42, v0, v3
	v_add_co_u32 v0, vcc_lo, v68, s40
	v_add_f32_e32 v43, v1, v6
	s_wait_alu 0xfffd
	v_add_co_ci_u32_e64 v1, null, s41, v69, vcc_lo
	s_cbranch_scc1 .LBB12_116
.LBB12_112:                             ;   Parent Loop BB12_4 Depth=1
                                        ; =>  This Inner Loop Header: Depth=2
	s_and_saveexec_b32 s67, s0
	s_cbranch_execz .LBB12_114
; %bb.113:                              ;   in Loop: Header=BB12_112 Depth=2
	s_wait_alu 0xfffe
	s_mul_u64 s[68:69], s[48:49], s[26:27]
	s_wait_alu 0xfffe
	s_lshl_b64 s[68:69], s[68:69], 3
	s_wait_alu 0xfffe
	v_add_co_u32 v2, vcc_lo, v109, s68
	s_wait_alu 0xfffd
	v_add_co_ci_u32_e64 v3, null, s69, v110, vcc_lo
	global_load_b64 v[2:3], v[2:3], off
	s_wait_loadcnt 0x0
	ds_store_b64 v94, v[2:3]
.LBB12_114:                             ;   in Loop: Header=BB12_112 Depth=2
	s_or_b32 exec_lo, exec_lo, s67
	v_add_co_u32 v2, vcc_lo, v0, s54
	s_wait_alu 0xfffd
	v_add_co_ci_u32_e64 v3, null, s55, v1, vcc_lo
	s_wait_loadcnt_dscnt 0x0
	s_barrier_signal -1
	s_barrier_wait -1
	global_inv scope:SCOPE_SE
	s_clause 0x1
	global_load_b64 v[44:45], v[0:1], off
	global_load_b64 v[48:49], v[2:3], off
	v_add_co_u32 v0, vcc_lo, v2, s54
	s_wait_alu 0xfffd
	v_add_co_ci_u32_e64 v1, null, s55, v3, vcc_lo
	s_delay_alu instid0(VALU_DEP_2) | instskip(SKIP_1) | instid1(VALU_DEP_2)
	v_add_co_u32 v8, vcc_lo, v0, s54
	s_wait_alu 0xfffd
	v_add_co_ci_u32_e64 v9, null, s55, v1, vcc_lo
	s_clause 0x1
	global_load_b64 v[50:51], v[0:1], off
	global_load_b64 v[46:47], v[8:9], off
	ds_load_b64 v[10:11], v80
	ds_load_b128 v[0:3], v95
	ds_load_b128 v[4:7], v95 offset:16
	v_add_co_u32 v8, vcc_lo, v8, s40
	s_wait_alu 0xfffd
	v_add_co_ci_u32_e64 v9, null, s41, v9, vcc_lo
	s_delay_alu instid0(VALU_DEP_2) | instskip(SKIP_1) | instid1(VALU_DEP_2)
	v_add_co_u32 v16, vcc_lo, v8, s54
	s_wait_alu 0xfffd
	v_add_co_ci_u32_e64 v17, null, s55, v9, vcc_lo
	s_wait_loadcnt_dscnt 0x302
	v_mul_f32_e32 v12, v45, v11
	v_mul_f32_e32 v13, v45, v10
	s_wait_loadcnt 0x2
	v_mul_f32_e32 v14, v49, v11
	s_wait_loadcnt 0x1
	v_dual_mul_f32 v15, v49, v10 :: v_dual_mul_f32 v18, v51, v11
	s_wait_loadcnt 0x0
	v_mul_f32_e32 v20, v47, v11
	v_mul_f32_e32 v19, v51, v10
	;; [unrolled: 1-line block ×3, first 2 shown]
	v_fmac_f32_e32 v12, v44, v10
	v_fma_f32 v13, v44, v11, -v13
	v_fmac_f32_e32 v14, v48, v10
	v_fma_f32 v15, v48, v11, -v15
	v_fmac_f32_e32 v18, v50, v10
	v_fmac_f32_e32 v20, v46, v10
	v_add_co_u32 v10, vcc_lo, v16, s54
	v_fma_f32 v19, v50, v11, -v19
	v_fma_f32 v21, v46, v11, -v21
	s_wait_alu 0xfffd
	v_add_co_ci_u32_e64 v11, null, s55, v17, vcc_lo
	ds_store_2addr_b64 v96, v[12:13], v[14:15] offset1:67
	ds_store_2addr_b64 v96, v[18:19], v[20:21] offset0:134 offset1:201
	s_wait_dscnt 0x0
	s_barrier_signal -1
	s_barrier_wait -1
	global_inv scope:SCOPE_SE
	ds_load_2addr_b64 v[111:114], v97 offset1:1
	ds_load_2addr_b64 v[115:118], v97 offset0:2 offset1:3
	s_wait_loadcnt_dscnt 0x0
	s_barrier_signal -1
	s_barrier_wait -1
	global_inv scope:SCOPE_SE
	global_load_b64 v[58:59], v[8:9], off
	v_add_co_u32 v8, vcc_lo, v10, s54
	s_wait_alu 0xfffd
	v_add_co_ci_u32_e64 v9, null, s55, v11, vcc_lo
	s_clause 0x2
	global_load_b64 v[56:57], v[16:17], off
	global_load_b64 v[54:55], v[10:11], off
	global_load_b64 v[52:53], v[8:9], off
	ds_load_b64 v[10:11], v80
	ds_load_b128 v[12:15], v95 offset:128
	v_add_co_u32 v16, vcc_lo, v8, s40
	s_wait_alu 0xfffd
	v_add_co_ci_u32_e64 v17, null, s41, v9, vcc_lo
	s_delay_alu instid0(VALU_DEP_2) | instskip(SKIP_1) | instid1(VALU_DEP_2)
	v_add_co_u32 v18, vcc_lo, v16, s54
	s_wait_alu 0xfffd
	v_add_co_ci_u32_e64 v19, null, s55, v17, vcc_lo
	s_delay_alu instid0(VALU_DEP_2) | instskip(SKIP_1) | instid1(VALU_DEP_2)
	v_add_co_u32 v28, vcc_lo, v18, s54
	s_wait_alu 0xfffd
	v_add_co_ci_u32_e64 v29, null, s55, v19, vcc_lo
	s_wait_loadcnt_dscnt 0x301
	v_mul_f32_e32 v20, v59, v11
	v_mul_f32_e32 v8, v59, v10
	s_wait_loadcnt 0x1
	v_dual_mul_f32 v22, v57, v11 :: v_dual_mul_f32 v25, v55, v10
	v_dual_mul_f32 v9, v57, v10 :: v_dual_mul_f32 v24, v55, v11
	s_wait_loadcnt 0x0
	v_mul_f32_e32 v27, v53, v10
	v_mul_f32_e32 v26, v53, v11
	v_fmac_f32_e32 v20, v58, v10
	v_fma_f32 v21, v58, v11, -v8
	v_fmac_f32_e32 v22, v56, v10
	v_fma_f32 v23, v56, v11, -v9
	v_fmac_f32_e32 v24, v54, v10
	v_fma_f32 v25, v54, v11, -v25
	v_fmac_f32_e32 v26, v52, v10
	v_fma_f32 v27, v52, v11, -v27
	ds_load_b128 v[8:11], v95 offset:144
	ds_store_2addr_b64 v96, v[20:21], v[22:23] offset1:67
	ds_store_2addr_b64 v96, v[24:25], v[26:27] offset0:134 offset1:201
	s_wait_dscnt 0x0
	s_barrier_signal -1
	s_barrier_wait -1
	global_inv scope:SCOPE_SE
	ds_load_2addr_b64 v[119:122], v97 offset1:1
	ds_load_2addr_b64 v[123:126], v97 offset0:2 offset1:3
	s_wait_loadcnt_dscnt 0x0
	s_barrier_signal -1
	s_barrier_wait -1
	global_inv scope:SCOPE_SE
	global_load_b64 v[66:67], v[16:17], off
	v_add_co_u32 v16, vcc_lo, v28, s54
	s_wait_alu 0xfffd
	v_add_co_ci_u32_e64 v17, null, s55, v29, vcc_lo
	s_clause 0x1
	global_load_b64 v[64:65], v[18:19], off
	global_load_b64 v[62:63], v[28:29], off
	;; [unrolled: 1-line block ×3, first 2 shown]
	ds_load_b64 v[20:21], v80
	v_add_co_u32 v24, vcc_lo, v16, s40
	s_wait_alu 0xfffd
	v_add_co_ci_u32_e64 v25, null, s41, v17, vcc_lo
	ds_load_b128 v[16:19], v95 offset:256
	v_add_co_u32 v26, vcc_lo, v24, s54
	s_wait_alu 0xfffd
	v_add_co_ci_u32_e64 v27, null, s55, v25, vcc_lo
	v_add_f32_e32 v120, 0, v120
	s_delay_alu instid0(VALU_DEP_3) | instskip(SKIP_1) | instid1(VALU_DEP_3)
	v_add_co_u32 v72, vcc_lo, v26, s54
	s_wait_alu 0xfffd
	v_add_co_ci_u32_e64 v73, null, s55, v27, vcc_lo
	v_add_f32_e32 v119, 0, v119
	s_delay_alu instid0(VALU_DEP_1)
	v_add_f32_e32 v119, v119, v121
	s_wait_loadcnt_dscnt 0x301
	v_mul_f32_e32 v28, v67, v21
	v_mul_f32_e32 v22, v67, v20
	s_wait_loadcnt 0x2
	v_mul_f32_e32 v30, v65, v21
	s_wait_loadcnt 0x1
	v_dual_mul_f32 v23, v65, v20 :: v_dual_mul_f32 v68, v63, v21
	v_mul_f32_e32 v32, v63, v20
	s_wait_loadcnt 0x0
	v_mul_f32_e32 v70, v61, v21
	v_mul_f32_e32 v71, v61, v20
	v_fmac_f32_e32 v28, v66, v20
	v_fma_f32 v29, v66, v21, -v22
	v_fmac_f32_e32 v30, v64, v20
	v_fma_f32 v31, v64, v21, -v23
	;; [unrolled: 2-line block ×4, first 2 shown]
	ds_load_b128 v[20:23], v95 offset:272
	ds_store_2addr_b64 v96, v[28:29], v[30:31] offset1:67
	ds_store_2addr_b64 v96, v[68:69], v[70:71] offset0:134 offset1:201
	v_add_co_u32 v68, vcc_lo, v72, s54
	s_wait_alu 0xfffd
	v_add_co_ci_u32_e64 v69, null, s55, v73, vcc_lo
	s_wait_dscnt 0x0
	s_barrier_signal -1
	s_barrier_wait -1
	global_inv scope:SCOPE_SE
	ds_load_2addr_b64 v[127:130], v97 offset1:1
	ds_load_2addr_b64 v[131:134], v97 offset0:2 offset1:3
	s_wait_loadcnt_dscnt 0x0
	s_barrier_signal -1
	s_barrier_wait -1
	global_inv scope:SCOPE_SE
	global_load_b64 v[76:77], v[24:25], off
	global_load_b64 v[74:75], v[26:27], off
	;; [unrolled: 1-line block ×4, first 2 shown]
	ds_load_b64 v[28:29], v80
	ds_load_b128 v[24:27], v95 offset:384
	s_wait_loadcnt_dscnt 0x201
	v_mul_f32_e32 v31, v75, v28
	s_wait_loadcnt 0x1
	v_mul_f32_e32 v32, v73, v28
	v_mul_f32_e32 v135, v77, v29
	;; [unrolled: 1-line block ×4, first 2 shown]
	s_wait_loadcnt 0x0
	v_mul_f32_e32 v141, v71, v29
	v_fma_f32 v140, v72, v29, -v32
	v_dual_add_f32 v32, 0, v111 :: v_dual_add_f32 v111, 0, v112
	v_mul_f32_e32 v142, v71, v28
	v_fma_f32 v138, v74, v29, -v31
	v_fmac_f32_e32 v135, v76, v28
	s_delay_alu instid0(VALU_DEP_4) | instskip(SKIP_2) | instid1(VALU_DEP_3)
	v_dual_add_f32 v32, v32, v113 :: v_dual_add_f32 v111, v111, v114
	v_fmac_f32_e32 v137, v74, v28
	v_fmac_f32_e32 v139, v72, v28
	v_dual_fmac_f32 v141, v70, v28 :: v_dual_add_f32 v32, v32, v115
	s_delay_alu instid0(VALU_DEP_4) | instskip(SKIP_1) | instid1(VALU_DEP_3)
	v_add_f32_e32 v116, v111, v116
	v_fma_f32 v142, v70, v29, -v142
	v_add_f32_e32 v115, v32, v117
	s_delay_alu instid0(VALU_DEP_3) | instskip(SKIP_2) | instid1(VALU_DEP_2)
	v_add_f32_e32 v116, v116, v118
	v_add_f32_e32 v118, 0, v127
	v_dual_add_f32 v32, v120, v122 :: v_dual_add_f32 v117, v119, v123
	v_dual_add_f32 v119, 0, v128 :: v_dual_add_f32 v118, v118, v129
	s_delay_alu instid0(VALU_DEP_2) | instskip(NEXT) | instid1(VALU_DEP_2)
	v_dual_add_f32 v32, v32, v124 :: v_dual_add_f32 v117, v117, v125
	v_dual_add_f32 v119, v119, v130 :: v_dual_add_f32 v122, v118, v131
	v_mul_f32_e32 v30, v77, v28
	s_delay_alu instid0(VALU_DEP_2) | instskip(NEXT) | instid1(VALU_DEP_2)
	v_dual_add_f32 v118, v32, v126 :: v_dual_add_f32 v119, v119, v132
	v_fma_f32 v136, v76, v29, -v30
	ds_load_b128 v[28:31], v95 offset:400
	ds_store_2addr_b64 v96, v[135:136], v[137:138] offset1:67
	ds_store_2addr_b64 v96, v[139:140], v[141:142] offset0:134 offset1:201
	s_wait_dscnt 0x0
	s_barrier_signal -1
	s_barrier_wait -1
	global_inv scope:SCOPE_SE
	ds_load_2addr_b64 v[135:138], v97 offset1:1
	ds_load_2addr_b64 v[111:114], v97 offset0:2 offset1:3
	s_wait_loadcnt_dscnt 0x0
	s_barrier_signal -1
	s_barrier_wait -1
	global_inv scope:SCOPE_SE
	v_dual_add_f32 v120, 0, v135 :: v_dual_add_f32 v121, 0, v136
	s_delay_alu instid0(VALU_DEP_1) | instskip(NEXT) | instid1(VALU_DEP_1)
	v_dual_add_f32 v120, v120, v137 :: v_dual_add_f32 v121, v121, v138
	v_add_f32_e32 v32, v120, v111
	s_delay_alu instid0(VALU_DEP_2) | instskip(NEXT) | instid1(VALU_DEP_2)
	v_dual_add_f32 v120, v121, v112 :: v_dual_add_f32 v111, v122, v133
	v_dual_add_f32 v112, v119, v134 :: v_dual_add_f32 v113, v32, v113
	s_delay_alu instid0(VALU_DEP_2)
	v_add_f32_e32 v114, v120, v114
	ds_store_2addr_b64 v107, v[115:116], v[117:118] offset1:16
	ds_store_2addr_b64 v107, v[111:112], v[113:114] offset0:32 offset1:48
	s_wait_loadcnt_dscnt 0x0
	s_barrier_signal -1
	s_barrier_wait -1
	global_inv scope:SCOPE_SE
	s_and_saveexec_b32 s67, s22
	s_cbranch_execz .LBB12_111
; %bb.115:                              ;   in Loop: Header=BB12_112 Depth=2
	ds_load_b64 v[123:124], v98
	ds_load_2addr_b64 v[111:114], v98 offset0:1 offset1:2
	ds_load_2addr_b64 v[115:118], v98 offset0:3 offset1:4
	;; [unrolled: 1-line block ×3, first 2 shown]
	s_wait_dscnt 0x2
	v_dual_add_f32 v32, v111, v123 :: v_dual_add_f32 v111, v112, v124
	s_delay_alu instid0(VALU_DEP_1) | instskip(SKIP_3) | instid1(VALU_DEP_1)
	v_dual_add_f32 v32, v113, v32 :: v_dual_add_f32 v123, v114, v111
	ds_load_2addr_b64 v[111:114], v98 offset0:7 offset1:8
	s_wait_dscnt 0x2
	v_dual_add_f32 v32, v32, v115 :: v_dual_add_f32 v115, v123, v116
	v_dual_add_f32 v32, v32, v117 :: v_dual_add_f32 v123, v115, v118
	ds_load_2addr_b64 v[115:118], v98 offset0:9 offset1:10
	s_wait_dscnt 0x2
	v_dual_add_f32 v32, v32, v119 :: v_dual_add_f32 v119, v123, v120
	s_delay_alu instid0(VALU_DEP_1) | instskip(SKIP_3) | instid1(VALU_DEP_1)
	v_dual_add_f32 v32, v32, v121 :: v_dual_add_f32 v123, v119, v122
	ds_load_2addr_b64 v[119:122], v98 offset0:11 offset1:12
	s_wait_dscnt 0x2
	v_dual_add_f32 v32, v32, v111 :: v_dual_add_f32 v111, v123, v112
	v_dual_add_f32 v32, v32, v113 :: v_dual_add_f32 v123, v111, v114
	ds_load_2addr_b64 v[111:114], v98 offset0:13 offset1:14
	s_wait_dscnt 0x2
	v_dual_add_f32 v32, v32, v115 :: v_dual_add_f32 v115, v123, v116
	s_delay_alu instid0(VALU_DEP_1) | instskip(SKIP_3) | instid1(VALU_DEP_1)
	v_dual_add_f32 v32, v32, v117 :: v_dual_add_f32 v117, v115, v118
	ds_load_b64 v[115:116], v99
	s_wait_dscnt 0x2
	v_dual_add_f32 v32, v32, v119 :: v_dual_add_f32 v117, v117, v120
	v_dual_add_f32 v32, v32, v121 :: v_dual_add_f32 v117, v117, v122
	s_wait_dscnt 0x1
	s_delay_alu instid0(VALU_DEP_1) | instskip(SKIP_1) | instid1(VALU_DEP_1)
	v_dual_add_f32 v111, v32, v111 :: v_dual_add_f32 v112, v117, v112
	s_wait_alu 0xfffe
	v_dual_add_f32 v113, v111, v113 :: v_dual_add_nc_u32 v32, s26, v78
	s_delay_alu instid0(VALU_DEP_2) | instskip(NEXT) | instid1(VALU_DEP_2)
	v_add_f32_e32 v114, v112, v114
	v_lshlrev_b64_e32 v[111:112], 3, v[32:33]
	s_wait_dscnt 0x0
	s_delay_alu instid0(VALU_DEP_2) | instskip(NEXT) | instid1(VALU_DEP_2)
	v_dual_add_f32 v113, v113, v115 :: v_dual_add_f32 v114, v114, v116
	v_add_co_u32 v111, vcc_lo, s62, v111
	s_wait_alu 0xfffd
	s_delay_alu instid0(VALU_DEP_3)
	v_add_co_ci_u32_e64 v112, null, s63, v112, vcc_lo
	global_store_b64 v[111:112], v[113:114], off
	s_branch .LBB12_111
.LBB12_116:                             ;   in Loop: Header=BB12_4 Depth=1
	ds_store_b64 v100, v[42:43]
	s_wait_loadcnt_dscnt 0x0
	s_barrier_signal -1
	s_barrier_wait -1
	global_inv scope:SCOPE_SE
	s_and_saveexec_b32 s25, s65
	s_cbranch_execz .LBB12_2
; %bb.117:                              ;   in Loop: Header=BB12_4 Depth=1
	ds_load_2addr_b64 v[0:3], v79 offset1:67
	ds_load_2addr_b64 v[4:7], v79 offset0:134 offset1:201
	s_wait_dscnt 0x1
	v_dual_add_f32 v0, v2, v0 :: v_dual_add_f32 v1, v3, v1
	s_wait_alu 0xfffe
	v_add_co_u32 v2, vcc_lo, s62, v40
	s_wait_alu 0xfffd
	v_add_co_ci_u32_e64 v3, null, s63, v41, vcc_lo
	s_wait_dscnt 0x0
	v_dual_add_f32 v0, v4, v0 :: v_dual_add_f32 v1, v5, v1
	s_delay_alu instid0(VALU_DEP_1)
	v_dual_add_f32 v0, v0, v6 :: v_dual_add_f32 v1, v1, v7
	global_store_b64 v[2:3], v[0:1], off
	s_branch .LBB12_2
.LBB12_118:                             ;   in Loop: Header=BB12_4 Depth=1
	global_load_b64 v[4:5], v[2:3], off
	s_wait_loadcnt 0x0
	ds_store_b64 v103, v[4:5]
	s_or_b32 exec_lo, exec_lo, s26
	s_and_saveexec_b32 s26, s4
	s_wait_alu 0xfffe
	s_xor_b32 s26, exec_lo, s26
	s_cbranch_execz .LBB12_18
.LBB12_119:                             ;   in Loop: Header=BB12_4 Depth=1
	v_mov_b32_e32 v32, v33
	ds_store_b64 v103, v[32:33] offset:2112
	s_wait_alu 0xfffe
	s_and_not1_saveexec_b32 s26, s26
	s_cbranch_execz .LBB12_19
.LBB12_120:                             ;   in Loop: Header=BB12_4 Depth=1
	v_add_co_u32 v4, vcc_lo, v2, s36
	s_wait_alu 0xfffd
	v_add_co_ci_u32_e64 v5, null, s37, v3, vcc_lo
	global_load_b64 v[4:5], v[4:5], off
	s_wait_loadcnt 0x0
	ds_store_b64 v103, v[4:5] offset:2112
	s_wait_alu 0xfffe
	s_or_b32 exec_lo, exec_lo, s26
	s_and_saveexec_b32 s26, s5
	s_wait_alu 0xfffe
	s_xor_b32 s26, exec_lo, s26
	s_cbranch_execz .LBB12_20
.LBB12_121:                             ;   in Loop: Header=BB12_4 Depth=1
	v_mov_b32_e32 v32, v33
	ds_store_b64 v103, v[32:33] offset:4224
	s_wait_alu 0xfffe
	s_and_not1_saveexec_b32 s26, s26
	s_cbranch_execz .LBB12_21
.LBB12_122:                             ;   in Loop: Header=BB12_4 Depth=1
	v_add_co_u32 v4, vcc_lo, v2, s38
	s_wait_alu 0xfffd
	v_add_co_ci_u32_e64 v5, null, s39, v3, vcc_lo
	global_load_b64 v[4:5], v[4:5], off
	s_wait_loadcnt 0x0
	ds_store_b64 v103, v[4:5] offset:4224
	s_wait_alu 0xfffe
	s_or_b32 exec_lo, exec_lo, s26
	s_and_saveexec_b32 s26, s6
	s_wait_alu 0xfffe
	s_xor_b32 s26, exec_lo, s26
	s_cbranch_execz .LBB12_22
.LBB12_123:                             ;   in Loop: Header=BB12_4 Depth=1
	v_mov_b32_e32 v32, v33
	ds_store_b64 v103, v[32:33] offset:6336
	s_wait_alu 0xfffe
	s_and_not1_saveexec_b32 s26, s26
	s_cbranch_execnz .LBB12_23
	s_branch .LBB12_24
.LBB12_124:                             ;   in Loop: Header=BB12_4 Depth=1
	global_load_b64 v[4:5], v[0:1], off
	s_wait_loadcnt 0x0
	ds_store_b64 v103, v[4:5]
	s_or_b32 exec_lo, exec_lo, s26
	s_and_saveexec_b32 s26, s18
	s_wait_alu 0xfffe
	s_xor_b32 s26, exec_lo, s26
	s_cbranch_execz .LBB12_58
.LBB12_125:                             ;   in Loop: Header=BB12_4 Depth=1
	v_mov_b32_e32 v32, v33
	ds_store_b64 v103, v[32:33] offset:2112
	s_wait_alu 0xfffe
	s_and_not1_saveexec_b32 s26, s26
	s_cbranch_execz .LBB12_59
.LBB12_126:                             ;   in Loop: Header=BB12_4 Depth=1
	v_add_co_u32 v4, vcc_lo, v0, s36
	s_wait_alu 0xfffd
	v_add_co_ci_u32_e64 v5, null, s37, v1, vcc_lo
	global_load_b64 v[4:5], v[4:5], off
	s_wait_loadcnt 0x0
	ds_store_b64 v103, v[4:5] offset:2112
	s_wait_alu 0xfffe
	s_or_b32 exec_lo, exec_lo, s26
	s_and_saveexec_b32 s26, s19
	s_wait_alu 0xfffe
	s_xor_b32 s26, exec_lo, s26
	s_cbranch_execz .LBB12_60
.LBB12_127:                             ;   in Loop: Header=BB12_4 Depth=1
	v_mov_b32_e32 v32, v33
	ds_store_b64 v103, v[32:33] offset:4224
	s_wait_alu 0xfffe
	s_and_not1_saveexec_b32 s26, s26
	s_cbranch_execz .LBB12_61
.LBB12_128:                             ;   in Loop: Header=BB12_4 Depth=1
	v_add_co_u32 v4, vcc_lo, v0, s38
	s_wait_alu 0xfffd
	v_add_co_ci_u32_e64 v5, null, s39, v1, vcc_lo
	global_load_b64 v[4:5], v[4:5], off
	s_wait_loadcnt 0x0
	ds_store_b64 v103, v[4:5] offset:4224
	s_wait_alu 0xfffe
	s_or_b32 exec_lo, exec_lo, s26
	s_and_saveexec_b32 s26, s20
	s_wait_alu 0xfffe
	s_xor_b32 s26, exec_lo, s26
	s_cbranch_execz .LBB12_62
.LBB12_129:                             ;   in Loop: Header=BB12_4 Depth=1
	v_mov_b32_e32 v32, v33
	ds_store_b64 v103, v[32:33] offset:6336
	s_wait_alu 0xfffe
	s_and_not1_saveexec_b32 s26, s26
	s_cbranch_execnz .LBB12_63
	s_branch .LBB12_64
.LBB12_130:                             ;   in Loop: Header=BB12_4 Depth=1
	global_load_b64 v[2:3], v[0:1], off
	s_wait_loadcnt 0x0
	ds_store_b64 v103, v[2:3]
	s_or_b32 exec_lo, exec_lo, s26
	s_and_saveexec_b32 s26, s4
	s_wait_alu 0xfffe
	s_xor_b32 s26, exec_lo, s26
	s_cbranch_execz .LBB12_98
.LBB12_131:                             ;   in Loop: Header=BB12_4 Depth=1
	v_mov_b32_e32 v32, v33
	ds_store_b64 v103, v[32:33] offset:2112
	s_wait_alu 0xfffe
	s_and_not1_saveexec_b32 s26, s26
	s_cbranch_execz .LBB12_99
.LBB12_132:                             ;   in Loop: Header=BB12_4 Depth=1
	v_add_co_u32 v2, vcc_lo, v0, s36
	s_wait_alu 0xfffd
	v_add_co_ci_u32_e64 v3, null, s37, v1, vcc_lo
	global_load_b64 v[2:3], v[2:3], off
	s_wait_loadcnt 0x0
	ds_store_b64 v103, v[2:3] offset:2112
	s_wait_alu 0xfffe
	s_or_b32 exec_lo, exec_lo, s26
	s_and_saveexec_b32 s26, s5
	s_wait_alu 0xfffe
	s_xor_b32 s26, exec_lo, s26
	s_cbranch_execz .LBB12_100
.LBB12_133:                             ;   in Loop: Header=BB12_4 Depth=1
	v_mov_b32_e32 v32, v33
	ds_store_b64 v103, v[32:33] offset:4224
	s_wait_alu 0xfffe
	s_and_not1_saveexec_b32 s26, s26
	s_cbranch_execz .LBB12_101
.LBB12_134:                             ;   in Loop: Header=BB12_4 Depth=1
	v_add_co_u32 v2, vcc_lo, v0, s38
	s_wait_alu 0xfffd
	v_add_co_ci_u32_e64 v3, null, s39, v1, vcc_lo
	global_load_b64 v[2:3], v[2:3], off
	s_wait_loadcnt 0x0
	ds_store_b64 v103, v[2:3] offset:4224
	s_wait_alu 0xfffe
	s_or_b32 exec_lo, exec_lo, s26
	s_and_saveexec_b32 s26, s6
	s_wait_alu 0xfffe
	s_xor_b32 s26, exec_lo, s26
	s_cbranch_execz .LBB12_102
.LBB12_135:                             ;   in Loop: Header=BB12_4 Depth=1
	v_mov_b32_e32 v32, v33
	ds_store_b64 v103, v[32:33] offset:6336
	s_wait_alu 0xfffe
	s_and_not1_saveexec_b32 s26, s26
	s_cbranch_execnz .LBB12_103
	s_branch .LBB12_104
.LBB12_136:
	s_nop 0
	s_sendmsg sendmsg(MSG_DEALLOC_VGPRS)
	s_endpgm
	.section	.rodata,"a",@progbits
	.p2align	6, 0x0
	.amdhsa_kernel _ZL26rocblas_hemvn_kernel_lowerILb1ELi64ELi4ELi33ELi32ELi16El19rocblas_complex_numIfEPKS1_PS1_EviT6_lT7_lT5_lS6_lS7_lS5_lT8_i
		.amdhsa_group_segment_fixed_size 9600
		.amdhsa_private_segment_fixed_size 0
		.amdhsa_kernarg_size 376
		.amdhsa_user_sgpr_count 2
		.amdhsa_user_sgpr_dispatch_ptr 0
		.amdhsa_user_sgpr_queue_ptr 0
		.amdhsa_user_sgpr_kernarg_segment_ptr 1
		.amdhsa_user_sgpr_dispatch_id 0
		.amdhsa_user_sgpr_private_segment_size 0
		.amdhsa_wavefront_size32 1
		.amdhsa_uses_dynamic_stack 0
		.amdhsa_enable_private_segment 0
		.amdhsa_system_sgpr_workgroup_id_x 1
		.amdhsa_system_sgpr_workgroup_id_y 0
		.amdhsa_system_sgpr_workgroup_id_z 1
		.amdhsa_system_sgpr_workgroup_info 0
		.amdhsa_system_vgpr_workitem_id 1
		.amdhsa_next_free_vgpr 143
		.amdhsa_next_free_sgpr 70
		.amdhsa_reserve_vcc 1
		.amdhsa_float_round_mode_32 0
		.amdhsa_float_round_mode_16_64 0
		.amdhsa_float_denorm_mode_32 3
		.amdhsa_float_denorm_mode_16_64 3
		.amdhsa_fp16_overflow 0
		.amdhsa_workgroup_processor_mode 1
		.amdhsa_memory_ordered 1
		.amdhsa_forward_progress 1
		.amdhsa_inst_pref_size 74
		.amdhsa_round_robin_scheduling 0
		.amdhsa_exception_fp_ieee_invalid_op 0
		.amdhsa_exception_fp_denorm_src 0
		.amdhsa_exception_fp_ieee_div_zero 0
		.amdhsa_exception_fp_ieee_overflow 0
		.amdhsa_exception_fp_ieee_underflow 0
		.amdhsa_exception_fp_ieee_inexact 0
		.amdhsa_exception_int_div_zero 0
	.end_amdhsa_kernel
	.section	.text._ZL26rocblas_hemvn_kernel_lowerILb1ELi64ELi4ELi33ELi32ELi16El19rocblas_complex_numIfEPKS1_PS1_EviT6_lT7_lT5_lS6_lS7_lS5_lT8_i,"axG",@progbits,_ZL26rocblas_hemvn_kernel_lowerILb1ELi64ELi4ELi33ELi32ELi16El19rocblas_complex_numIfEPKS1_PS1_EviT6_lT7_lT5_lS6_lS7_lS5_lT8_i,comdat
.Lfunc_end12:
	.size	_ZL26rocblas_hemvn_kernel_lowerILb1ELi64ELi4ELi33ELi32ELi16El19rocblas_complex_numIfEPKS1_PS1_EviT6_lT7_lT5_lS6_lS7_lS5_lT8_i, .Lfunc_end12-_ZL26rocblas_hemvn_kernel_lowerILb1ELi64ELi4ELi33ELi32ELi16El19rocblas_complex_numIfEPKS1_PS1_EviT6_lT7_lT5_lS6_lS7_lS5_lT8_i
                                        ; -- End function
	.set _ZL26rocblas_hemvn_kernel_lowerILb1ELi64ELi4ELi33ELi32ELi16El19rocblas_complex_numIfEPKS1_PS1_EviT6_lT7_lT5_lS6_lS7_lS5_lT8_i.num_vgpr, 143
	.set _ZL26rocblas_hemvn_kernel_lowerILb1ELi64ELi4ELi33ELi32ELi16El19rocblas_complex_numIfEPKS1_PS1_EviT6_lT7_lT5_lS6_lS7_lS5_lT8_i.num_agpr, 0
	.set _ZL26rocblas_hemvn_kernel_lowerILb1ELi64ELi4ELi33ELi32ELi16El19rocblas_complex_numIfEPKS1_PS1_EviT6_lT7_lT5_lS6_lS7_lS5_lT8_i.numbered_sgpr, 70
	.set _ZL26rocblas_hemvn_kernel_lowerILb1ELi64ELi4ELi33ELi32ELi16El19rocblas_complex_numIfEPKS1_PS1_EviT6_lT7_lT5_lS6_lS7_lS5_lT8_i.num_named_barrier, 0
	.set _ZL26rocblas_hemvn_kernel_lowerILb1ELi64ELi4ELi33ELi32ELi16El19rocblas_complex_numIfEPKS1_PS1_EviT6_lT7_lT5_lS6_lS7_lS5_lT8_i.private_seg_size, 0
	.set _ZL26rocblas_hemvn_kernel_lowerILb1ELi64ELi4ELi33ELi32ELi16El19rocblas_complex_numIfEPKS1_PS1_EviT6_lT7_lT5_lS6_lS7_lS5_lT8_i.uses_vcc, 1
	.set _ZL26rocblas_hemvn_kernel_lowerILb1ELi64ELi4ELi33ELi32ELi16El19rocblas_complex_numIfEPKS1_PS1_EviT6_lT7_lT5_lS6_lS7_lS5_lT8_i.uses_flat_scratch, 0
	.set _ZL26rocblas_hemvn_kernel_lowerILb1ELi64ELi4ELi33ELi32ELi16El19rocblas_complex_numIfEPKS1_PS1_EviT6_lT7_lT5_lS6_lS7_lS5_lT8_i.has_dyn_sized_stack, 0
	.set _ZL26rocblas_hemvn_kernel_lowerILb1ELi64ELi4ELi33ELi32ELi16El19rocblas_complex_numIfEPKS1_PS1_EviT6_lT7_lT5_lS6_lS7_lS5_lT8_i.has_recursion, 0
	.set _ZL26rocblas_hemvn_kernel_lowerILb1ELi64ELi4ELi33ELi32ELi16El19rocblas_complex_numIfEPKS1_PS1_EviT6_lT7_lT5_lS6_lS7_lS5_lT8_i.has_indirect_call, 0
	.section	.AMDGPU.csdata,"",@progbits
; Kernel info:
; codeLenInByte = 9416
; TotalNumSgprs: 72
; NumVgprs: 143
; ScratchSize: 0
; MemoryBound: 1
; FloatMode: 240
; IeeeMode: 1
; LDSByteSize: 9600 bytes/workgroup (compile time only)
; SGPRBlocks: 0
; VGPRBlocks: 17
; NumSGPRsForWavesPerEU: 72
; NumVGPRsForWavesPerEU: 143
; Occupancy: 10
; WaveLimiterHint : 1
; COMPUTE_PGM_RSRC2:SCRATCH_EN: 0
; COMPUTE_PGM_RSRC2:USER_SGPR: 2
; COMPUTE_PGM_RSRC2:TRAP_HANDLER: 0
; COMPUTE_PGM_RSRC2:TGID_X_EN: 1
; COMPUTE_PGM_RSRC2:TGID_Y_EN: 0
; COMPUTE_PGM_RSRC2:TGID_Z_EN: 1
; COMPUTE_PGM_RSRC2:TIDIG_COMP_CNT: 1
	.section	.text._ZL36rocblas_hemvn_kernel_lower_block_sumILi64El19rocblas_complex_numIfEPS1_S1_EviT1_lS3_lT2_lT0_lPT3_i,"axG",@progbits,_ZL36rocblas_hemvn_kernel_lower_block_sumILi64El19rocblas_complex_numIfEPS1_S1_EviT1_lS3_lT2_lT0_lPT3_i,comdat
	.globl	_ZL36rocblas_hemvn_kernel_lower_block_sumILi64El19rocblas_complex_numIfEPS1_S1_EviT1_lS3_lT2_lT0_lPT3_i ; -- Begin function _ZL36rocblas_hemvn_kernel_lower_block_sumILi64El19rocblas_complex_numIfEPS1_S1_EviT1_lS3_lT2_lT0_lPT3_i
	.p2align	8
	.type	_ZL36rocblas_hemvn_kernel_lower_block_sumILi64El19rocblas_complex_numIfEPS1_S1_EviT1_lS3_lT2_lT0_lPT3_i,@function
_ZL36rocblas_hemvn_kernel_lower_block_sumILi64El19rocblas_complex_numIfEPS1_S1_EviT1_lS3_lT2_lT0_lPT3_i: ; @_ZL36rocblas_hemvn_kernel_lower_block_sumILi64El19rocblas_complex_numIfEPS1_S1_EviT1_lS3_lT2_lT0_lPT3_i
; %bb.0:
	s_load_b32 s20, s[0:1], 0x50
	s_lshr_b32 s2, ttmp7, 16
	s_wait_kmcnt 0x0
	s_cmp_ge_u32 s2, s20
	s_cbranch_scc1 .LBB13_21
; %bb.1:
	s_clause 0x4
	s_load_b64 s[12:13], s[0:1], 0x4
	s_load_b256 s[4:11], s[0:1], 0x30
	s_load_b64 s[14:15], s[0:1], 0x18
	s_load_b32 s18, s[0:1], 0x0
	s_load_b64 s[22:23], s[0:1], 0x28
	s_wait_kmcnt 0x0
	s_or_b32 s3, s12, s13
	s_lshl_b64 s[16:17], s[4:5], 3
	s_bitset0_b32 s3, 31
	s_add_nc_u64 s[4:5], s[0:1], 0x58
	s_cmp_eq_u32 s3, 0
	s_add_nc_u64 s[16:17], s[22:23], s[16:17]
	s_cselect_b32 s21, -1, 0
	s_cmp_lg_u32 s3, 0
	s_mov_b32 s3, 0
	s_cselect_b32 s19, -1, 0
	s_cmp_neq_f32 s14, 1.0
	s_cselect_b32 s24, -1, 0
	s_cmp_neq_f32 s15, 0
	s_cselect_b32 s25, -1, 0
	s_lshl_b32 s26, ttmp9, 6
	s_cmp_neq_f32 s14, 0
	v_or_b32_e32 v0, s26, v0
	s_cselect_b32 s22, -1, 0
	s_ashr_i32 s1, s26, 31
	s_delay_alu instid0(VALU_DEP_1)
	v_mad_co_u64_u32 v[1:2], null, s18, ttmp9, v[0:1]
	v_mul_lo_u32 v5, s7, v0
	v_mad_co_u64_u32 v[3:4], null, s6, v0, 0
	v_cmp_gt_i32_e64 s0, s18, v0
	s_mul_i32 s6, s6, s1
	s_or_b32 s7, s24, s25
	v_ashrrev_i32_e32 v2, 31, v1
	s_wait_alu 0xfffe
	s_or_b32 s1, s7, s19
	s_ashr_i32 s19, s18, 31
	v_add3_u32 v4, v4, s6, v5
	s_or_b32 s6, s22, s25
	v_lshlrev_b64_e32 v[0:1], 3, v[1:2]
	s_wait_alu 0xfffe
	v_cndmask_b32_e64 v6, 0, 1, s6
	s_xor_b32 s22, s6, -1
	s_lshl_b64 s[6:7], s[18:19], 3
	s_delay_alu instid0(VALU_DEP_2) | instskip(NEXT) | instid1(VALU_DEP_1)
	v_add_co_u32 v2, vcc_lo, s10, v0
	v_add_co_ci_u32_e64 v5, null, s11, v1, vcc_lo
	v_lshlrev_b64_e32 v[0:1], 3, v[3:4]
	s_delay_alu instid0(VALU_DEP_3) | instskip(SKIP_1) | instid1(VALU_DEP_3)
	v_add_co_u32 v2, vcc_lo, v2, 4
	s_wait_alu 0xfffd
	v_add_co_ci_u32_e64 v3, null, 0, v5, vcc_lo
	s_branch .LBB13_5
.LBB13_2:                               ;   in Loop: Header=BB13_5 Depth=1
	v_add_co_u32 v7, vcc_lo, s10, v0
	s_wait_alu 0xfffd
	v_add_co_ci_u32_e64 v8, null, s11, v1, vcc_lo
	global_store_b64 v[7:8], v[4:5], off
.LBB13_3:                               ;   in Loop: Header=BB13_5 Depth=1
	s_or_b32 exec_lo, exec_lo, s23
.LBB13_4:                               ;   in Loop: Header=BB13_5 Depth=1
	s_add_co_i32 s2, s2, 0x10000
	s_wait_alu 0xfffe
	s_cmp_lt_u32 s2, s20
	s_cbranch_scc0 .LBB13_21
.LBB13_5:                               ; =>This Loop Header: Depth=1
                                        ;     Child Loop BB13_16 Depth 2
	s_and_not1_b32 vcc_lo, exec_lo, s1
	s_wait_alu 0xfffe
	s_cbranch_vccnz .LBB13_4
; %bb.6:                                ;   in Loop: Header=BB13_5 Depth=1
	s_mul_u64 s[10:11], s[8:9], s[2:3]
	s_and_not1_b32 vcc_lo, exec_lo, s21
	s_wait_alu 0xfffe
	s_lshl_b64 s[10:11], s[10:11], 3
	s_mov_b32 s18, -1
	s_wait_alu 0xfffe
	s_add_nc_u64 s[10:11], s[16:17], s[10:11]
	s_cbranch_vccnz .LBB13_12
; %bb.7:                                ;   in Loop: Header=BB13_5 Depth=1
	s_and_saveexec_b32 s18, s0
	s_cbranch_execz .LBB13_11
; %bb.8:                                ;   in Loop: Header=BB13_5 Depth=1
	v_cmp_ne_u32_e32 vcc_lo, 1, v6
	v_dual_mov_b32 v4, 0 :: v_dual_mov_b32 v5, 0
	s_cbranch_vccnz .LBB13_10
; %bb.9:                                ;   in Loop: Header=BB13_5 Depth=1
	s_wait_alu 0xfffe
	v_add_co_u32 v4, vcc_lo, s10, v0
	s_wait_alu 0xfffd
	v_add_co_ci_u32_e64 v5, null, s11, v1, vcc_lo
	global_load_b64 v[7:8], v[4:5], off
	s_wait_loadcnt 0x0
	v_mul_f32_e32 v5, s14, v8
	s_delay_alu instid0(VALU_DEP_1) | instskip(NEXT) | instid1(VALU_DEP_1)
	v_dual_mul_f32 v4, s15, v8 :: v_dual_fmac_f32 v5, s15, v7
	v_fma_f32 v4, v7, s14, -v4
.LBB13_10:                              ;   in Loop: Header=BB13_5 Depth=1
	s_wait_alu 0xfffe
	v_add_co_u32 v7, vcc_lo, s10, v0
	s_wait_alu 0xfffd
	v_add_co_ci_u32_e64 v8, null, s11, v1, vcc_lo
	global_store_b64 v[7:8], v[4:5], off
.LBB13_11:                              ;   in Loop: Header=BB13_5 Depth=1
	s_wait_alu 0xfffe
	s_or_b32 exec_lo, exec_lo, s18
	s_mov_b32 s18, 0
.LBB13_12:                              ;   in Loop: Header=BB13_5 Depth=1
	s_wait_alu 0xfffe
	s_and_not1_b32 vcc_lo, exec_lo, s18
	s_wait_alu 0xfffe
	s_cbranch_vccnz .LBB13_4
; %bb.13:                               ;   in Loop: Header=BB13_5 Depth=1
	s_and_saveexec_b32 s23, s0
	s_cbranch_execz .LBB13_3
; %bb.14:                               ;   in Loop: Header=BB13_5 Depth=1
	s_load_b32 s18, s[4:5], 0x0
	v_dual_mov_b32 v7, 0 :: v_dual_mov_b32 v8, 0
	s_wait_kmcnt 0x0
	s_cmp_ge_i32 ttmp9, s18
	s_cbranch_scc1 .LBB13_17
; %bb.15:                               ;   in Loop: Header=BB13_5 Depth=1
	s_mov_b32 s19, s3
	v_mov_b32_e32 v7, 0
	s_wait_alu 0xfffe
	s_mul_u64 s[26:27], s[6:7], s[18:19]
	s_mov_b32 s24, ttmp9
	s_wait_alu 0xfffe
	v_mad_co_u64_u32 v[4:5], null, s26, s2, v[2:3]
	s_delay_alu instid0(VALU_DEP_1) | instskip(NEXT) | instid1(VALU_DEP_1)
	v_mad_co_u64_u32 v[8:9], null, s27, s2, v[5:6]
	v_dual_mov_b32 v5, v8 :: v_dual_mov_b32 v8, 0
.LBB13_16:                              ;   Parent Loop BB13_5 Depth=1
                                        ; =>  This Inner Loop Header: Depth=2
	global_load_b64 v[9:10], v[4:5], off offset:-4
	v_add_co_u32 v4, vcc_lo, v4, s6
	s_wait_alu 0xfffd
	v_add_co_ci_u32_e64 v5, null, s7, v5, vcc_lo
	s_add_co_i32 s24, s24, 1
	s_delay_alu instid0(SALU_CYCLE_1)
	s_cmp_ge_i32 s24, s18
	s_wait_loadcnt 0x0
	v_dual_add_f32 v8, v8, v9 :: v_dual_add_f32 v7, v7, v10
	s_cbranch_scc0 .LBB13_16
.LBB13_17:                              ;   in Loop: Header=BB13_5 Depth=1
	s_delay_alu instid0(VALU_DEP_1) | instskip(SKIP_3) | instid1(VALU_DEP_2)
	v_mul_f32_e32 v5, s12, v7
	v_mul_f32_e32 v4, s13, v7
	s_and_b32 vcc_lo, exec_lo, s22
	s_mov_b32 s18, -1
	v_fmac_f32_e32 v5, s13, v8
	s_delay_alu instid0(VALU_DEP_2)
	v_fma_f32 v4, v8, s12, -v4
	s_wait_alu 0xfffe
	s_cbranch_vccz .LBB13_19
; %bb.18:                               ;   in Loop: Header=BB13_5 Depth=1
	s_mov_b32 s18, 0
.LBB13_19:                              ;   in Loop: Header=BB13_5 Depth=1
	s_wait_alu 0xfffe
	s_and_not1_b32 vcc_lo, exec_lo, s18
	s_wait_alu 0xfffe
	s_cbranch_vccnz .LBB13_2
; %bb.20:                               ;   in Loop: Header=BB13_5 Depth=1
	v_add_co_u32 v7, vcc_lo, s10, v0
	s_wait_alu 0xfffd
	v_add_co_ci_u32_e64 v8, null, s11, v1, vcc_lo
	global_load_b64 v[7:8], v[7:8], off
	s_wait_loadcnt 0x0
	v_mul_f32_e32 v9, s15, v8
	v_mul_f32_e32 v8, s14, v8
	s_delay_alu instid0(VALU_DEP_1) | instskip(NEXT) | instid1(VALU_DEP_3)
	v_fmac_f32_e32 v8, s15, v7
	v_fma_f32 v9, v7, s14, -v9
	s_delay_alu instid0(VALU_DEP_1)
	v_dual_add_f32 v5, v5, v8 :: v_dual_add_f32 v4, v4, v9
	s_branch .LBB13_2
.LBB13_21:
	s_endpgm
	.section	.rodata,"a",@progbits
	.p2align	6, 0x0
	.amdhsa_kernel _ZL36rocblas_hemvn_kernel_lower_block_sumILi64El19rocblas_complex_numIfEPS1_S1_EviT1_lS3_lT2_lT0_lPT3_i
		.amdhsa_group_segment_fixed_size 0
		.amdhsa_private_segment_fixed_size 0
		.amdhsa_kernarg_size 344
		.amdhsa_user_sgpr_count 2
		.amdhsa_user_sgpr_dispatch_ptr 0
		.amdhsa_user_sgpr_queue_ptr 0
		.amdhsa_user_sgpr_kernarg_segment_ptr 1
		.amdhsa_user_sgpr_dispatch_id 0
		.amdhsa_user_sgpr_private_segment_size 0
		.amdhsa_wavefront_size32 1
		.amdhsa_uses_dynamic_stack 0
		.amdhsa_enable_private_segment 0
		.amdhsa_system_sgpr_workgroup_id_x 1
		.amdhsa_system_sgpr_workgroup_id_y 0
		.amdhsa_system_sgpr_workgroup_id_z 1
		.amdhsa_system_sgpr_workgroup_info 0
		.amdhsa_system_vgpr_workitem_id 0
		.amdhsa_next_free_vgpr 11
		.amdhsa_next_free_sgpr 28
		.amdhsa_reserve_vcc 1
		.amdhsa_float_round_mode_32 0
		.amdhsa_float_round_mode_16_64 0
		.amdhsa_float_denorm_mode_32 3
		.amdhsa_float_denorm_mode_16_64 3
		.amdhsa_fp16_overflow 0
		.amdhsa_workgroup_processor_mode 1
		.amdhsa_memory_ordered 1
		.amdhsa_forward_progress 1
		.amdhsa_inst_pref_size 7
		.amdhsa_round_robin_scheduling 0
		.amdhsa_exception_fp_ieee_invalid_op 0
		.amdhsa_exception_fp_denorm_src 0
		.amdhsa_exception_fp_ieee_div_zero 0
		.amdhsa_exception_fp_ieee_overflow 0
		.amdhsa_exception_fp_ieee_underflow 0
		.amdhsa_exception_fp_ieee_inexact 0
		.amdhsa_exception_int_div_zero 0
	.end_amdhsa_kernel
	.section	.text._ZL36rocblas_hemvn_kernel_lower_block_sumILi64El19rocblas_complex_numIfEPS1_S1_EviT1_lS3_lT2_lT0_lPT3_i,"axG",@progbits,_ZL36rocblas_hemvn_kernel_lower_block_sumILi64El19rocblas_complex_numIfEPS1_S1_EviT1_lS3_lT2_lT0_lPT3_i,comdat
.Lfunc_end13:
	.size	_ZL36rocblas_hemvn_kernel_lower_block_sumILi64El19rocblas_complex_numIfEPS1_S1_EviT1_lS3_lT2_lT0_lPT3_i, .Lfunc_end13-_ZL36rocblas_hemvn_kernel_lower_block_sumILi64El19rocblas_complex_numIfEPS1_S1_EviT1_lS3_lT2_lT0_lPT3_i
                                        ; -- End function
	.set _ZL36rocblas_hemvn_kernel_lower_block_sumILi64El19rocblas_complex_numIfEPS1_S1_EviT1_lS3_lT2_lT0_lPT3_i.num_vgpr, 11
	.set _ZL36rocblas_hemvn_kernel_lower_block_sumILi64El19rocblas_complex_numIfEPS1_S1_EviT1_lS3_lT2_lT0_lPT3_i.num_agpr, 0
	.set _ZL36rocblas_hemvn_kernel_lower_block_sumILi64El19rocblas_complex_numIfEPS1_S1_EviT1_lS3_lT2_lT0_lPT3_i.numbered_sgpr, 28
	.set _ZL36rocblas_hemvn_kernel_lower_block_sumILi64El19rocblas_complex_numIfEPS1_S1_EviT1_lS3_lT2_lT0_lPT3_i.num_named_barrier, 0
	.set _ZL36rocblas_hemvn_kernel_lower_block_sumILi64El19rocblas_complex_numIfEPS1_S1_EviT1_lS3_lT2_lT0_lPT3_i.private_seg_size, 0
	.set _ZL36rocblas_hemvn_kernel_lower_block_sumILi64El19rocblas_complex_numIfEPS1_S1_EviT1_lS3_lT2_lT0_lPT3_i.uses_vcc, 1
	.set _ZL36rocblas_hemvn_kernel_lower_block_sumILi64El19rocblas_complex_numIfEPS1_S1_EviT1_lS3_lT2_lT0_lPT3_i.uses_flat_scratch, 0
	.set _ZL36rocblas_hemvn_kernel_lower_block_sumILi64El19rocblas_complex_numIfEPS1_S1_EviT1_lS3_lT2_lT0_lPT3_i.has_dyn_sized_stack, 0
	.set _ZL36rocblas_hemvn_kernel_lower_block_sumILi64El19rocblas_complex_numIfEPS1_S1_EviT1_lS3_lT2_lT0_lPT3_i.has_recursion, 0
	.set _ZL36rocblas_hemvn_kernel_lower_block_sumILi64El19rocblas_complex_numIfEPS1_S1_EviT1_lS3_lT2_lT0_lPT3_i.has_indirect_call, 0
	.section	.AMDGPU.csdata,"",@progbits
; Kernel info:
; codeLenInByte = 844
; TotalNumSgprs: 30
; NumVgprs: 11
; ScratchSize: 0
; MemoryBound: 0
; FloatMode: 240
; IeeeMode: 1
; LDSByteSize: 0 bytes/workgroup (compile time only)
; SGPRBlocks: 0
; VGPRBlocks: 1
; NumSGPRsForWavesPerEU: 30
; NumVGPRsForWavesPerEU: 11
; Occupancy: 16
; WaveLimiterHint : 0
; COMPUTE_PGM_RSRC2:SCRATCH_EN: 0
; COMPUTE_PGM_RSRC2:USER_SGPR: 2
; COMPUTE_PGM_RSRC2:TRAP_HANDLER: 0
; COMPUTE_PGM_RSRC2:TGID_X_EN: 1
; COMPUTE_PGM_RSRC2:TGID_Y_EN: 0
; COMPUTE_PGM_RSRC2:TGID_Z_EN: 1
; COMPUTE_PGM_RSRC2:TIDIG_COMP_CNT: 0
	.section	.text._ZL26rocblas_hemvn_kernel_lowerILb1ELi64ELi4ELi33ELi32ELi16Ei19rocblas_complex_numIfEPKS1_PS1_EviT6_lT7_lT5_lS6_lS7_lS5_lT8_i,"axG",@progbits,_ZL26rocblas_hemvn_kernel_lowerILb1ELi64ELi4ELi33ELi32ELi16Ei19rocblas_complex_numIfEPKS1_PS1_EviT6_lT7_lT5_lS6_lS7_lS5_lT8_i,comdat
	.globl	_ZL26rocblas_hemvn_kernel_lowerILb1ELi64ELi4ELi33ELi32ELi16Ei19rocblas_complex_numIfEPKS1_PS1_EviT6_lT7_lT5_lS6_lS7_lS5_lT8_i ; -- Begin function _ZL26rocblas_hemvn_kernel_lowerILb1ELi64ELi4ELi33ELi32ELi16Ei19rocblas_complex_numIfEPKS1_PS1_EviT6_lT7_lT5_lS6_lS7_lS5_lT8_i
	.p2align	8
	.type	_ZL26rocblas_hemvn_kernel_lowerILb1ELi64ELi4ELi33ELi32ELi16Ei19rocblas_complex_numIfEPKS1_PS1_EviT6_lT7_lT5_lS6_lS7_lS5_lT8_i,@function
_ZL26rocblas_hemvn_kernel_lowerILb1ELi64ELi4ELi33ELi32ELi16Ei19rocblas_complex_numIfEPKS1_PS1_EviT6_lT7_lT5_lS6_lS7_lS5_lT8_i: ; @_ZL26rocblas_hemvn_kernel_lowerILb1ELi64ELi4ELi33ELi32ELi16Ei19rocblas_complex_numIfEPKS1_PS1_EviT6_lT7_lT5_lS6_lS7_lS5_lT8_i
; %bb.0:
	s_clause 0x1
	s_load_b64 s[2:3], s[0:1], 0x84
	s_load_b32 s23, s[0:1], 0x70
	s_lshr_b32 s34, ttmp7, 16
	s_wait_kmcnt 0x0
	s_lshr_b32 s4, s2, 16
	s_and_b32 s2, s2, 0xffff
	s_and_b32 s3, s3, 0xffff
	s_mul_i32 s2, s4, s2
	s_delay_alu instid0(SALU_CYCLE_1) | instskip(NEXT) | instid1(SALU_CYCLE_1)
	s_mul_i32 s2, s2, s3
	s_cmp_lg_u32 s2, 0x100
	s_cselect_b32 s2, -1, 0
	s_cmp_ge_u32 s34, s23
	s_cselect_b32 s3, -1, 0
	s_delay_alu instid0(SALU_CYCLE_1) | instskip(NEXT) | instid1(SALU_CYCLE_1)
	s_or_b32 s2, s2, s3
	s_and_b32 vcc_lo, exec_lo, s2
	s_cbranch_vccnz .LBB14_136
; %bb.1:
	s_clause 0x6
	s_load_b32 s2, s[0:1], 0x0
	s_load_b32 s50, s[0:1], 0x28
	s_load_b64 s[10:11], s[0:1], 0x4
	s_load_b96 s[20:22], s[0:1], 0x40
	s_load_b128 s[4:7], s[0:1], 0x18
	s_load_b128 s[24:27], s[0:1], 0x50
	;; [unrolled: 1-line block ×3, first 2 shown]
	s_add_nc_u64 s[12:13], s[0:1], 0x78
	s_load_b64 s[8:9], s[0:1], 0x68
	v_dual_mov_b32 v33, 0 :: v_dual_and_b32 v80, 0x3ff, v0
	v_bfe_u32 v13, v0, 10, 10
	s_load_b32 s12, s[12:13], 0x0
	v_and_b32_e32 v1, 31, v0
	s_mov_b32 s35, 0
	v_and_b32_e32 v22, 15, v0
	v_lshl_add_u32 v14, v13, 6, v80
	s_mov_b32 s13, s35
	v_mul_u32_u24_e32 v20, 33, v1
	v_lshlrev_b32_e32 v15, 3, v1
	s_wait_kmcnt 0x0
	s_ashr_i32 s3, s2, 31
	s_ashr_i32 s51, s50, 31
	s_or_b32 s0, s10, s11
	s_lshl_b64 s[10:11], s[20:21], 3
	s_bitset0_b32 s0, 31
	s_lshl_b64 s[6:7], s[6:7], 3
	s_cmp_lg_u32 s0, 0
	v_lshrrev_b32_e32 v7, 5, v14
	s_cselect_b32 s52, -1, 0
	s_cmp_neq_f32 s26, 1.0
	s_add_nc_u64 s[10:11], s[30:31], s[10:11]
	s_mul_i32 s14, s2, ttmp9
	s_add_nc_u64 s[4:5], s[4:5], s[6:7]
	s_cselect_b32 s48, -1, 0
	s_cmp_neq_f32 s27, 0
	s_mul_u64 s[30:31], s[12:13], s[2:3]
	v_lshlrev_b32_e32 v21, 3, v7
	v_lshlrev_b32_e32 v91, 3, v20
	s_cselect_b32 s49, -1, 0
	s_lshl_b32 s44, ttmp9, 6
	s_lshr_b32 s1, s3, 26
	v_add_nc_u32_e32 v2, s44, v80
	s_add_co_i32 s1, s2, s1
	s_add_co_i32 s15, s12, -1
	s_and_not1_b32 s1, s1, 63
	s_mul_i32 s46, s50, s44
	v_mad_co_u64_u32 v[3:4], null, s50, v7, v[1:2]
	v_mul_lo_u32 v4, s22, v2
	s_sub_co_i32 s1, s2, s1
	s_cmp_eq_u32 ttmp9, s15
	v_lshl_or_b32 v12, v1, 8, v15
	s_cselect_b32 s26, s1, 0
	v_and_b32_e32 v17, 0x7fe0, v14
	s_cmp_eq_u32 s26, 0
	v_cmp_le_i32_e32 vcc_lo, s26, v80
	v_ashrrev_i32_e32 v5, 31, v4
	s_cselect_b32 s33, -1, 0
	s_cmp_lg_u32 s26, 0
	v_add_nc_u32_e32 v94, v91, v21
	s_cselect_b32 s1, -1, 0
	v_lshlrev_b64_e32 v[5:6], 3, v[4:5]
	v_ashrrev_i32_e32 v4, 31, v3
	s_and_b32 s1, s1, vcc_lo
	s_ashr_i32 s45, s44, 31
	s_ashr_i32 s47, s46, 31
	s_wait_alu 0xfffe
	s_lshl_b64 s[2:3], s[44:45], 3
	v_add_co_u32 v83, vcc_lo, s10, v5
	s_delay_alu instid0(VALU_DEP_1)
	v_add_co_ci_u32_e64 v84, null, s11, v6, vcc_lo
	v_lshlrev_b64_e32 v[5:6], 3, v[3:4]
	s_add_nc_u64 s[2:3], s[4:5], s[2:3]
	v_lshlrev_b32_e32 v11, 2, v7
	s_ashr_i32 s15, s14, 31
	s_sub_co_i32 s20, s26, 32
	s_lshl_b64 s[6:7], s[14:15], 3
	v_add_co_u32 v5, vcc_lo, s2, v5
	s_wait_alu 0xfffd
	v_add_co_ci_u32_e64 v6, null, s3, v6, vcc_lo
	s_lshl_b64 s[2:3], s[46:47], 3
	v_mul_u32_u24_e32 v16, 0x108, v7
	s_wait_alu 0xfffe
	v_add_co_u32 v85, vcc_lo, v5, s2
	s_wait_alu 0xfffd
	v_add_co_ci_u32_e64 v86, null, s3, v6, vcc_lo
	v_sub_co_u32 v5, s3, 0, v1
	s_wait_alu 0xf1ff
	v_sub_co_ci_u32_e64 v6, null, 0, 0, s3
	v_add_nc_u32_e32 v8, 8, v7
	v_add_nc_u32_e32 v9, 16, v7
	;; [unrolled: 1-line block ×3, first 2 shown]
	v_cmp_le_i32_e64 s3, s26, v7
	v_mul_u32_u24_e32 v19, 0x420, v7
	v_add_nc_u32_e32 v88, v12, v17
	v_add_nc_u32_e32 v93, 0x2380, v17
	v_cmp_le_i32_e64 s17, s20, v7
	v_cmp_eq_u32_e64 s21, 1, v7
	v_mul_i32_i24_e32 v17, 0xffffffe8, v7
	v_mad_u32_u24 v95, v7, 24, v94
	v_mul_lo_u32 v7, v13, s50
	s_add_nc_u64 s[36:37], s[8:9], s[6:7]
	v_cmp_ge_u32_e64 s7, v11, v1
	v_cmp_eq_u32_e64 s8, v11, v1
	v_or_b32_e32 v18, 1, v11
	v_or_b32_e32 v12, 2, v11
	;; [unrolled: 1-line block ×3, first 2 shown]
	v_lshrrev_b32_e32 v20, 4, v14
	s_mul_i32 s44, s22, s44
	v_cmp_le_i32_e64 s5, s26, v9
	v_cmp_le_i32_e64 s19, s20, v9
	v_cmp_ge_u32_e64 s13, v11, v1
	v_cmp_eq_u32_e64 s14, v11, v1
	v_or_b32_e32 v11, 32, v1
	v_lshl_add_u32 v7, v7, 2, v80
	v_sub_co_u32 v9, vcc_lo, 0, v3
	v_lshlrev_b32_e32 v3, 5, v20
	v_lshlrev_b32_e32 v81, 3, v80
	s_wait_alu 0xfffe
	s_ashr_i32 s45, s44, 31
	v_and_b32_e32 v0, 48, v0
	v_cmp_gt_i32_e64 s16, s26, v11
	s_wait_alu 0xfffe
	s_sub_nc_u64 s[58:59], 0, s[44:45]
	v_sub_co_u32 v11, s44, 0, v80
	v_cmp_le_i32_e64 s4, s26, v8
	v_cmp_le_i32_e64 s6, s26, v10
	v_cmp_ge_u32_e64 s11, v12, v1
	v_cmp_eq_u32_e64 s12, v12, v1
	v_cmp_le_i32_e64 s18, s20, v8
	v_cmp_le_i32_e64 s20, s20, v10
	s_wait_alu 0xfffd
	v_sub_co_ci_u32_e64 v10, null, 0, v4, vcc_lo
	v_ashrrev_i32_e32 v8, 31, v7
	s_wait_alu 0xf1ff
	v_sub_co_ci_u32_e64 v12, null, 0, 0, s44
	v_mad_u32_u24 v99, 0x218, v22, v3
	v_ashrrev_i32_e32 v3, 31, v2
	s_lshl_b32 s38, s50, 3
	s_lshl_b32 s40, s50, 4
	s_mul_i32 s42, s50, 24
	v_cmp_ge_u32_e64 s9, v18, v1
	v_cmp_eq_u32_e64 s10, v18, v1
	v_mul_u32_u24_e32 v18, 0x108, v18
	s_lshl_b32 s54, s50, 5
	v_lshlrev_b32_e32 v0, 3, v0
	v_or_b32_e32 v4, 0x78, v81
	v_mul_i32_i24_e32 v20, 0xffffffe8, v20
	v_cmp_eq_u32_e64 s0, 0, v13
	s_ashr_i32 s39, s38, 31
	s_ashr_i32 s41, s40, 31
	;; [unrolled: 1-line block ×5, first 2 shown]
	s_xor_b32 s53, s1, -1
	s_cmp_gt_i32 ttmp9, 0
	v_lshlrev_b64_e32 v[34:35], 3, v[5:6]
	v_lshlrev_b64_e32 v[36:37], 3, v[9:10]
	;; [unrolled: 1-line block ×5, first 2 shown]
	v_add_nc_u32_e32 v82, 0x2380, v81
	v_cmp_gt_i32_e64 s2, s26, v1
	v_mad_u32_u24 v87, 0x108, v1, v15
	v_add_nc_u32_e32 v89, 8, v88
	v_add_nc_u32_e32 v90, 16, v88
	;; [unrolled: 1-line block ×3, first 2 shown]
	v_cmp_gt_u32_e64 s15, 32, v14
	s_cselect_b32 s64, -1, 0
	s_lshl_b32 s65, s22, 6
	v_add_nc_u32_e32 v96, 0x2180, v81
	v_lshl_add_u32 v97, v13, 5, 0x2180
	v_mad_u32_u24 v98, 0x860, v13, v81
	v_cmp_gt_u32_e64 s22, 64, v14
	v_mad_u32_u24 v100, 0x218, v22, v0
	v_mad_u32_u24 v101, 0x218, v22, v4
	;; [unrolled: 1-line block ×3, first 2 shown]
	v_add_nc_u32_e32 v103, 0x2380, v21
	v_cndmask_b32_e64 v104, 0, 1, s52
	v_add_nc_u32_e32 v105, v15, v16
	v_add_nc_u32_e32 v106, v15, v19
	;; [unrolled: 1-line block ×5, first 2 shown]
	v_lshlrev_b32_e32 v110, 3, v1
	s_sub_nc_u64 s[56:57], 0, s[54:55]
	s_sub_nc_u64 s[60:61], 0, s[46:47]
	s_and_b32 s66, s0, s53
	s_or_b32 s53, s48, s49
	s_lshl_b64 s[44:45], s[50:51], 6
	s_wait_alu 0xfffe
	s_sub_nc_u64 s[46:47], 0, s[26:27]
	s_lshl_b64 s[48:49], s[50:51], 3
	s_mul_u64 s[50:51], s[50:51], 0x68
	s_or_b32 s67, s53, s52
	s_lshl_b64 s[52:53], s[54:55], 3
	s_lshl_b64 s[54:55], s[56:57], 3
	;; [unrolled: 1-line block ×4, first 2 shown]
	s_branch .LBB14_4
.LBB14_2:                               ;   in Loop: Header=BB14_4 Depth=1
	s_wait_alu 0xfffe
	s_or_b32 exec_lo, exec_lo, s62
.LBB14_3:                               ;   in Loop: Header=BB14_4 Depth=1
	s_add_co_i32 s34, s34, 0x10000
	s_delay_alu instid0(SALU_CYCLE_1)
	s_cmp_lt_u32 s34, s23
	s_cbranch_scc0 .LBB14_136
.LBB14_4:                               ; =>This Loop Header: Depth=1
                                        ;     Child Loop BB14_112 Depth 2
	s_and_not1_b32 vcc_lo, exec_lo, s67
	s_wait_alu 0xfffe
	s_cbranch_vccnz .LBB14_3
; %bb.5:                                ;   in Loop: Header=BB14_4 Depth=1
	v_cmp_ne_u32_e32 vcc_lo, 1, v104
	s_cbranch_vccnz .LBB14_3
; %bb.6:                                ;   in Loop: Header=BB14_4 Depth=1
	s_mul_u64 s[60:61], s[24:25], s[34:35]
	s_wait_alu 0xfffe
	s_lshl_b64 s[60:61], s[60:61], 3
	s_wait_alu 0xfffe
	v_add_co_u32 v16, vcc_lo, v83, s60
	s_wait_alu 0xfffd
	v_add_co_ci_u32_e64 v17, null, s61, v84, vcc_lo
	s_and_saveexec_b32 s60, s0
	s_cbranch_execz .LBB14_11
; %bb.7:                                ;   in Loop: Header=BB14_4 Depth=1
	s_and_saveexec_b32 s61, s1
	s_wait_alu 0xfffe
	s_xor_b32 s61, exec_lo, s61
; %bb.8:                                ;   in Loop: Header=BB14_4 Depth=1
	v_mov_b32_e32 v32, v33
	ds_store_b64 v82, v[32:33]
; %bb.9:                                ;   in Loop: Header=BB14_4 Depth=1
	s_wait_alu 0xfffe
	s_and_not1_saveexec_b32 s61, s61
	s_cbranch_execz .LBB14_11
; %bb.10:                               ;   in Loop: Header=BB14_4 Depth=1
	global_load_b64 v[0:1], v[16:17], off
	s_wait_loadcnt 0x0
	ds_store_b64 v82, v[0:1]
.LBB14_11:                              ;   in Loop: Header=BB14_4 Depth=1
	s_wait_alu 0xfffe
	s_or_b32 exec_lo, exec_lo, s60
	s_mul_u64 s[60:61], s[28:29], s[34:35]
	s_wait_alu 0xfffe
	s_lshl_b64 s[60:61], s[60:61], 3
	s_wait_alu 0xfffe
	v_add_co_u32 v0, vcc_lo, v85, s60
	s_wait_alu 0xfffd
	v_add_co_ci_u32_e64 v1, null, s61, v86, vcc_lo
	s_and_not1_b32 vcc_lo, exec_lo, s33
	s_mov_b32 s60, -1
	s_wait_alu 0xfffe
	s_cbranch_vccnz .LBB14_13
; %bb.12:                               ;   in Loop: Header=BB14_4 Depth=1
	s_lshl_b64 s[60:61], s[38:39], 3
	s_wait_alu 0xfffe
	v_add_co_u32 v2, vcc_lo, v0, s60
	s_wait_alu 0xfffd
	v_add_co_ci_u32_e64 v3, null, s61, v1, vcc_lo
	s_mov_b32 s60, 0
	v_add_co_u32 v4, vcc_lo, v2, s44
	s_wait_alu 0xfffd
	v_add_co_ci_u32_e64 v5, null, s45, v3, vcc_lo
	s_delay_alu instid0(VALU_DEP_2) | instskip(SKIP_1) | instid1(VALU_DEP_2)
	v_add_co_u32 v6, vcc_lo, v4, s44
	s_wait_alu 0xfffd
	v_add_co_ci_u32_e64 v7, null, s45, v5, vcc_lo
	s_clause 0x3
	global_load_b64 v[8:9], v[0:1], off
	global_load_b64 v[2:3], v[2:3], off
	;; [unrolled: 1-line block ×4, first 2 shown]
	s_wait_loadcnt 0x3
	ds_store_b64 v105, v[8:9]
	s_wait_loadcnt 0x2
	ds_store_b64 v105, v[2:3] offset:2112
	s_wait_loadcnt 0x1
	ds_store_b64 v105, v[4:5] offset:4224
	;; [unrolled: 2-line block ×3, first 2 shown]
.LBB14_13:                              ;   in Loop: Header=BB14_4 Depth=1
	s_wait_alu 0xfffe
	s_and_not1_b32 vcc_lo, exec_lo, s60
	s_wait_alu 0xfffe
	s_cbranch_vccnz .LBB14_25
; %bb.14:                               ;   in Loop: Header=BB14_4 Depth=1
	s_and_saveexec_b32 s60, s3
	s_wait_alu 0xfffe
	s_xor_b32 s60, exec_lo, s60
; %bb.15:                               ;   in Loop: Header=BB14_4 Depth=1
	v_mov_b32_e32 v32, v33
	ds_store_b64 v105, v[32:33]
; %bb.16:                               ;   in Loop: Header=BB14_4 Depth=1
	s_wait_alu 0xfffe
	s_or_saveexec_b32 s60, s60
	v_add_co_u32 v2, vcc_lo, v0, v34
	s_wait_alu 0xfffd
	v_add_co_ci_u32_e64 v3, null, v1, v35, vcc_lo
	s_lshl_b64 s[62:63], s[26:27], 3
	s_wait_alu 0xfffe
	v_add_co_u32 v2, vcc_lo, v2, s62
	s_wait_alu 0xfffd
	v_add_co_ci_u32_e64 v3, null, s63, v3, vcc_lo
	s_delay_alu instid0(VALU_DEP_2) | instskip(SKIP_1) | instid1(VALU_DEP_2)
	v_add_co_u32 v2, vcc_lo, v2, -8
	s_wait_alu 0xfffd
	v_add_co_ci_u32_e64 v3, null, -1, v3, vcc_lo
	s_delay_alu instid0(VALU_DEP_2) | instskip(NEXT) | instid1(VALU_DEP_2)
	v_cndmask_b32_e64 v2, v2, v0, s2
	v_cndmask_b32_e64 v3, v3, v1, s2
	s_xor_b32 exec_lo, exec_lo, s60
	s_cbranch_execnz .LBB14_118
; %bb.17:                               ;   in Loop: Header=BB14_4 Depth=1
	s_or_b32 exec_lo, exec_lo, s60
	s_and_saveexec_b32 s60, s4
	s_wait_alu 0xfffe
	s_xor_b32 s60, exec_lo, s60
	s_cbranch_execnz .LBB14_119
.LBB14_18:                              ;   in Loop: Header=BB14_4 Depth=1
	s_wait_alu 0xfffe
	s_and_not1_saveexec_b32 s60, s60
	s_cbranch_execnz .LBB14_120
.LBB14_19:                              ;   in Loop: Header=BB14_4 Depth=1
	s_wait_alu 0xfffe
	s_or_b32 exec_lo, exec_lo, s60
	s_and_saveexec_b32 s60, s5
	s_wait_alu 0xfffe
	s_xor_b32 s60, exec_lo, s60
	s_cbranch_execnz .LBB14_121
.LBB14_20:                              ;   in Loop: Header=BB14_4 Depth=1
	s_wait_alu 0xfffe
	s_and_not1_saveexec_b32 s60, s60
	s_cbranch_execnz .LBB14_122
.LBB14_21:                              ;   in Loop: Header=BB14_4 Depth=1
	s_wait_alu 0xfffe
	s_or_b32 exec_lo, exec_lo, s60
	s_and_saveexec_b32 s60, s6
	s_wait_alu 0xfffe
	s_xor_b32 s60, exec_lo, s60
	s_cbranch_execnz .LBB14_123
.LBB14_22:                              ;   in Loop: Header=BB14_4 Depth=1
	s_wait_alu 0xfffe
	s_and_not1_saveexec_b32 s60, s60
	s_cbranch_execz .LBB14_24
.LBB14_23:                              ;   in Loop: Header=BB14_4 Depth=1
	s_lshl_b64 s[62:63], s[42:43], 3
	s_wait_alu 0xfffe
	v_add_co_u32 v4, vcc_lo, v2, s62
	s_wait_alu 0xfffd
	v_add_co_ci_u32_e64 v5, null, s63, v3, vcc_lo
	global_load_b64 v[4:5], v[4:5], off
	s_wait_loadcnt 0x0
	ds_store_b64 v105, v[4:5] offset:6336
.LBB14_24:                              ;   in Loop: Header=BB14_4 Depth=1
	s_wait_alu 0xfffe
	s_or_b32 exec_lo, exec_lo, s60
	v_add_co_u32 v2, vcc_lo, v2, v110
	s_wait_alu 0xfffd
	v_add_co_ci_u32_e64 v3, null, 0, v3, vcc_lo
	s_lshl_b64 s[60:61], s[46:47], 3
	s_wait_alu 0xfffe
	v_add_co_u32 v2, vcc_lo, v2, s60
	s_wait_alu 0xfffd
	v_add_co_ci_u32_e64 v3, null, s61, v3, vcc_lo
	s_delay_alu instid0(VALU_DEP_2) | instskip(SKIP_1) | instid1(VALU_DEP_2)
	v_add_co_u32 v2, vcc_lo, v2, 8
	s_wait_alu 0xfffd
	v_add_co_ci_u32_e64 v3, null, 0, v3, vcc_lo
	s_delay_alu instid0(VALU_DEP_2) | instskip(NEXT) | instid1(VALU_DEP_2)
	v_cndmask_b32_e64 v0, v2, v0, s2
	v_cndmask_b32_e64 v1, v3, v1, s2
.LBB14_25:                              ;   in Loop: Header=BB14_4 Depth=1
	s_mov_b32 s60, 0
	s_wait_dscnt 0x0
	s_barrier_signal -1
	s_barrier_wait -1
	global_inv scope:SCOPE_SE
	s_and_saveexec_b32 s61, s7
	s_wait_alu 0xfffe
	s_xor_b32 s61, exec_lo, s61
; %bb.26:                               ;   in Loop: Header=BB14_4 Depth=1
	s_and_b32 s60, s8, exec_lo
; %bb.27:                               ;   in Loop: Header=BB14_4 Depth=1
	s_wait_alu 0xfffe
	s_or_saveexec_b32 s61, s61
	v_dual_mov_b32 v2, 0 :: v_dual_mov_b32 v3, v87
	s_wait_alu 0xfffe
	s_xor_b32 exec_lo, exec_lo, s61
	s_cbranch_execz .LBB14_29
; %bb.28:                               ;   in Loop: Header=BB14_4 Depth=1
	ds_load_b64 v[4:5], v106
	v_mov_b32_e32 v3, v88
	s_or_b32 s60, s60, exec_lo
	s_wait_dscnt 0x0
	v_xor_b32_e32 v2, 0x80000000, v5
	ds_store_b32 v88, v4
.LBB14_29:                              ;   in Loop: Header=BB14_4 Depth=1
	s_or_b32 exec_lo, exec_lo, s61
	s_wait_alu 0xfffe
	s_and_saveexec_b32 s61, s60
; %bb.30:                               ;   in Loop: Header=BB14_4 Depth=1
	ds_store_b32 v3, v2 offset:4
; %bb.31:                               ;   in Loop: Header=BB14_4 Depth=1
	s_wait_alu 0xfffe
	s_or_b32 exec_lo, exec_lo, s61
	s_mov_b32 s60, 0
	s_and_saveexec_b32 s61, s9
	s_wait_alu 0xfffe
	s_xor_b32 s61, exec_lo, s61
; %bb.32:                               ;   in Loop: Header=BB14_4 Depth=1
	s_and_b32 s60, s10, exec_lo
; %bb.33:                               ;   in Loop: Header=BB14_4 Depth=1
	s_wait_alu 0xfffe
	s_or_saveexec_b32 s61, s61
	v_dual_mov_b32 v2, 0 :: v_dual_mov_b32 v3, v87
	s_wait_alu 0xfffe
	s_xor_b32 exec_lo, exec_lo, s61
	s_cbranch_execz .LBB14_35
; %bb.34:                               ;   in Loop: Header=BB14_4 Depth=1
	ds_load_b64 v[4:5], v107
	v_mov_b32_e32 v3, v89
	s_or_b32 s60, s60, exec_lo
	s_wait_dscnt 0x0
	v_xor_b32_e32 v2, 0x80000000, v5
	ds_store_b32 v89, v4
.LBB14_35:                              ;   in Loop: Header=BB14_4 Depth=1
	s_or_b32 exec_lo, exec_lo, s61
	s_wait_alu 0xfffe
	s_and_saveexec_b32 s61, s60
; %bb.36:                               ;   in Loop: Header=BB14_4 Depth=1
	ds_store_b32 v3, v2 offset:4
; %bb.37:                               ;   in Loop: Header=BB14_4 Depth=1
	s_wait_alu 0xfffe
	s_or_b32 exec_lo, exec_lo, s61
	s_mov_b32 s60, 0
	s_and_saveexec_b32 s61, s11
	s_wait_alu 0xfffe
	s_xor_b32 s61, exec_lo, s61
; %bb.38:                               ;   in Loop: Header=BB14_4 Depth=1
	s_and_b32 s60, s12, exec_lo
; %bb.39:                               ;   in Loop: Header=BB14_4 Depth=1
	s_wait_alu 0xfffe
	s_or_saveexec_b32 s61, s61
	v_dual_mov_b32 v2, 0 :: v_dual_mov_b32 v3, v87
	s_wait_alu 0xfffe
	s_xor_b32 exec_lo, exec_lo, s61
	s_cbranch_execz .LBB14_41
; %bb.40:                               ;   in Loop: Header=BB14_4 Depth=1
	ds_load_b64 v[4:5], v107 offset:264
	v_mov_b32_e32 v3, v90
	s_or_b32 s60, s60, exec_lo
	s_wait_dscnt 0x0
	v_xor_b32_e32 v2, 0x80000000, v5
	ds_store_b32 v90, v4
.LBB14_41:                              ;   in Loop: Header=BB14_4 Depth=1
	s_or_b32 exec_lo, exec_lo, s61
	s_wait_alu 0xfffe
	s_and_saveexec_b32 s61, s60
; %bb.42:                               ;   in Loop: Header=BB14_4 Depth=1
	ds_store_b32 v3, v2 offset:4
; %bb.43:                               ;   in Loop: Header=BB14_4 Depth=1
	s_wait_alu 0xfffe
	s_or_b32 exec_lo, exec_lo, s61
	s_mov_b32 s60, 0
	s_and_saveexec_b32 s61, s13
	s_wait_alu 0xfffe
	s_xor_b32 s61, exec_lo, s61
; %bb.44:                               ;   in Loop: Header=BB14_4 Depth=1
	s_and_b32 s60, s14, exec_lo
; %bb.45:                               ;   in Loop: Header=BB14_4 Depth=1
	s_wait_alu 0xfffe
	s_or_saveexec_b32 s61, s61
	v_dual_mov_b32 v2, 0 :: v_dual_mov_b32 v3, v87
	s_wait_alu 0xfffe
	s_xor_b32 exec_lo, exec_lo, s61
	s_cbranch_execz .LBB14_47
; %bb.46:                               ;   in Loop: Header=BB14_4 Depth=1
	ds_load_b64 v[4:5], v107 offset:528
	v_mov_b32_e32 v3, v92
	s_or_b32 s60, s60, exec_lo
	s_wait_dscnt 0x0
	v_xor_b32_e32 v2, 0x80000000, v5
	ds_store_b32 v92, v4
.LBB14_47:                              ;   in Loop: Header=BB14_4 Depth=1
	s_or_b32 exec_lo, exec_lo, s61
	s_wait_alu 0xfffe
	s_and_saveexec_b32 s61, s60
; %bb.48:                               ;   in Loop: Header=BB14_4 Depth=1
	ds_store_b32 v3, v2 offset:4
; %bb.49:                               ;   in Loop: Header=BB14_4 Depth=1
	s_wait_alu 0xfffe
	s_or_b32 exec_lo, exec_lo, s61
	s_wait_loadcnt_dscnt 0x0
	s_barrier_signal -1
	s_barrier_wait -1
	global_inv scope:SCOPE_SE
	ds_load_b64 v[14:15], v106
	ds_load_b128 v[2:5], v93
	ds_load_2addr_b64 v[6:9], v107 offset1:33
	ds_load_b128 v[10:13], v93 offset:16
	ds_load_b64 v[18:19], v107 offset:528
	s_wait_loadcnt_dscnt 0x0
	s_barrier_signal -1
	s_barrier_wait -1
	global_inv scope:SCOPE_SE
	v_dual_mov_b32 v45, 0 :: v_dual_mul_f32 v20, v3, v15
	v_dual_mul_f32 v15, v2, v15 :: v_dual_mul_f32 v22, v11, v9
	v_mul_f32_e32 v9, v10, v9
	s_delay_alu instid0(VALU_DEP_3) | instskip(SKIP_1) | instid1(VALU_DEP_4)
	v_fma_f32 v2, v2, v14, -v20
	v_mul_f32_e32 v21, v5, v7
	v_fmac_f32_e32 v15, v3, v14
	s_delay_alu instid0(VALU_DEP_4) | instskip(SKIP_3) | instid1(VALU_DEP_1)
	v_fmac_f32_e32 v9, v11, v8
	v_fma_f32 v10, v10, v8, -v22
	v_dual_add_f32 v2, 0, v2 :: v_dual_mul_f32 v7, v4, v7
	v_fma_f32 v4, v4, v6, -v21
	v_dual_add_f32 v2, v2, v4 :: v_dual_fmac_f32 v7, v5, v6
	v_mul_f32_e32 v6, v12, v19
	v_add_f32_e32 v5, 0, v15
	s_delay_alu instid0(VALU_DEP_3) | instskip(NEXT) | instid1(VALU_DEP_3)
	v_dual_mul_f32 v3, v13, v19 :: v_dual_add_f32 v2, v2, v10
	v_fmac_f32_e32 v6, v13, v18
	s_delay_alu instid0(VALU_DEP_3) | instskip(NEXT) | instid1(VALU_DEP_3)
	v_add_f32_e32 v4, v5, v7
	v_fma_f32 v3, v12, v18, -v3
	s_delay_alu instid0(VALU_DEP_2) | instskip(SKIP_1) | instid1(VALU_DEP_2)
	v_add_f32_e32 v4, v4, v9
	v_mov_b32_e32 v44, 0
	v_dual_add_f32 v2, v2, v3 :: v_dual_add_f32 v3, v4, v6
	ds_store_b64 v94, v[2:3]
	s_wait_loadcnt_dscnt 0x0
	s_barrier_signal -1
	s_barrier_wait -1
	global_inv scope:SCOPE_SE
	s_and_saveexec_b32 s60, s15
	s_cbranch_execz .LBB14_51
; %bb.50:                               ;   in Loop: Header=BB14_4 Depth=1
	ds_load_2addr_b64 v[2:5], v91 offset1:7
	ds_load_2addr_b64 v[6:9], v91 offset0:1 offset1:2
	ds_load_2addr_b64 v[10:13], v91 offset0:3 offset1:4
	;; [unrolled: 1-line block ×3, first 2 shown]
	s_wait_dscnt 0x2
	v_dual_add_f32 v2, v6, v2 :: v_dual_add_f32 v3, v7, v3
	s_delay_alu instid0(VALU_DEP_1) | instskip(SKIP_1) | instid1(VALU_DEP_1)
	v_dual_add_f32 v2, v8, v2 :: v_dual_add_f32 v3, v9, v3
	s_wait_dscnt 0x1
	v_dual_add_f32 v2, v2, v10 :: v_dual_add_f32 v3, v3, v11
	s_delay_alu instid0(VALU_DEP_1) | instskip(SKIP_1) | instid1(VALU_DEP_1)
	v_dual_add_f32 v2, v2, v12 :: v_dual_add_f32 v3, v3, v13
	s_wait_dscnt 0x0
	v_dual_add_f32 v2, v2, v18 :: v_dual_add_f32 v3, v3, v19
	s_delay_alu instid0(VALU_DEP_1) | instskip(NEXT) | instid1(VALU_DEP_1)
	v_dual_add_f32 v2, v2, v20 :: v_dual_add_f32 v3, v3, v21
	v_dual_add_f32 v44, v2, v4 :: v_dual_add_f32 v45, v3, v5
.LBB14_51:                              ;   in Loop: Header=BB14_4 Depth=1
	s_wait_alu 0xfffe
	s_or_b32 exec_lo, exec_lo, s60
	v_add_co_u32 v0, vcc_lo, v0, s52
	s_wait_alu 0xfffd
	v_add_co_ci_u32_e64 v1, null, s53, v1, vcc_lo
	s_and_not1_b32 vcc_lo, exec_lo, s33
	s_mov_b32 s60, -1
	s_wait_loadcnt 0x0
	s_barrier_signal -1
	s_barrier_wait -1
	global_inv scope:SCOPE_SE
	s_wait_alu 0xfffe
	s_cbranch_vccnz .LBB14_53
; %bb.52:                               ;   in Loop: Header=BB14_4 Depth=1
	s_lshl_b64 s[60:61], s[38:39], 3
	s_wait_alu 0xfffe
	v_add_co_u32 v2, vcc_lo, v0, s60
	s_wait_alu 0xfffd
	v_add_co_ci_u32_e64 v3, null, s61, v1, vcc_lo
	s_mov_b32 s60, 0
	v_add_co_u32 v4, vcc_lo, v2, s44
	s_wait_alu 0xfffd
	v_add_co_ci_u32_e64 v5, null, s45, v3, vcc_lo
	s_delay_alu instid0(VALU_DEP_2) | instskip(SKIP_1) | instid1(VALU_DEP_2)
	v_add_co_u32 v6, vcc_lo, v4, s44
	s_wait_alu 0xfffd
	v_add_co_ci_u32_e64 v7, null, s45, v5, vcc_lo
	s_clause 0x3
	global_load_b64 v[8:9], v[0:1], off offset:256
	global_load_b64 v[2:3], v[2:3], off offset:256
	;; [unrolled: 1-line block ×4, first 2 shown]
	s_wait_loadcnt 0x3
	ds_store_b64 v105, v[8:9]
	s_wait_loadcnt 0x2
	ds_store_b64 v105, v[2:3] offset:2112
	s_wait_loadcnt 0x1
	ds_store_b64 v105, v[4:5] offset:4224
	;; [unrolled: 2-line block ×3, first 2 shown]
.LBB14_53:                              ;   in Loop: Header=BB14_4 Depth=1
	v_add_co_u32 v2, vcc_lo, 0x100, v0
	s_wait_alu 0xfffd
	v_add_co_ci_u32_e64 v3, null, 0, v1, vcc_lo
	s_wait_alu 0xfffe
	s_and_not1_b32 vcc_lo, exec_lo, s60
	s_wait_alu 0xfffe
	s_cbranch_vccnz .LBB14_65
; %bb.54:                               ;   in Loop: Header=BB14_4 Depth=1
	s_and_saveexec_b32 s60, s17
	s_wait_alu 0xfffe
	s_xor_b32 s60, exec_lo, s60
; %bb.55:                               ;   in Loop: Header=BB14_4 Depth=1
	v_mov_b32_e32 v32, v33
	ds_store_b64 v105, v[32:33]
; %bb.56:                               ;   in Loop: Header=BB14_4 Depth=1
	s_wait_alu 0xfffe
	s_or_saveexec_b32 s60, s60
	v_add_co_u32 v0, vcc_lo, v0, v34
	s_wait_alu 0xfffd
	v_add_co_ci_u32_e64 v1, null, v1, v35, vcc_lo
	s_lshl_b64 s[62:63], s[26:27], 3
	s_wait_alu 0xfffe
	v_add_co_u32 v0, vcc_lo, v0, s62
	s_wait_alu 0xfffd
	v_add_co_ci_u32_e64 v1, null, s63, v1, vcc_lo
	s_delay_alu instid0(VALU_DEP_2) | instskip(SKIP_1) | instid1(VALU_DEP_2)
	v_add_co_u32 v0, vcc_lo, v0, -8
	s_wait_alu 0xfffd
	v_add_co_ci_u32_e64 v1, null, -1, v1, vcc_lo
	s_delay_alu instid0(VALU_DEP_2) | instskip(NEXT) | instid1(VALU_DEP_2)
	v_cndmask_b32_e64 v0, v0, v2, s16
	v_cndmask_b32_e64 v1, v1, v3, s16
	s_xor_b32 exec_lo, exec_lo, s60
	s_cbranch_execnz .LBB14_124
; %bb.57:                               ;   in Loop: Header=BB14_4 Depth=1
	s_or_b32 exec_lo, exec_lo, s60
	s_and_saveexec_b32 s60, s18
	s_wait_alu 0xfffe
	s_xor_b32 s60, exec_lo, s60
	s_cbranch_execnz .LBB14_125
.LBB14_58:                              ;   in Loop: Header=BB14_4 Depth=1
	s_wait_alu 0xfffe
	s_and_not1_saveexec_b32 s60, s60
	s_cbranch_execnz .LBB14_126
.LBB14_59:                              ;   in Loop: Header=BB14_4 Depth=1
	s_wait_alu 0xfffe
	s_or_b32 exec_lo, exec_lo, s60
	s_and_saveexec_b32 s60, s19
	s_wait_alu 0xfffe
	s_xor_b32 s60, exec_lo, s60
	s_cbranch_execnz .LBB14_127
.LBB14_60:                              ;   in Loop: Header=BB14_4 Depth=1
	s_wait_alu 0xfffe
	s_and_not1_saveexec_b32 s60, s60
	s_cbranch_execnz .LBB14_128
.LBB14_61:                              ;   in Loop: Header=BB14_4 Depth=1
	s_wait_alu 0xfffe
	s_or_b32 exec_lo, exec_lo, s60
	s_and_saveexec_b32 s60, s20
	s_wait_alu 0xfffe
	s_xor_b32 s60, exec_lo, s60
	s_cbranch_execnz .LBB14_129
.LBB14_62:                              ;   in Loop: Header=BB14_4 Depth=1
	s_wait_alu 0xfffe
	s_and_not1_saveexec_b32 s60, s60
	s_cbranch_execz .LBB14_64
.LBB14_63:                              ;   in Loop: Header=BB14_4 Depth=1
	s_lshl_b64 s[62:63], s[42:43], 3
	s_wait_alu 0xfffe
	v_add_co_u32 v4, vcc_lo, v0, s62
	s_wait_alu 0xfffd
	v_add_co_ci_u32_e64 v5, null, s63, v1, vcc_lo
	global_load_b64 v[4:5], v[4:5], off
	s_wait_loadcnt 0x0
	ds_store_b64 v105, v[4:5] offset:6336
.LBB14_64:                              ;   in Loop: Header=BB14_4 Depth=1
	s_wait_alu 0xfffe
	s_or_b32 exec_lo, exec_lo, s60
	v_add_co_u32 v0, vcc_lo, v0, v110
	s_wait_alu 0xfffd
	v_add_co_ci_u32_e64 v1, null, 0, v1, vcc_lo
	s_lshl_b64 s[60:61], s[46:47], 3
	s_wait_alu 0xfffe
	v_add_co_u32 v0, vcc_lo, v0, s60
	s_wait_alu 0xfffd
	v_add_co_ci_u32_e64 v1, null, s61, v1, vcc_lo
	s_delay_alu instid0(VALU_DEP_2) | instskip(SKIP_1) | instid1(VALU_DEP_2)
	v_add_co_u32 v0, vcc_lo, 0x108, v0
	s_wait_alu 0xfffd
	v_add_co_ci_u32_e64 v1, null, 0, v1, vcc_lo
	s_delay_alu instid0(VALU_DEP_2) | instskip(NEXT) | instid1(VALU_DEP_2)
	v_cndmask_b32_e64 v2, v0, v2, s16
	v_cndmask_b32_e64 v3, v1, v3, s16
.LBB14_65:                              ;   in Loop: Header=BB14_4 Depth=1
	s_mov_b32 s60, 0
	s_wait_loadcnt_dscnt 0x0
	s_barrier_signal -1
	s_barrier_wait -1
	global_inv scope:SCOPE_SE
	s_and_saveexec_b32 s61, s7
	s_wait_alu 0xfffe
	s_xor_b32 s61, exec_lo, s61
; %bb.66:                               ;   in Loop: Header=BB14_4 Depth=1
	s_and_b32 s60, s8, exec_lo
; %bb.67:                               ;   in Loop: Header=BB14_4 Depth=1
	s_wait_alu 0xfffe
	s_or_saveexec_b32 s61, s61
	v_dual_mov_b32 v0, 0 :: v_dual_mov_b32 v1, v87
	s_wait_alu 0xfffe
	s_xor_b32 exec_lo, exec_lo, s61
	s_cbranch_execz .LBB14_69
; %bb.68:                               ;   in Loop: Header=BB14_4 Depth=1
	ds_load_b64 v[4:5], v106
	v_mov_b32_e32 v1, v88
	s_or_b32 s60, s60, exec_lo
	s_wait_dscnt 0x0
	v_xor_b32_e32 v0, 0x80000000, v5
	ds_store_b32 v88, v4
.LBB14_69:                              ;   in Loop: Header=BB14_4 Depth=1
	s_or_b32 exec_lo, exec_lo, s61
	s_wait_alu 0xfffe
	s_and_saveexec_b32 s61, s60
; %bb.70:                               ;   in Loop: Header=BB14_4 Depth=1
	ds_store_b32 v1, v0 offset:4
; %bb.71:                               ;   in Loop: Header=BB14_4 Depth=1
	s_wait_alu 0xfffe
	s_or_b32 exec_lo, exec_lo, s61
	s_mov_b32 s60, 0
	s_and_saveexec_b32 s61, s9
	s_wait_alu 0xfffe
	s_xor_b32 s61, exec_lo, s61
; %bb.72:                               ;   in Loop: Header=BB14_4 Depth=1
	s_and_b32 s60, s10, exec_lo
; %bb.73:                               ;   in Loop: Header=BB14_4 Depth=1
	s_wait_alu 0xfffe
	s_or_saveexec_b32 s61, s61
	v_dual_mov_b32 v0, 0 :: v_dual_mov_b32 v1, v87
	s_wait_alu 0xfffe
	s_xor_b32 exec_lo, exec_lo, s61
	s_cbranch_execz .LBB14_75
; %bb.74:                               ;   in Loop: Header=BB14_4 Depth=1
	ds_load_b64 v[4:5], v107
	v_mov_b32_e32 v1, v89
	s_or_b32 s60, s60, exec_lo
	s_wait_dscnt 0x0
	v_xor_b32_e32 v0, 0x80000000, v5
	ds_store_b32 v89, v4
.LBB14_75:                              ;   in Loop: Header=BB14_4 Depth=1
	s_or_b32 exec_lo, exec_lo, s61
	s_wait_alu 0xfffe
	s_and_saveexec_b32 s61, s60
; %bb.76:                               ;   in Loop: Header=BB14_4 Depth=1
	ds_store_b32 v1, v0 offset:4
; %bb.77:                               ;   in Loop: Header=BB14_4 Depth=1
	s_wait_alu 0xfffe
	s_or_b32 exec_lo, exec_lo, s61
	s_mov_b32 s60, 0
	s_and_saveexec_b32 s61, s11
	s_wait_alu 0xfffe
	s_xor_b32 s61, exec_lo, s61
; %bb.78:                               ;   in Loop: Header=BB14_4 Depth=1
	s_and_b32 s60, s12, exec_lo
; %bb.79:                               ;   in Loop: Header=BB14_4 Depth=1
	s_wait_alu 0xfffe
	s_or_saveexec_b32 s61, s61
	v_dual_mov_b32 v0, 0 :: v_dual_mov_b32 v1, v87
	s_wait_alu 0xfffe
	s_xor_b32 exec_lo, exec_lo, s61
	s_cbranch_execz .LBB14_81
; %bb.80:                               ;   in Loop: Header=BB14_4 Depth=1
	ds_load_b64 v[4:5], v107 offset:264
	v_mov_b32_e32 v1, v90
	s_or_b32 s60, s60, exec_lo
	s_wait_dscnt 0x0
	v_xor_b32_e32 v0, 0x80000000, v5
	ds_store_b32 v90, v4
.LBB14_81:                              ;   in Loop: Header=BB14_4 Depth=1
	s_or_b32 exec_lo, exec_lo, s61
	s_wait_alu 0xfffe
	s_and_saveexec_b32 s61, s60
; %bb.82:                               ;   in Loop: Header=BB14_4 Depth=1
	ds_store_b32 v1, v0 offset:4
; %bb.83:                               ;   in Loop: Header=BB14_4 Depth=1
	s_wait_alu 0xfffe
	s_or_b32 exec_lo, exec_lo, s61
	s_mov_b32 s60, 0
	s_and_saveexec_b32 s61, s13
	s_wait_alu 0xfffe
	s_xor_b32 s61, exec_lo, s61
; %bb.84:                               ;   in Loop: Header=BB14_4 Depth=1
	s_and_b32 s60, s14, exec_lo
; %bb.85:                               ;   in Loop: Header=BB14_4 Depth=1
	s_wait_alu 0xfffe
	s_or_saveexec_b32 s61, s61
	v_dual_mov_b32 v0, 0 :: v_dual_mov_b32 v1, v87
	s_wait_alu 0xfffe
	s_xor_b32 exec_lo, exec_lo, s61
	s_cbranch_execz .LBB14_87
; %bb.86:                               ;   in Loop: Header=BB14_4 Depth=1
	ds_load_b64 v[4:5], v107 offset:528
	v_mov_b32_e32 v1, v92
	s_or_b32 s60, s60, exec_lo
	s_wait_dscnt 0x0
	v_xor_b32_e32 v0, 0x80000000, v5
	ds_store_b32 v92, v4
.LBB14_87:                              ;   in Loop: Header=BB14_4 Depth=1
	s_or_b32 exec_lo, exec_lo, s61
	s_wait_alu 0xfffe
	s_and_saveexec_b32 s61, s60
; %bb.88:                               ;   in Loop: Header=BB14_4 Depth=1
	ds_store_b32 v1, v0 offset:4
; %bb.89:                               ;   in Loop: Header=BB14_4 Depth=1
	s_wait_alu 0xfffe
	s_or_b32 exec_lo, exec_lo, s61
	s_wait_loadcnt_dscnt 0x0
	s_barrier_signal -1
	s_barrier_wait -1
	global_inv scope:SCOPE_SE
	ds_load_b64 v[0:1], v106
	ds_load_b128 v[4:7], v93 offset:256
	ds_load_2addr_b64 v[8:11], v107 offset1:33
	ds_load_b128 v[12:15], v93 offset:272
	ds_load_b64 v[18:19], v107 offset:528
	s_wait_loadcnt_dscnt 0x0
	s_barrier_signal -1
	s_barrier_wait -1
	global_inv scope:SCOPE_SE
	v_mul_f32_e32 v20, v5, v1
	v_dual_mul_f32 v1, v4, v1 :: v_dual_mul_f32 v22, v13, v11
	v_mul_f32_e32 v11, v12, v11
	s_delay_alu instid0(VALU_DEP_3) | instskip(SKIP_3) | instid1(VALU_DEP_4)
	v_fma_f32 v4, v4, v0, -v20
	v_mul_f32_e32 v21, v7, v9
	v_mul_f32_e32 v9, v6, v9
	v_dual_fmac_f32 v1, v5, v0 :: v_dual_mul_f32 v0, v15, v19
	v_add_f32_e32 v4, 0, v4
	s_delay_alu instid0(VALU_DEP_4) | instskip(NEXT) | instid1(VALU_DEP_4)
	v_fma_f32 v5, v6, v8, -v21
	v_dual_fmac_f32 v9, v7, v8 :: v_dual_mul_f32 v6, v14, v19
	s_delay_alu instid0(VALU_DEP_4) | instskip(SKIP_1) | instid1(VALU_DEP_4)
	v_add_f32_e32 v1, 0, v1
	v_fma_f32 v7, v12, v10, -v22
	v_dual_add_f32 v4, v4, v5 :: v_dual_fmac_f32 v11, v13, v10
	v_fma_f32 v0, v14, v18, -v0
	v_fmac_f32_e32 v6, v15, v18
	s_delay_alu instid0(VALU_DEP_3) | instskip(NEXT) | instid1(VALU_DEP_1)
	v_dual_add_f32 v4, v4, v7 :: v_dual_add_f32 v1, v1, v9
	v_dual_add_f32 v0, v4, v0 :: v_dual_add_f32 v1, v1, v11
	s_delay_alu instid0(VALU_DEP_1)
	v_add_f32_e32 v1, v1, v6
	ds_store_b64 v94, v[0:1]
	s_wait_loadcnt_dscnt 0x0
	s_barrier_signal -1
	s_barrier_wait -1
	global_inv scope:SCOPE_SE
	s_and_saveexec_b32 s60, s21
	s_cbranch_execz .LBB14_91
; %bb.90:                               ;   in Loop: Header=BB14_4 Depth=1
	ds_load_2addr_b64 v[4:7], v91 offset1:7
	ds_load_2addr_b64 v[8:11], v91 offset0:1 offset1:2
	ds_load_2addr_b64 v[12:15], v91 offset0:3 offset1:4
	;; [unrolled: 1-line block ×3, first 2 shown]
	s_wait_dscnt 0x2
	v_dual_add_f32 v0, v8, v4 :: v_dual_add_f32 v1, v9, v5
	s_delay_alu instid0(VALU_DEP_1) | instskip(SKIP_1) | instid1(VALU_DEP_1)
	v_dual_add_f32 v0, v10, v0 :: v_dual_add_f32 v1, v11, v1
	s_wait_dscnt 0x1
	v_dual_add_f32 v0, v0, v12 :: v_dual_add_f32 v1, v1, v13
	s_delay_alu instid0(VALU_DEP_1) | instskip(SKIP_1) | instid1(VALU_DEP_1)
	v_dual_add_f32 v0, v0, v14 :: v_dual_add_f32 v1, v1, v15
	s_wait_dscnt 0x0
	v_dual_add_f32 v0, v0, v18 :: v_dual_add_f32 v1, v1, v19
	s_delay_alu instid0(VALU_DEP_1) | instskip(NEXT) | instid1(VALU_DEP_1)
	v_dual_add_f32 v0, v0, v20 :: v_dual_add_f32 v1, v1, v21
	v_dual_add_f32 v44, v0, v6 :: v_dual_add_f32 v45, v1, v7
.LBB14_91:                              ;   in Loop: Header=BB14_4 Depth=1
	s_wait_alu 0xfffe
	s_or_b32 exec_lo, exec_lo, s60
	v_add_co_u32 v18, vcc_lo, v2, s54
	s_wait_alu 0xfffd
	v_add_co_ci_u32_e64 v19, null, s55, v3, vcc_lo
	s_and_not1_b32 vcc_lo, exec_lo, s33
	s_mov_b32 s60, -1
	s_wait_loadcnt 0x0
	s_barrier_signal -1
	s_barrier_wait -1
	global_inv scope:SCOPE_SE
	s_wait_alu 0xfffe
	s_cbranch_vccnz .LBB14_93
; %bb.92:                               ;   in Loop: Header=BB14_4 Depth=1
	s_lshl_b64 s[60:61], s[38:39], 3
	s_wait_alu 0xfffe
	v_add_co_u32 v0, vcc_lo, v18, s60
	s_wait_alu 0xfffd
	v_add_co_ci_u32_e64 v1, null, s61, v19, vcc_lo
	s_mov_b32 s60, 0
	v_add_co_u32 v2, vcc_lo, v0, s44
	s_wait_alu 0xfffd
	v_add_co_ci_u32_e64 v3, null, s45, v1, vcc_lo
	s_delay_alu instid0(VALU_DEP_2) | instskip(SKIP_1) | instid1(VALU_DEP_2)
	v_add_co_u32 v4, vcc_lo, v2, s44
	s_wait_alu 0xfffd
	v_add_co_ci_u32_e64 v5, null, s45, v3, vcc_lo
	s_clause 0x3
	global_load_b64 v[6:7], v[18:19], off
	global_load_b64 v[0:1], v[0:1], off
	;; [unrolled: 1-line block ×4, first 2 shown]
	s_wait_loadcnt 0x3
	ds_store_b64 v105, v[6:7]
	s_wait_loadcnt 0x2
	ds_store_b64 v105, v[0:1] offset:2112
	s_wait_loadcnt 0x1
	ds_store_b64 v105, v[2:3] offset:4224
	;; [unrolled: 2-line block ×3, first 2 shown]
.LBB14_93:                              ;   in Loop: Header=BB14_4 Depth=1
	s_wait_alu 0xfffe
	s_and_not1_b32 vcc_lo, exec_lo, s60
	s_wait_alu 0xfffe
	s_cbranch_vccnz .LBB14_105
; %bb.94:                               ;   in Loop: Header=BB14_4 Depth=1
	s_and_saveexec_b32 s60, s3
	s_wait_alu 0xfffe
	s_xor_b32 s60, exec_lo, s60
; %bb.95:                               ;   in Loop: Header=BB14_4 Depth=1
	v_mov_b32_e32 v32, v33
	ds_store_b64 v105, v[32:33]
; %bb.96:                               ;   in Loop: Header=BB14_4 Depth=1
	s_wait_alu 0xfffe
	s_or_saveexec_b32 s60, s60
	v_add_co_u32 v0, vcc_lo, v18, v34
	s_wait_alu 0xfffd
	v_add_co_ci_u32_e64 v1, null, v19, v35, vcc_lo
	s_lshl_b64 s[62:63], s[26:27], 3
	s_wait_alu 0xfffe
	v_add_co_u32 v0, vcc_lo, v0, s62
	s_wait_alu 0xfffd
	v_add_co_ci_u32_e64 v1, null, s63, v1, vcc_lo
	s_delay_alu instid0(VALU_DEP_2) | instskip(SKIP_1) | instid1(VALU_DEP_2)
	v_add_co_u32 v0, vcc_lo, 0xfffffef8, v0
	s_wait_alu 0xfffd
	v_add_co_ci_u32_e64 v1, null, -1, v1, vcc_lo
	s_delay_alu instid0(VALU_DEP_2) | instskip(NEXT) | instid1(VALU_DEP_2)
	v_cndmask_b32_e64 v0, v0, v18, s16
	v_cndmask_b32_e64 v1, v1, v19, s16
	s_xor_b32 exec_lo, exec_lo, s60
	s_cbranch_execnz .LBB14_130
; %bb.97:                               ;   in Loop: Header=BB14_4 Depth=1
	s_or_b32 exec_lo, exec_lo, s60
	s_and_saveexec_b32 s60, s4
	s_wait_alu 0xfffe
	s_xor_b32 s60, exec_lo, s60
	s_cbranch_execnz .LBB14_131
.LBB14_98:                              ;   in Loop: Header=BB14_4 Depth=1
	s_wait_alu 0xfffe
	s_and_not1_saveexec_b32 s60, s60
	s_cbranch_execnz .LBB14_132
.LBB14_99:                              ;   in Loop: Header=BB14_4 Depth=1
	s_wait_alu 0xfffe
	s_or_b32 exec_lo, exec_lo, s60
	s_and_saveexec_b32 s60, s5
	s_wait_alu 0xfffe
	s_xor_b32 s60, exec_lo, s60
	s_cbranch_execnz .LBB14_133
.LBB14_100:                             ;   in Loop: Header=BB14_4 Depth=1
	s_wait_alu 0xfffe
	s_and_not1_saveexec_b32 s60, s60
	s_cbranch_execnz .LBB14_134
.LBB14_101:                             ;   in Loop: Header=BB14_4 Depth=1
	s_wait_alu 0xfffe
	s_or_b32 exec_lo, exec_lo, s60
	s_and_saveexec_b32 s60, s6
	s_wait_alu 0xfffe
	s_xor_b32 s60, exec_lo, s60
	s_cbranch_execnz .LBB14_135
.LBB14_102:                             ;   in Loop: Header=BB14_4 Depth=1
	s_wait_alu 0xfffe
	s_and_not1_saveexec_b32 s60, s60
	s_cbranch_execz .LBB14_104
.LBB14_103:                             ;   in Loop: Header=BB14_4 Depth=1
	s_lshl_b64 s[62:63], s[42:43], 3
	s_wait_alu 0xfffe
	v_add_co_u32 v2, vcc_lo, v0, s62
	s_wait_alu 0xfffd
	v_add_co_ci_u32_e64 v3, null, s63, v1, vcc_lo
	global_load_b64 v[2:3], v[2:3], off
	s_wait_loadcnt 0x0
	ds_store_b64 v105, v[2:3] offset:6336
.LBB14_104:                             ;   in Loop: Header=BB14_4 Depth=1
	s_wait_alu 0xfffe
	s_or_b32 exec_lo, exec_lo, s60
	v_add_co_u32 v0, vcc_lo, v0, v110
	s_wait_alu 0xfffd
	v_add_co_ci_u32_e64 v1, null, 0, v1, vcc_lo
	s_lshl_b64 s[60:61], s[46:47], 3
	s_wait_alu 0xfffe
	v_add_co_u32 v0, vcc_lo, v0, s60
	s_wait_alu 0xfffd
	v_add_co_ci_u32_e64 v1, null, s61, v1, vcc_lo
	s_delay_alu instid0(VALU_DEP_2) | instskip(SKIP_1) | instid1(VALU_DEP_2)
	v_add_co_u32 v0, vcc_lo, 0x108, v0
	s_wait_alu 0xfffd
	v_add_co_ci_u32_e64 v1, null, 0, v1, vcc_lo
	s_delay_alu instid0(VALU_DEP_2) | instskip(NEXT) | instid1(VALU_DEP_2)
	v_cndmask_b32_e64 v18, v0, v18, s16
	v_cndmask_b32_e64 v19, v1, v19, s16
.LBB14_105:                             ;   in Loop: Header=BB14_4 Depth=1
	s_wait_loadcnt_dscnt 0x0
	s_barrier_signal -1
	s_barrier_wait -1
	global_inv scope:SCOPE_SE
	ds_load_b64 v[24:25], v108
	ds_load_b64 v[26:27], v105
	ds_load_b64 v[28:29], v105 offset:2112
	ds_load_2addr_b64 v[20:23], v103 offset0:8 offset1:16
	ds_load_b64 v[30:31], v105 offset:6336
	ds_load_b64 v[46:47], v105 offset:4224
	;; [unrolled: 1-line block ×3, first 2 shown]
	ds_load_b128 v[8:11], v93 offset:256
	ds_load_b128 v[0:3], v93 offset:272
	ds_load_2addr_b64 v[12:15], v95 offset1:1
	ds_load_2addr_b64 v[4:7], v95 offset0:2 offset1:3
	s_wait_loadcnt_dscnt 0x0
	s_barrier_signal -1
	s_barrier_wait -1
	global_inv scope:SCOPE_SE
	v_mul_f32_e32 v32, v25, v27
	v_dual_mul_f32 v27, v24, v27 :: v_dual_mul_f32 v50, v21, v29
	v_mul_f32_e32 v29, v20, v29
	s_delay_alu instid0(VALU_DEP_3) | instskip(SKIP_1) | instid1(VALU_DEP_4)
	v_fma_f32 v24, v24, v26, -v32
	v_mul_f32_e32 v52, v49, v31
	v_dual_fmac_f32 v27, v25, v26 :: v_dual_mul_f32 v26, v48, v31
	v_fma_f32 v20, v20, v28, -v50
	v_fmac_f32_e32 v29, v21, v28
	v_add_f32_e32 v21, 0, v24
	v_mul_f32_e32 v51, v23, v47
	v_dual_mul_f32 v25, v22, v47 :: v_dual_fmac_f32 v26, v49, v30
	v_add_f32_e32 v24, 0, v27
	s_delay_alu instid0(VALU_DEP_4) | instskip(NEXT) | instid1(VALU_DEP_4)
	v_add_f32_e32 v20, v21, v20
	v_fma_f32 v22, v22, v46, -v51
	s_delay_alu instid0(VALU_DEP_3) | instskip(NEXT) | instid1(VALU_DEP_2)
	v_add_f32_e32 v21, v24, v29
	v_add_f32_e32 v20, v20, v22
	v_fmac_f32_e32 v25, v23, v46
	v_fma_f32 v23, v48, v30, -v52
	s_delay_alu instid0(VALU_DEP_1) | instskip(NEXT) | instid1(VALU_DEP_1)
	v_dual_add_f32 v20, v20, v23 :: v_dual_add_f32 v21, v21, v25
	v_add_f32_e32 v21, v21, v26
	ds_store_b64 v94, v[20:21]
	s_wait_loadcnt_dscnt 0x0
	s_barrier_signal -1
	s_barrier_wait -1
	global_inv scope:SCOPE_SE
	s_and_saveexec_b32 s60, s21
	s_cbranch_execz .LBB14_107
; %bb.106:                              ;   in Loop: Header=BB14_4 Depth=1
	ds_load_2addr_b64 v[20:23], v91 offset1:1
	ds_load_2addr_b64 v[24:27], v91 offset0:2 offset1:3
	ds_load_2addr_b64 v[28:31], v91 offset0:4 offset1:5
	s_wait_dscnt 0x2
	v_dual_add_f32 v20, v44, v20 :: v_dual_add_f32 v21, v45, v21
	s_delay_alu instid0(VALU_DEP_1) | instskip(SKIP_1) | instid1(VALU_DEP_1)
	v_add_f32_e32 v44, v21, v23
	s_wait_dscnt 0x1
	v_add_f32_e32 v25, v44, v25
	s_delay_alu instid0(VALU_DEP_3) | instskip(SKIP_3) | instid1(VALU_DEP_1)
	v_add_f32_e32 v32, v20, v22
	ds_load_2addr_b64 v[20:23], v91 offset0:6 offset1:7
	v_dual_add_f32 v25, v25, v27 :: v_dual_add_f32 v24, v32, v24
	s_wait_dscnt 0x1
	v_dual_add_f32 v25, v25, v29 :: v_dual_add_f32 v24, v24, v26
	s_delay_alu instid0(VALU_DEP_1) | instskip(SKIP_1) | instid1(VALU_DEP_1)
	v_dual_add_f32 v25, v25, v31 :: v_dual_add_f32 v24, v24, v28
	s_wait_dscnt 0x0
	v_dual_add_f32 v21, v25, v21 :: v_dual_add_f32 v24, v24, v30
	s_delay_alu instid0(VALU_DEP_1) | instskip(NEXT) | instid1(VALU_DEP_1)
	v_dual_add_f32 v45, v21, v23 :: v_dual_add_f32 v20, v24, v20
	v_add_f32_e32 v44, v20, v22
.LBB14_107:                             ;   in Loop: Header=BB14_4 Depth=1
	s_wait_alu 0xfffe
	s_or_b32 exec_lo, exec_lo, s60
	v_dual_mul_f32 v20, v13, v9 :: v_dual_mul_f32 v21, v15, v11
	v_dual_mul_f32 v15, v15, v10 :: v_dual_mul_f32 v22, v5, v1
	s_wait_loadcnt 0x0
	s_delay_alu instid0(VALU_DEP_2) | instskip(NEXT) | instid1(VALU_DEP_2)
	v_dual_fmac_f32 v20, v12, v8 :: v_dual_fmac_f32 v21, v14, v10
	v_fma_f32 v11, v14, v11, -v15
	v_mul_f32_e32 v5, v5, v0
	v_fmac_f32_e32 v22, v4, v0
	s_delay_alu instid0(VALU_DEP_4)
	v_add_f32_e32 v10, 0, v20
	v_mul_f32_e32 v13, v13, v8
	s_barrier_signal -1
	v_fma_f32 v1, v4, v1, -v5
	s_barrier_wait -1
	v_add_f32_e32 v0, v10, v21
	v_fma_f32 v8, v12, v9, -v13
	v_mul_f32_e32 v9, v7, v3
	global_inv scope:SCOPE_SE
	v_dual_mul_f32 v7, v7, v2 :: v_dual_add_f32 v8, 0, v8
	v_fmac_f32_e32 v9, v6, v2
	v_add_f32_e32 v0, v0, v22
	s_delay_alu instid0(VALU_DEP_3) | instskip(NEXT) | instid1(VALU_DEP_4)
	v_fma_f32 v2, v6, v3, -v7
	v_add_f32_e32 v4, v8, v11
	s_delay_alu instid0(VALU_DEP_1) | instskip(NEXT) | instid1(VALU_DEP_1)
	v_add_f32_e32 v1, v4, v1
	v_dual_add_f32 v0, v0, v9 :: v_dual_add_f32 v1, v1, v2
	ds_store_b64 v94, v[0:1]
	s_wait_loadcnt_dscnt 0x0
	s_barrier_signal -1
	s_barrier_wait -1
	global_inv scope:SCOPE_SE
	s_and_saveexec_b32 s60, s15
	s_cbranch_execz .LBB14_109
; %bb.108:                              ;   in Loop: Header=BB14_4 Depth=1
	ds_load_2addr_b64 v[0:3], v91 offset1:1
	ds_load_2addr_b64 v[4:7], v91 offset0:2 offset1:3
	ds_load_2addr_b64 v[8:11], v91 offset0:4 offset1:5
	s_wait_dscnt 0x2
	v_dual_add_f32 v0, v44, v0 :: v_dual_add_f32 v1, v45, v1
	s_delay_alu instid0(VALU_DEP_1) | instskip(SKIP_3) | instid1(VALU_DEP_1)
	v_dual_add_f32 v12, v0, v2 :: v_dual_add_f32 v13, v1, v3
	ds_load_2addr_b64 v[0:3], v91 offset0:6 offset1:7
	s_wait_dscnt 0x2
	v_dual_add_f32 v4, v12, v4 :: v_dual_add_f32 v5, v13, v5
	v_dual_add_f32 v4, v4, v6 :: v_dual_add_f32 v5, v5, v7
	s_wait_dscnt 0x1
	s_delay_alu instid0(VALU_DEP_1) | instskip(NEXT) | instid1(VALU_DEP_1)
	v_dual_add_f32 v4, v4, v8 :: v_dual_add_f32 v5, v5, v9
	v_dual_add_f32 v4, v4, v10 :: v_dual_add_f32 v5, v5, v11
	s_wait_dscnt 0x0
	s_delay_alu instid0(VALU_DEP_1) | instskip(NEXT) | instid1(VALU_DEP_1)
	v_dual_add_f32 v0, v4, v0 :: v_dual_add_f32 v1, v5, v1
	v_dual_add_f32 v44, v0, v2 :: v_dual_add_f32 v45, v1, v3
.LBB14_109:                             ;   in Loop: Header=BB14_4 Depth=1
	s_wait_alu 0xfffe
	s_or_b32 exec_lo, exec_lo, s60
	s_mul_u64 s[60:61], s[30:31], s[34:35]
	s_and_not1_b32 vcc_lo, exec_lo, s64
	s_wait_alu 0xfffe
	s_lshl_b64 s[60:61], s[60:61], 3
	s_wait_loadcnt 0x0
	s_wait_alu 0xfffe
	s_add_nc_u64 s[60:61], s[36:37], s[60:61]
	s_barrier_signal -1
	s_barrier_wait -1
	global_inv scope:SCOPE_SE
	s_cbranch_vccnz .LBB14_116
; %bb.110:                              ;   in Loop: Header=BB14_4 Depth=1
	v_add_co_u32 v0, vcc_lo, v18, s58
	s_wait_alu 0xfffd
	v_add_co_ci_u32_e64 v1, null, s59, v19, vcc_lo
	s_lshl_b64 s[62:63], s[26:27], 3
	v_add_co_u32 v0, vcc_lo, v0, v36
	s_wait_alu 0xfffd
	v_add_co_ci_u32_e64 v1, null, v1, v37, vcc_lo
	v_mov_b32_e32 v32, v80
	s_delay_alu instid0(VALU_DEP_3) | instskip(SKIP_1) | instid1(VALU_DEP_3)
	v_add_co_u32 v0, vcc_lo, v0, v38
	s_wait_alu 0xfffd
	v_add_co_ci_u32_e64 v1, null, v1, v39, vcc_lo
	s_mov_b32 s68, ttmp9
	v_add_co_u32 v2, vcc_lo, v0, v40
	s_wait_alu 0xfffd
	v_add_co_ci_u32_e64 v3, null, v1, v41, vcc_lo
	s_wait_alu 0xfffe
	s_delay_alu instid0(VALU_DEP_2) | instskip(SKIP_1) | instid1(VALU_DEP_2)
	v_add_co_u32 v2, vcc_lo, v2, s62
	s_wait_alu 0xfffd
	v_add_co_ci_u32_e64 v3, null, s63, v3, vcc_lo
	v_add_co_u32 v0, vcc_lo, 0xffffff00, v0
	s_wait_alu 0xfffd
	v_add_co_ci_u32_e64 v1, null, -1, v1, vcc_lo
	v_add_co_u32 v2, vcc_lo, 0xfffffef8, v2
	s_wait_alu 0xfffd
	v_add_co_ci_u32_e64 v3, null, -1, v3, vcc_lo
	v_add_co_u32 v111, vcc_lo, v16, s56
	s_wait_alu 0xfffd
	v_add_co_ci_u32_e64 v112, null, s57, v17, vcc_lo
	s_delay_alu instid0(VALU_DEP_3)
	v_cndmask_b32_e64 v1, v1, v3, s1
	v_cndmask_b32_e64 v0, v0, v2, s1
	s_mov_b32 s62, 0
	s_branch .LBB14_112
.LBB14_111:                             ;   in Loop: Header=BB14_112 Depth=2
	s_wait_alu 0xfffe
	s_or_b32 exec_lo, exec_lo, s63
	v_mul_f32_e32 v113, v47, v1
	v_dual_mul_f32 v1, v46, v1 :: v_dual_mul_f32 v114, v51, v3
	v_mul_f32_e32 v3, v50, v3
	s_add_co_i32 s68, s68, -1
	s_delay_alu instid0(VALU_DEP_3) | instskip(NEXT) | instid1(VALU_DEP_3)
	v_fma_f32 v46, v46, v0, -v113
	v_fmac_f32_e32 v1, v47, v0
	v_fma_f32 v50, v50, v2, -v114
	s_add_co_i32 s62, s62, s65
	s_cmp_eq_u32 s68, 0
	v_dual_add_f32 v44, v44, v46 :: v_dual_mul_f32 v115, v53, v5
	v_dual_mul_f32 v46, v61, v13 :: v_dual_fmac_f32 v3, v51, v2
	v_mul_f32_e32 v5, v52, v5
	s_delay_alu instid0(VALU_DEP_3) | instskip(NEXT) | instid1(VALU_DEP_4)
	v_add_f32_e32 v44, v44, v50
	v_fma_f32 v0, v52, v4, -v115
	v_mul_f32_e32 v113, v49, v7
	v_mul_f32_e32 v7, v48, v7
	v_mul_f32_e32 v13, v60, v13
	s_wait_loadcnt 0x0
	s_wait_storecnt 0x0
	v_add_f32_e32 v0, v44, v0
	v_fma_f32 v2, v48, v6, -v113
	s_barrier_signal -1
	s_barrier_wait -1
	global_inv scope:SCOPE_SE
	v_add_nc_u32_e32 v32, 64, v32
	v_dual_add_f32 v0, v0, v2 :: v_dual_add_f32 v1, v45, v1
	v_mul_f32_e32 v2, v57, v9
	v_dual_fmac_f32 v7, v49, v6 :: v_dual_mul_f32 v6, v72, v31
	s_delay_alu instid0(VALU_DEP_3) | instskip(SKIP_1) | instid1(VALU_DEP_4)
	v_add_f32_e32 v1, v1, v3
	v_fma_f32 v3, v60, v12, -v46
	v_fma_f32 v2, v56, v8, -v2
	s_delay_alu instid0(VALU_DEP_4) | instskip(NEXT) | instid1(VALU_DEP_3)
	v_fmac_f32_e32 v6, v73, v30
	v_add_f32_e32 v0, v0, v3
	v_mul_f32_e32 v47, v59, v15
	v_mul_f32_e32 v3, v55, v11
	s_delay_alu instid0(VALU_DEP_1) | instskip(SKIP_1) | instid1(VALU_DEP_4)
	v_fma_f32 v3, v54, v10, -v3
	v_fmac_f32_e32 v5, v53, v4
	v_fma_f32 v4, v58, v14, -v47
	s_delay_alu instid0(VALU_DEP_1) | instskip(SKIP_1) | instid1(VALU_DEP_2)
	v_dual_add_f32 v0, v0, v4 :: v_dual_mul_f32 v15, v58, v15
	v_mul_f32_e32 v4, v56, v9
	v_add_f32_e32 v0, v0, v2
	s_delay_alu instid0(VALU_DEP_3) | instskip(NEXT) | instid1(VALU_DEP_3)
	v_dual_mul_f32 v2, v69, v17 :: v_dual_fmac_f32 v15, v59, v14
	v_fmac_f32_e32 v4, v57, v8
	s_delay_alu instid0(VALU_DEP_3) | instskip(NEXT) | instid1(VALU_DEP_3)
	v_add_f32_e32 v0, v0, v3
	v_fma_f32 v2, v68, v16, -v2
	v_mul_f32_e32 v3, v67, v19
	s_delay_alu instid0(VALU_DEP_2) | instskip(NEXT) | instid1(VALU_DEP_2)
	v_dual_add_f32 v1, v1, v5 :: v_dual_add_f32 v0, v0, v2
	v_fma_f32 v2, v66, v18, -v3
	v_mul_f32_e32 v3, v65, v21
	s_delay_alu instid0(VALU_DEP_2) | instskip(NEXT) | instid1(VALU_DEP_2)
	v_dual_fmac_f32 v13, v61, v12 :: v_dual_add_f32 v0, v0, v2
	v_fma_f32 v2, v64, v20, -v3
	v_add_f32_e32 v1, v1, v7
	s_delay_alu instid0(VALU_DEP_2) | instskip(NEXT) | instid1(VALU_DEP_1)
	v_dual_mul_f32 v3, v63, v23 :: v_dual_add_f32 v0, v0, v2
	v_fma_f32 v2, v62, v22, -v3
	s_delay_alu instid0(VALU_DEP_3) | instskip(NEXT) | instid1(VALU_DEP_2)
	v_add_f32_e32 v1, v1, v13
	v_dual_mul_f32 v3, v79, v25 :: v_dual_add_f32 v0, v0, v2
	s_delay_alu instid0(VALU_DEP_2) | instskip(NEXT) | instid1(VALU_DEP_2)
	v_add_f32_e32 v1, v1, v15
	v_fma_f32 v2, v78, v24, -v3
	v_mul_f32_e32 v5, v54, v11
	v_mul_f32_e32 v3, v77, v27
	s_delay_alu instid0(VALU_DEP_4) | instskip(NEXT) | instid1(VALU_DEP_4)
	v_dual_add_f32 v1, v1, v4 :: v_dual_mul_f32 v4, v68, v17
	v_add_f32_e32 v0, v0, v2
	s_delay_alu instid0(VALU_DEP_4) | instskip(NEXT) | instid1(VALU_DEP_4)
	v_fmac_f32_e32 v5, v55, v10
	v_fma_f32 v2, v76, v26, -v3
	s_delay_alu instid0(VALU_DEP_4) | instskip(NEXT) | instid1(VALU_DEP_2)
	v_dual_mul_f32 v3, v76, v27 :: v_dual_fmac_f32 v4, v69, v16
	v_add_f32_e32 v0, v0, v2
	v_mul_f32_e32 v2, v74, v29
	v_add_f32_e32 v1, v1, v5
	v_mul_f32_e32 v5, v66, v19
	s_delay_alu instid0(VALU_DEP_3) | instskip(NEXT) | instid1(VALU_DEP_3)
	v_dual_fmac_f32 v3, v77, v26 :: v_dual_fmac_f32 v2, v75, v28
	v_add_f32_e32 v1, v1, v4
	s_delay_alu instid0(VALU_DEP_3) | instskip(NEXT) | instid1(VALU_DEP_1)
	v_dual_fmac_f32 v5, v67, v18 :: v_dual_mul_f32 v4, v64, v21
	v_add_f32_e32 v1, v1, v5
	s_delay_alu instid0(VALU_DEP_2) | instskip(NEXT) | instid1(VALU_DEP_1)
	v_dual_fmac_f32 v4, v65, v20 :: v_dual_mul_f32 v5, v62, v23
	v_add_f32_e32 v1, v1, v4
	s_delay_alu instid0(VALU_DEP_2) | instskip(NEXT) | instid1(VALU_DEP_1)
	v_dual_fmac_f32 v5, v63, v22 :: v_dual_mul_f32 v4, v78, v25
	v_dual_add_f32 v1, v1, v5 :: v_dual_fmac_f32 v4, v79, v24
	v_mul_f32_e32 v5, v75, v29
	s_delay_alu instid0(VALU_DEP_2) | instskip(NEXT) | instid1(VALU_DEP_2)
	v_add_f32_e32 v1, v1, v4
	v_fma_f32 v4, v74, v28, -v5
	v_mul_f32_e32 v5, v73, v31
	s_delay_alu instid0(VALU_DEP_2) | instskip(NEXT) | instid1(VALU_DEP_2)
	v_dual_add_f32 v1, v1, v3 :: v_dual_add_f32 v0, v0, v4
	v_fma_f32 v3, v72, v30, -v5
	s_delay_alu instid0(VALU_DEP_1) | instskip(SKIP_1) | instid1(VALU_DEP_2)
	v_dual_add_f32 v1, v1, v2 :: v_dual_add_f32 v44, v0, v3
	v_add_co_u32 v0, vcc_lo, v70, s50
	v_add_f32_e32 v45, v1, v6
	s_wait_alu 0xfffd
	v_add_co_ci_u32_e64 v1, null, s51, v71, vcc_lo
	s_cbranch_scc1 .LBB14_116
.LBB14_112:                             ;   Parent Loop BB14_4 Depth=1
                                        ; =>  This Inner Loop Header: Depth=2
	s_and_saveexec_b32 s69, s0
	s_cbranch_execz .LBB14_114
; %bb.113:                              ;   in Loop: Header=BB14_112 Depth=2
	s_wait_alu 0xfffe
	s_ashr_i32 s63, s62, 31
	s_wait_alu 0xfffe
	s_lshl_b64 s[70:71], s[62:63], 3
	s_wait_alu 0xfffe
	v_add_co_u32 v2, vcc_lo, v111, s70
	s_wait_alu 0xfffd
	v_add_co_ci_u32_e64 v3, null, s71, v112, vcc_lo
	global_load_b64 v[2:3], v[2:3], off
	s_wait_loadcnt 0x0
	ds_store_b64 v96, v[2:3]
.LBB14_114:                             ;   in Loop: Header=BB14_112 Depth=2
	s_or_b32 exec_lo, exec_lo, s69
	v_add_co_u32 v2, vcc_lo, v0, s48
	s_wait_alu 0xfffd
	v_add_co_ci_u32_e64 v3, null, s49, v1, vcc_lo
	s_wait_loadcnt_dscnt 0x0
	s_barrier_signal -1
	s_barrier_wait -1
	global_inv scope:SCOPE_SE
	s_clause 0x1
	global_load_b64 v[46:47], v[0:1], off
	global_load_b64 v[50:51], v[2:3], off
	v_add_co_u32 v0, vcc_lo, v2, s48
	s_wait_alu 0xfffd
	v_add_co_ci_u32_e64 v1, null, s49, v3, vcc_lo
	s_delay_alu instid0(VALU_DEP_2) | instskip(SKIP_1) | instid1(VALU_DEP_2)
	v_add_co_u32 v8, vcc_lo, v0, s48
	s_wait_alu 0xfffd
	v_add_co_ci_u32_e64 v9, null, s49, v1, vcc_lo
	s_clause 0x1
	global_load_b64 v[52:53], v[0:1], off
	global_load_b64 v[48:49], v[8:9], off
	ds_load_b64 v[10:11], v82
	ds_load_b128 v[0:3], v97
	ds_load_b128 v[4:7], v97 offset:16
	v_add_co_u32 v8, vcc_lo, v8, s50
	s_wait_alu 0xfffd
	v_add_co_ci_u32_e64 v9, null, s51, v9, vcc_lo
	s_delay_alu instid0(VALU_DEP_2) | instskip(SKIP_1) | instid1(VALU_DEP_2)
	v_add_co_u32 v16, vcc_lo, v8, s48
	s_wait_alu 0xfffd
	v_add_co_ci_u32_e64 v17, null, s49, v9, vcc_lo
	s_wait_loadcnt_dscnt 0x302
	v_mul_f32_e32 v12, v47, v11
	v_mul_f32_e32 v13, v47, v10
	s_wait_loadcnt 0x2
	v_mul_f32_e32 v14, v51, v11
	s_wait_loadcnt 0x1
	v_dual_mul_f32 v15, v51, v10 :: v_dual_mul_f32 v18, v53, v11
	s_wait_loadcnt 0x0
	v_mul_f32_e32 v20, v49, v11
	v_mul_f32_e32 v19, v53, v10
	;; [unrolled: 1-line block ×3, first 2 shown]
	v_fmac_f32_e32 v12, v46, v10
	v_fma_f32 v13, v46, v11, -v13
	v_fmac_f32_e32 v14, v50, v10
	v_fma_f32 v15, v50, v11, -v15
	v_fmac_f32_e32 v18, v52, v10
	v_fmac_f32_e32 v20, v48, v10
	v_add_co_u32 v10, vcc_lo, v16, s48
	v_fma_f32 v19, v52, v11, -v19
	v_fma_f32 v21, v48, v11, -v21
	s_wait_alu 0xfffd
	v_add_co_ci_u32_e64 v11, null, s49, v17, vcc_lo
	ds_store_2addr_b64 v98, v[12:13], v[14:15] offset1:67
	ds_store_2addr_b64 v98, v[18:19], v[20:21] offset0:134 offset1:201
	s_wait_dscnt 0x0
	s_barrier_signal -1
	s_barrier_wait -1
	global_inv scope:SCOPE_SE
	ds_load_2addr_b64 v[113:116], v99 offset1:1
	ds_load_2addr_b64 v[117:120], v99 offset0:2 offset1:3
	s_wait_loadcnt_dscnt 0x0
	s_barrier_signal -1
	s_barrier_wait -1
	global_inv scope:SCOPE_SE
	global_load_b64 v[60:61], v[8:9], off
	v_add_co_u32 v8, vcc_lo, v10, s48
	s_wait_alu 0xfffd
	v_add_co_ci_u32_e64 v9, null, s49, v11, vcc_lo
	s_clause 0x2
	global_load_b64 v[58:59], v[16:17], off
	global_load_b64 v[56:57], v[10:11], off
	;; [unrolled: 1-line block ×3, first 2 shown]
	ds_load_b64 v[10:11], v82
	ds_load_b128 v[12:15], v97 offset:128
	v_add_co_u32 v16, vcc_lo, v8, s50
	s_wait_alu 0xfffd
	v_add_co_ci_u32_e64 v17, null, s51, v9, vcc_lo
	s_delay_alu instid0(VALU_DEP_2) | instskip(SKIP_1) | instid1(VALU_DEP_2)
	v_add_co_u32 v18, vcc_lo, v16, s48
	s_wait_alu 0xfffd
	v_add_co_ci_u32_e64 v19, null, s49, v17, vcc_lo
	v_add_f32_e32 v113, 0, v113
	s_delay_alu instid0(VALU_DEP_3) | instskip(SKIP_1) | instid1(VALU_DEP_3)
	v_add_co_u32 v28, vcc_lo, v18, s48
	s_wait_alu 0xfffd
	v_add_co_ci_u32_e64 v29, null, s49, v19, vcc_lo
	s_delay_alu instid0(VALU_DEP_3) | instskip(NEXT) | instid1(VALU_DEP_1)
	v_add_f32_e32 v113, v113, v115
	v_add_f32_e32 v117, v113, v117
	s_delay_alu instid0(VALU_DEP_1)
	v_add_f32_e32 v117, v117, v119
	s_wait_loadcnt_dscnt 0x301
	v_mul_f32_e32 v20, v61, v11
	v_mul_f32_e32 v8, v61, v10
	s_wait_loadcnt 0x1
	v_dual_mul_f32 v22, v59, v11 :: v_dual_mul_f32 v25, v57, v10
	v_dual_mul_f32 v9, v59, v10 :: v_dual_mul_f32 v24, v57, v11
	s_wait_loadcnt 0x0
	v_mul_f32_e32 v27, v55, v10
	v_mul_f32_e32 v26, v55, v11
	v_fmac_f32_e32 v20, v60, v10
	v_fma_f32 v21, v60, v11, -v8
	v_fmac_f32_e32 v22, v58, v10
	v_fma_f32 v23, v58, v11, -v9
	;; [unrolled: 2-line block ×4, first 2 shown]
	ds_load_b128 v[8:11], v97 offset:144
	ds_store_2addr_b64 v98, v[20:21], v[22:23] offset1:67
	ds_store_2addr_b64 v98, v[24:25], v[26:27] offset0:134 offset1:201
	s_wait_dscnt 0x0
	s_barrier_signal -1
	s_barrier_wait -1
	global_inv scope:SCOPE_SE
	ds_load_2addr_b64 v[121:124], v99 offset1:1
	ds_load_2addr_b64 v[125:128], v99 offset0:2 offset1:3
	s_wait_loadcnt_dscnt 0x0
	s_barrier_signal -1
	s_barrier_wait -1
	global_inv scope:SCOPE_SE
	global_load_b64 v[68:69], v[16:17], off
	v_add_co_u32 v16, vcc_lo, v28, s48
	s_wait_alu 0xfffd
	v_add_co_ci_u32_e64 v17, null, s49, v29, vcc_lo
	s_clause 0x1
	global_load_b64 v[66:67], v[18:19], off
	global_load_b64 v[64:65], v[28:29], off
	;; [unrolled: 1-line block ×3, first 2 shown]
	ds_load_b64 v[20:21], v82
	v_add_co_u32 v24, vcc_lo, v16, s50
	s_wait_alu 0xfffd
	v_add_co_ci_u32_e64 v25, null, s51, v17, vcc_lo
	ds_load_b128 v[16:19], v97 offset:256
	v_add_co_u32 v26, vcc_lo, v24, s48
	v_add_f32_e32 v122, 0, v122
	s_wait_alu 0xfffd
	v_add_co_ci_u32_e64 v27, null, s49, v25, vcc_lo
	s_delay_alu instid0(VALU_DEP_3) | instskip(SKIP_4) | instid1(VALU_DEP_3)
	v_add_co_u32 v74, vcc_lo, v26, s48
	v_add_f32_e32 v121, 0, v121
	v_add_f32_e32 v119, v122, v124
	s_wait_alu 0xfffd
	v_add_co_ci_u32_e64 v75, null, s49, v27, vcc_lo
	v_add_f32_e32 v121, v121, v123
	s_wait_loadcnt_dscnt 0x301
	v_dual_add_f32 v123, v119, v126 :: v_dual_mul_f32 v22, v69, v20
	v_mul_f32_e32 v28, v69, v21
	s_wait_loadcnt 0x2
	v_mul_f32_e32 v30, v67, v21
	v_mul_f32_e32 v23, v67, v20
	s_wait_loadcnt 0x0
	v_mul_f32_e32 v72, v63, v21
	v_mul_f32_e32 v70, v65, v21
	;; [unrolled: 1-line block ×3, first 2 shown]
	v_fmac_f32_e32 v30, v66, v20
	v_mul_f32_e32 v73, v63, v20
	v_fmac_f32_e32 v28, v68, v20
	v_fma_f32 v29, v68, v21, -v22
	v_fma_f32 v31, v66, v21, -v23
	v_fmac_f32_e32 v72, v62, v20
	v_fmac_f32_e32 v70, v64, v20
	v_fma_f32 v71, v64, v21, -v71
	v_fma_f32 v73, v62, v21, -v73
	ds_load_b128 v[20:23], v97 offset:272
	ds_store_2addr_b64 v98, v[28:29], v[30:31] offset1:67
	ds_store_2addr_b64 v98, v[70:71], v[72:73] offset0:134 offset1:201
	v_add_co_u32 v70, vcc_lo, v74, s48
	s_wait_alu 0xfffd
	v_add_co_ci_u32_e64 v71, null, s49, v75, vcc_lo
	s_wait_dscnt 0x0
	s_barrier_signal -1
	s_barrier_wait -1
	global_inv scope:SCOPE_SE
	ds_load_2addr_b64 v[129:132], v99 offset1:1
	ds_load_2addr_b64 v[133:136], v99 offset0:2 offset1:3
	s_wait_loadcnt_dscnt 0x0
	s_barrier_signal -1
	s_barrier_wait -1
	global_inv scope:SCOPE_SE
	global_load_b64 v[78:79], v[24:25], off
	global_load_b64 v[76:77], v[26:27], off
	;; [unrolled: 1-line block ×4, first 2 shown]
	ds_load_b64 v[28:29], v82
	ds_load_b128 v[24:27], v97 offset:384
	v_add_f32_e32 v114, 0, v114
	s_delay_alu instid0(VALU_DEP_1) | instskip(NEXT) | instid1(VALU_DEP_1)
	v_add_f32_e32 v114, v114, v116
	v_add_f32_e32 v118, v114, v118
	s_delay_alu instid0(VALU_DEP_1) | instskip(SKIP_2) | instid1(VALU_DEP_2)
	v_add_f32_e32 v118, v118, v120
	v_add_f32_e32 v120, v121, v125
	;; [unrolled: 1-line block ×4, first 2 shown]
	s_delay_alu instid0(VALU_DEP_2) | instskip(NEXT) | instid1(VALU_DEP_1)
	v_dual_add_f32 v121, v121, v131 :: v_dual_add_f32 v120, v123, v128
	v_dual_add_f32 v121, v121, v133 :: v_dual_add_f32 v122, 0, v130
	s_wait_loadcnt_dscnt 0x201
	v_mul_f32_e32 v31, v77, v28
	v_mul_f32_e32 v137, v79, v29
	v_dual_mul_f32 v30, v79, v28 :: v_dual_mul_f32 v139, v77, v29
	s_wait_loadcnt 0x1
	v_mul_f32_e32 v142, v75, v28
	v_mul_f32_e32 v141, v75, v29
	s_wait_loadcnt 0x0
	v_mul_f32_e32 v143, v73, v29
	v_mul_f32_e32 v144, v73, v28
	v_fma_f32 v138, v78, v29, -v30
	v_fma_f32 v140, v76, v29, -v31
	v_fmac_f32_e32 v137, v78, v28
	v_fmac_f32_e32 v139, v76, v28
	v_fma_f32 v142, v74, v29, -v142
	v_fmac_f32_e32 v141, v74, v28
	v_fmac_f32_e32 v143, v72, v28
	v_fma_f32 v144, v72, v29, -v144
	ds_load_b128 v[28:31], v97 offset:400
	ds_store_2addr_b64 v98, v[137:138], v[139:140] offset1:67
	ds_store_2addr_b64 v98, v[141:142], v[143:144] offset0:134 offset1:201
	s_wait_dscnt 0x0
	s_barrier_signal -1
	s_barrier_wait -1
	global_inv scope:SCOPE_SE
	ds_load_2addr_b64 v[137:140], v99 offset1:1
	ds_load_2addr_b64 v[113:116], v99 offset0:2 offset1:3
	s_wait_loadcnt_dscnt 0x0
	s_barrier_signal -1
	s_barrier_wait -1
	global_inv scope:SCOPE_SE
	v_dual_add_f32 v124, 0, v137 :: v_dual_add_f32 v125, 0, v138
	s_delay_alu instid0(VALU_DEP_1) | instskip(NEXT) | instid1(VALU_DEP_1)
	v_dual_add_f32 v124, v124, v139 :: v_dual_add_f32 v125, v125, v140
	v_add_f32_e32 v123, v124, v113
	v_dual_add_f32 v113, v121, v135 :: v_dual_add_f32 v122, v122, v132
	s_delay_alu instid0(VALU_DEP_2) | instskip(NEXT) | instid1(VALU_DEP_2)
	v_dual_add_f32 v124, v125, v114 :: v_dual_add_f32 v115, v123, v115
	v_add_f32_e32 v122, v122, v134
	s_delay_alu instid0(VALU_DEP_2) | instskip(NEXT) | instid1(VALU_DEP_2)
	v_add_f32_e32 v116, v124, v116
	v_add_f32_e32 v114, v122, v136
	ds_store_2addr_b64 v109, v[117:118], v[119:120] offset1:16
	ds_store_2addr_b64 v109, v[113:114], v[115:116] offset0:32 offset1:48
	s_wait_loadcnt_dscnt 0x0
	s_barrier_signal -1
	s_barrier_wait -1
	global_inv scope:SCOPE_SE
	s_and_saveexec_b32 s63, s22
	s_cbranch_execz .LBB14_111
; %bb.115:                              ;   in Loop: Header=BB14_112 Depth=2
	ds_load_b64 v[125:126], v100
	ds_load_2addr_b64 v[113:116], v100 offset0:1 offset1:2
	ds_load_2addr_b64 v[117:120], v100 offset0:3 offset1:4
	;; [unrolled: 1-line block ×3, first 2 shown]
	s_wait_dscnt 0x2
	v_dual_add_f32 v113, v113, v125 :: v_dual_add_f32 v114, v114, v126
	s_delay_alu instid0(VALU_DEP_1) | instskip(SKIP_3) | instid1(VALU_DEP_1)
	v_dual_add_f32 v125, v115, v113 :: v_dual_add_f32 v126, v116, v114
	ds_load_2addr_b64 v[113:116], v100 offset0:7 offset1:8
	s_wait_dscnt 0x2
	v_dual_add_f32 v117, v125, v117 :: v_dual_add_f32 v118, v126, v118
	v_dual_add_f32 v125, v117, v119 :: v_dual_add_f32 v126, v118, v120
	ds_load_2addr_b64 v[117:120], v100 offset0:9 offset1:10
	s_wait_dscnt 0x2
	v_dual_add_f32 v121, v125, v121 :: v_dual_add_f32 v122, v126, v122
	s_delay_alu instid0(VALU_DEP_1) | instskip(SKIP_3) | instid1(VALU_DEP_1)
	v_dual_add_f32 v125, v121, v123 :: v_dual_add_f32 v126, v122, v124
	ds_load_2addr_b64 v[121:124], v100 offset0:11 offset1:12
	s_wait_dscnt 0x2
	v_dual_add_f32 v113, v125, v113 :: v_dual_add_f32 v114, v126, v114
	v_dual_add_f32 v125, v113, v115 :: v_dual_add_f32 v126, v114, v116
	ds_load_2addr_b64 v[113:116], v100 offset0:13 offset1:14
	s_wait_dscnt 0x2
	v_dual_add_f32 v117, v125, v117 :: v_dual_add_f32 v118, v126, v118
	s_delay_alu instid0(VALU_DEP_1) | instskip(SKIP_3) | instid1(VALU_DEP_1)
	v_dual_add_f32 v119, v117, v119 :: v_dual_add_f32 v120, v118, v120
	ds_load_b64 v[117:118], v101
	s_wait_dscnt 0x2
	v_dual_add_f32 v119, v119, v121 :: v_dual_add_f32 v120, v120, v122
	v_dual_add_f32 v119, v119, v123 :: v_dual_add_f32 v120, v120, v124
	s_wait_dscnt 0x1
	s_delay_alu instid0(VALU_DEP_1) | instskip(NEXT) | instid1(VALU_DEP_1)
	v_dual_add_f32 v113, v119, v113 :: v_dual_add_f32 v114, v120, v114
	v_dual_add_f32 v115, v113, v115 :: v_dual_add_f32 v116, v114, v116
	v_lshlrev_b64_e32 v[113:114], 3, v[32:33]
	s_wait_dscnt 0x0
	s_delay_alu instid0(VALU_DEP_2) | instskip(NEXT) | instid1(VALU_DEP_2)
	v_dual_add_f32 v115, v115, v117 :: v_dual_add_f32 v116, v116, v118
	v_add_co_u32 v113, vcc_lo, s60, v113
	s_wait_alu 0xfffd
	s_delay_alu instid0(VALU_DEP_3)
	v_add_co_ci_u32_e64 v114, null, s61, v114, vcc_lo
	global_store_b64 v[113:114], v[115:116], off
	s_branch .LBB14_111
.LBB14_116:                             ;   in Loop: Header=BB14_4 Depth=1
	ds_store_b64 v102, v[44:45]
	s_wait_loadcnt_dscnt 0x0
	s_barrier_signal -1
	s_barrier_wait -1
	global_inv scope:SCOPE_SE
	s_and_saveexec_b32 s62, s66
	s_cbranch_execz .LBB14_2
; %bb.117:                              ;   in Loop: Header=BB14_4 Depth=1
	ds_load_2addr_b64 v[0:3], v81 offset1:67
	ds_load_2addr_b64 v[4:7], v81 offset0:134 offset1:201
	s_wait_dscnt 0x1
	v_dual_add_f32 v0, v2, v0 :: v_dual_add_f32 v1, v3, v1
	s_wait_alu 0xfffe
	v_add_co_u32 v2, vcc_lo, s60, v42
	s_wait_alu 0xfffd
	v_add_co_ci_u32_e64 v3, null, s61, v43, vcc_lo
	s_wait_dscnt 0x0
	v_dual_add_f32 v0, v4, v0 :: v_dual_add_f32 v1, v5, v1
	s_delay_alu instid0(VALU_DEP_1)
	v_dual_add_f32 v0, v0, v6 :: v_dual_add_f32 v1, v1, v7
	global_store_b64 v[2:3], v[0:1], off
	s_branch .LBB14_2
.LBB14_118:                             ;   in Loop: Header=BB14_4 Depth=1
	global_load_b64 v[4:5], v[2:3], off
	s_wait_loadcnt 0x0
	ds_store_b64 v105, v[4:5]
	s_or_b32 exec_lo, exec_lo, s60
	s_and_saveexec_b32 s60, s4
	s_wait_alu 0xfffe
	s_xor_b32 s60, exec_lo, s60
	s_cbranch_execz .LBB14_18
.LBB14_119:                             ;   in Loop: Header=BB14_4 Depth=1
	v_mov_b32_e32 v32, v33
	ds_store_b64 v105, v[32:33] offset:2112
	s_wait_alu 0xfffe
	s_and_not1_saveexec_b32 s60, s60
	s_cbranch_execz .LBB14_19
.LBB14_120:                             ;   in Loop: Header=BB14_4 Depth=1
	s_lshl_b64 s[62:63], s[38:39], 3
	s_wait_alu 0xfffe
	v_add_co_u32 v4, vcc_lo, v2, s62
	s_wait_alu 0xfffd
	v_add_co_ci_u32_e64 v5, null, s63, v3, vcc_lo
	global_load_b64 v[4:5], v[4:5], off
	s_wait_loadcnt 0x0
	ds_store_b64 v105, v[4:5] offset:2112
	s_or_b32 exec_lo, exec_lo, s60
	s_and_saveexec_b32 s60, s5
	s_wait_alu 0xfffe
	s_xor_b32 s60, exec_lo, s60
	s_cbranch_execz .LBB14_20
.LBB14_121:                             ;   in Loop: Header=BB14_4 Depth=1
	v_mov_b32_e32 v32, v33
	ds_store_b64 v105, v[32:33] offset:4224
	s_wait_alu 0xfffe
	s_and_not1_saveexec_b32 s60, s60
	s_cbranch_execz .LBB14_21
.LBB14_122:                             ;   in Loop: Header=BB14_4 Depth=1
	s_lshl_b64 s[62:63], s[40:41], 3
	s_wait_alu 0xfffe
	v_add_co_u32 v4, vcc_lo, v2, s62
	s_wait_alu 0xfffd
	v_add_co_ci_u32_e64 v5, null, s63, v3, vcc_lo
	global_load_b64 v[4:5], v[4:5], off
	s_wait_loadcnt 0x0
	ds_store_b64 v105, v[4:5] offset:4224
	s_or_b32 exec_lo, exec_lo, s60
	s_and_saveexec_b32 s60, s6
	s_wait_alu 0xfffe
	s_xor_b32 s60, exec_lo, s60
	s_cbranch_execz .LBB14_22
.LBB14_123:                             ;   in Loop: Header=BB14_4 Depth=1
	v_mov_b32_e32 v32, v33
	ds_store_b64 v105, v[32:33] offset:6336
	s_wait_alu 0xfffe
	s_and_not1_saveexec_b32 s60, s60
	s_cbranch_execnz .LBB14_23
	s_branch .LBB14_24
.LBB14_124:                             ;   in Loop: Header=BB14_4 Depth=1
	global_load_b64 v[4:5], v[0:1], off
	s_wait_loadcnt 0x0
	ds_store_b64 v105, v[4:5]
	s_or_b32 exec_lo, exec_lo, s60
	s_and_saveexec_b32 s60, s18
	s_wait_alu 0xfffe
	s_xor_b32 s60, exec_lo, s60
	s_cbranch_execz .LBB14_58
.LBB14_125:                             ;   in Loop: Header=BB14_4 Depth=1
	v_mov_b32_e32 v32, v33
	ds_store_b64 v105, v[32:33] offset:2112
	s_wait_alu 0xfffe
	s_and_not1_saveexec_b32 s60, s60
	s_cbranch_execz .LBB14_59
.LBB14_126:                             ;   in Loop: Header=BB14_4 Depth=1
	s_lshl_b64 s[62:63], s[38:39], 3
	s_wait_alu 0xfffe
	v_add_co_u32 v4, vcc_lo, v0, s62
	s_wait_alu 0xfffd
	v_add_co_ci_u32_e64 v5, null, s63, v1, vcc_lo
	global_load_b64 v[4:5], v[4:5], off
	s_wait_loadcnt 0x0
	ds_store_b64 v105, v[4:5] offset:2112
	s_or_b32 exec_lo, exec_lo, s60
	s_and_saveexec_b32 s60, s19
	s_wait_alu 0xfffe
	s_xor_b32 s60, exec_lo, s60
	s_cbranch_execz .LBB14_60
.LBB14_127:                             ;   in Loop: Header=BB14_4 Depth=1
	v_mov_b32_e32 v32, v33
	ds_store_b64 v105, v[32:33] offset:4224
	s_wait_alu 0xfffe
	s_and_not1_saveexec_b32 s60, s60
	s_cbranch_execz .LBB14_61
.LBB14_128:                             ;   in Loop: Header=BB14_4 Depth=1
	s_lshl_b64 s[62:63], s[40:41], 3
	s_wait_alu 0xfffe
	v_add_co_u32 v4, vcc_lo, v0, s62
	s_wait_alu 0xfffd
	v_add_co_ci_u32_e64 v5, null, s63, v1, vcc_lo
	global_load_b64 v[4:5], v[4:5], off
	s_wait_loadcnt 0x0
	ds_store_b64 v105, v[4:5] offset:4224
	s_or_b32 exec_lo, exec_lo, s60
	s_and_saveexec_b32 s60, s20
	s_wait_alu 0xfffe
	s_xor_b32 s60, exec_lo, s60
	s_cbranch_execz .LBB14_62
.LBB14_129:                             ;   in Loop: Header=BB14_4 Depth=1
	v_mov_b32_e32 v32, v33
	ds_store_b64 v105, v[32:33] offset:6336
	s_wait_alu 0xfffe
	s_and_not1_saveexec_b32 s60, s60
	s_cbranch_execnz .LBB14_63
	s_branch .LBB14_64
.LBB14_130:                             ;   in Loop: Header=BB14_4 Depth=1
	global_load_b64 v[2:3], v[0:1], off
	s_wait_loadcnt 0x0
	ds_store_b64 v105, v[2:3]
	s_or_b32 exec_lo, exec_lo, s60
	s_and_saveexec_b32 s60, s4
	s_wait_alu 0xfffe
	s_xor_b32 s60, exec_lo, s60
	s_cbranch_execz .LBB14_98
.LBB14_131:                             ;   in Loop: Header=BB14_4 Depth=1
	v_mov_b32_e32 v32, v33
	ds_store_b64 v105, v[32:33] offset:2112
	s_wait_alu 0xfffe
	s_and_not1_saveexec_b32 s60, s60
	s_cbranch_execz .LBB14_99
.LBB14_132:                             ;   in Loop: Header=BB14_4 Depth=1
	s_lshl_b64 s[62:63], s[38:39], 3
	s_wait_alu 0xfffe
	v_add_co_u32 v2, vcc_lo, v0, s62
	s_wait_alu 0xfffd
	v_add_co_ci_u32_e64 v3, null, s63, v1, vcc_lo
	global_load_b64 v[2:3], v[2:3], off
	s_wait_loadcnt 0x0
	ds_store_b64 v105, v[2:3] offset:2112
	s_or_b32 exec_lo, exec_lo, s60
	s_and_saveexec_b32 s60, s5
	s_wait_alu 0xfffe
	s_xor_b32 s60, exec_lo, s60
	s_cbranch_execz .LBB14_100
.LBB14_133:                             ;   in Loop: Header=BB14_4 Depth=1
	v_mov_b32_e32 v32, v33
	ds_store_b64 v105, v[32:33] offset:4224
	s_wait_alu 0xfffe
	s_and_not1_saveexec_b32 s60, s60
	s_cbranch_execz .LBB14_101
.LBB14_134:                             ;   in Loop: Header=BB14_4 Depth=1
	s_lshl_b64 s[62:63], s[40:41], 3
	s_wait_alu 0xfffe
	v_add_co_u32 v2, vcc_lo, v0, s62
	s_wait_alu 0xfffd
	v_add_co_ci_u32_e64 v3, null, s63, v1, vcc_lo
	global_load_b64 v[2:3], v[2:3], off
	s_wait_loadcnt 0x0
	ds_store_b64 v105, v[2:3] offset:4224
	s_or_b32 exec_lo, exec_lo, s60
	s_and_saveexec_b32 s60, s6
	s_wait_alu 0xfffe
	s_xor_b32 s60, exec_lo, s60
	s_cbranch_execz .LBB14_102
.LBB14_135:                             ;   in Loop: Header=BB14_4 Depth=1
	v_mov_b32_e32 v32, v33
	ds_store_b64 v105, v[32:33] offset:6336
	s_wait_alu 0xfffe
	s_and_not1_saveexec_b32 s60, s60
	s_cbranch_execnz .LBB14_103
	s_branch .LBB14_104
.LBB14_136:
	s_nop 0
	s_sendmsg sendmsg(MSG_DEALLOC_VGPRS)
	s_endpgm
	.section	.rodata,"a",@progbits
	.p2align	6, 0x0
	.amdhsa_kernel _ZL26rocblas_hemvn_kernel_lowerILb1ELi64ELi4ELi33ELi32ELi16Ei19rocblas_complex_numIfEPKS1_PS1_EviT6_lT7_lT5_lS6_lS7_lS5_lT8_i
		.amdhsa_group_segment_fixed_size 9600
		.amdhsa_private_segment_fixed_size 0
		.amdhsa_kernarg_size 376
		.amdhsa_user_sgpr_count 2
		.amdhsa_user_sgpr_dispatch_ptr 0
		.amdhsa_user_sgpr_queue_ptr 0
		.amdhsa_user_sgpr_kernarg_segment_ptr 1
		.amdhsa_user_sgpr_dispatch_id 0
		.amdhsa_user_sgpr_private_segment_size 0
		.amdhsa_wavefront_size32 1
		.amdhsa_uses_dynamic_stack 0
		.amdhsa_enable_private_segment 0
		.amdhsa_system_sgpr_workgroup_id_x 1
		.amdhsa_system_sgpr_workgroup_id_y 0
		.amdhsa_system_sgpr_workgroup_id_z 1
		.amdhsa_system_sgpr_workgroup_info 0
		.amdhsa_system_vgpr_workitem_id 1
		.amdhsa_next_free_vgpr 145
		.amdhsa_next_free_sgpr 72
		.amdhsa_reserve_vcc 1
		.amdhsa_float_round_mode_32 0
		.amdhsa_float_round_mode_16_64 0
		.amdhsa_float_denorm_mode_32 3
		.amdhsa_float_denorm_mode_16_64 3
		.amdhsa_fp16_overflow 0
		.amdhsa_workgroup_processor_mode 1
		.amdhsa_memory_ordered 1
		.amdhsa_forward_progress 1
		.amdhsa_inst_pref_size 75
		.amdhsa_round_robin_scheduling 0
		.amdhsa_exception_fp_ieee_invalid_op 0
		.amdhsa_exception_fp_denorm_src 0
		.amdhsa_exception_fp_ieee_div_zero 0
		.amdhsa_exception_fp_ieee_overflow 0
		.amdhsa_exception_fp_ieee_underflow 0
		.amdhsa_exception_fp_ieee_inexact 0
		.amdhsa_exception_int_div_zero 0
	.end_amdhsa_kernel
	.section	.text._ZL26rocblas_hemvn_kernel_lowerILb1ELi64ELi4ELi33ELi32ELi16Ei19rocblas_complex_numIfEPKS1_PS1_EviT6_lT7_lT5_lS6_lS7_lS5_lT8_i,"axG",@progbits,_ZL26rocblas_hemvn_kernel_lowerILb1ELi64ELi4ELi33ELi32ELi16Ei19rocblas_complex_numIfEPKS1_PS1_EviT6_lT7_lT5_lS6_lS7_lS5_lT8_i,comdat
.Lfunc_end14:
	.size	_ZL26rocblas_hemvn_kernel_lowerILb1ELi64ELi4ELi33ELi32ELi16Ei19rocblas_complex_numIfEPKS1_PS1_EviT6_lT7_lT5_lS6_lS7_lS5_lT8_i, .Lfunc_end14-_ZL26rocblas_hemvn_kernel_lowerILb1ELi64ELi4ELi33ELi32ELi16Ei19rocblas_complex_numIfEPKS1_PS1_EviT6_lT7_lT5_lS6_lS7_lS5_lT8_i
                                        ; -- End function
	.set _ZL26rocblas_hemvn_kernel_lowerILb1ELi64ELi4ELi33ELi32ELi16Ei19rocblas_complex_numIfEPKS1_PS1_EviT6_lT7_lT5_lS6_lS7_lS5_lT8_i.num_vgpr, 145
	.set _ZL26rocblas_hemvn_kernel_lowerILb1ELi64ELi4ELi33ELi32ELi16Ei19rocblas_complex_numIfEPKS1_PS1_EviT6_lT7_lT5_lS6_lS7_lS5_lT8_i.num_agpr, 0
	.set _ZL26rocblas_hemvn_kernel_lowerILb1ELi64ELi4ELi33ELi32ELi16Ei19rocblas_complex_numIfEPKS1_PS1_EviT6_lT7_lT5_lS6_lS7_lS5_lT8_i.numbered_sgpr, 72
	.set _ZL26rocblas_hemvn_kernel_lowerILb1ELi64ELi4ELi33ELi32ELi16Ei19rocblas_complex_numIfEPKS1_PS1_EviT6_lT7_lT5_lS6_lS7_lS5_lT8_i.num_named_barrier, 0
	.set _ZL26rocblas_hemvn_kernel_lowerILb1ELi64ELi4ELi33ELi32ELi16Ei19rocblas_complex_numIfEPKS1_PS1_EviT6_lT7_lT5_lS6_lS7_lS5_lT8_i.private_seg_size, 0
	.set _ZL26rocblas_hemvn_kernel_lowerILb1ELi64ELi4ELi33ELi32ELi16Ei19rocblas_complex_numIfEPKS1_PS1_EviT6_lT7_lT5_lS6_lS7_lS5_lT8_i.uses_vcc, 1
	.set _ZL26rocblas_hemvn_kernel_lowerILb1ELi64ELi4ELi33ELi32ELi16Ei19rocblas_complex_numIfEPKS1_PS1_EviT6_lT7_lT5_lS6_lS7_lS5_lT8_i.uses_flat_scratch, 0
	.set _ZL26rocblas_hemvn_kernel_lowerILb1ELi64ELi4ELi33ELi32ELi16Ei19rocblas_complex_numIfEPKS1_PS1_EviT6_lT7_lT5_lS6_lS7_lS5_lT8_i.has_dyn_sized_stack, 0
	.set _ZL26rocblas_hemvn_kernel_lowerILb1ELi64ELi4ELi33ELi32ELi16Ei19rocblas_complex_numIfEPKS1_PS1_EviT6_lT7_lT5_lS6_lS7_lS5_lT8_i.has_recursion, 0
	.set _ZL26rocblas_hemvn_kernel_lowerILb1ELi64ELi4ELi33ELi32ELi16Ei19rocblas_complex_numIfEPKS1_PS1_EviT6_lT7_lT5_lS6_lS7_lS5_lT8_i.has_indirect_call, 0
	.section	.AMDGPU.csdata,"",@progbits
; Kernel info:
; codeLenInByte = 9540
; TotalNumSgprs: 74
; NumVgprs: 145
; ScratchSize: 0
; MemoryBound: 1
; FloatMode: 240
; IeeeMode: 1
; LDSByteSize: 9600 bytes/workgroup (compile time only)
; SGPRBlocks: 0
; VGPRBlocks: 18
; NumSGPRsForWavesPerEU: 74
; NumVGPRsForWavesPerEU: 145
; Occupancy: 9
; WaveLimiterHint : 1
; COMPUTE_PGM_RSRC2:SCRATCH_EN: 0
; COMPUTE_PGM_RSRC2:USER_SGPR: 2
; COMPUTE_PGM_RSRC2:TRAP_HANDLER: 0
; COMPUTE_PGM_RSRC2:TGID_X_EN: 1
; COMPUTE_PGM_RSRC2:TGID_Y_EN: 0
; COMPUTE_PGM_RSRC2:TGID_Z_EN: 1
; COMPUTE_PGM_RSRC2:TIDIG_COMP_CNT: 1
	.section	.text._ZL36rocblas_hemvn_kernel_lower_block_sumILi64Ei19rocblas_complex_numIfEPS1_S1_EviT1_lS3_lT2_lT0_lPT3_i,"axG",@progbits,_ZL36rocblas_hemvn_kernel_lower_block_sumILi64Ei19rocblas_complex_numIfEPS1_S1_EviT1_lS3_lT2_lT0_lPT3_i,comdat
	.globl	_ZL36rocblas_hemvn_kernel_lower_block_sumILi64Ei19rocblas_complex_numIfEPS1_S1_EviT1_lS3_lT2_lT0_lPT3_i ; -- Begin function _ZL36rocblas_hemvn_kernel_lower_block_sumILi64Ei19rocblas_complex_numIfEPS1_S1_EviT1_lS3_lT2_lT0_lPT3_i
	.p2align	8
	.type	_ZL36rocblas_hemvn_kernel_lower_block_sumILi64Ei19rocblas_complex_numIfEPS1_S1_EviT1_lS3_lT2_lT0_lPT3_i,@function
_ZL36rocblas_hemvn_kernel_lower_block_sumILi64Ei19rocblas_complex_numIfEPS1_S1_EviT1_lS3_lT2_lT0_lPT3_i: ; @_ZL36rocblas_hemvn_kernel_lower_block_sumILi64Ei19rocblas_complex_numIfEPS1_S1_EviT1_lS3_lT2_lT0_lPT3_i
; %bb.0:
	s_load_b32 s20, s[0:1], 0x50
	s_lshr_b32 s2, ttmp7, 16
	s_wait_kmcnt 0x0
	s_cmp_ge_u32 s2, s20
	s_cbranch_scc1 .LBB15_21
; %bb.1:
	s_clause 0x4
	s_load_b64 s[8:9], s[0:1], 0x4
	s_load_b128 s[16:19], s[0:1], 0x28
	s_load_b32 s3, s[0:1], 0x38
	s_load_b32 s24, s[0:1], 0x0
	s_load_b64 s[10:11], s[0:1], 0x18
	v_lshl_or_b32 v0, ttmp9, 6, v0
	s_load_b128 s[4:7], s[0:1], 0x40
	s_wait_kmcnt 0x0
	s_or_b32 s12, s8, s9
	s_lshl_b64 s[14:15], s[18:19], 3
	v_mul_lo_u32 v1, s3, v0
	s_bitset0_b32 s12, 31
	s_add_nc_u64 s[14:15], s[16:17], s[14:15]
	s_cmp_eq_u32 s12, 0
	s_mov_b32 s3, 0
	s_cselect_b32 s21, -1, 0
	s_cmp_lg_u32 s12, 0
	s_add_nc_u64 s[12:13], s[0:1], 0x58
	v_mad_co_u64_u32 v[3:4], null, s24, ttmp9, v[0:1]
	s_cselect_b32 s18, -1, 0
	s_cmp_neq_f32 s10, 1.0
	v_ashrrev_i32_e32 v2, 31, v1
	v_cmp_gt_i32_e64 s0, s24, v0
	s_cselect_b32 s1, -1, 0
	v_ashrrev_i32_e32 v4, 31, v3
	s_cmp_neq_f32 s11, 0
	v_lshlrev_b64_e32 v[0:1], 3, v[1:2]
	s_cselect_b32 s16, -1, 0
	s_delay_alu instid0(VALU_DEP_2) | instskip(SKIP_2) | instid1(VALU_DEP_1)
	v_lshlrev_b64_e32 v[3:4], 3, v[3:4]
	s_cmp_neq_f32 s10, 0
	s_cselect_b32 s17, -1, 0
	v_add_co_u32 v2, vcc_lo, s6, v3
	s_delay_alu instid0(VALU_DEP_1)
	v_add_co_ci_u32_e64 v3, null, s7, v4, vcc_lo
	s_or_b32 s6, s17, s16
	v_add_co_u32 v2, vcc_lo, v2, 4
	s_wait_alu 0xfffd
	v_add_co_ci_u32_e64 v3, null, 0, v3, vcc_lo
	s_wait_alu 0xfffe
	v_cndmask_b32_e64 v6, 0, 1, s6
	s_or_b32 s1, s1, s16
	s_ashr_i32 s25, s24, 31
	s_wait_alu 0xfffe
	s_or_b32 s1, s1, s18
	s_xor_b32 s22, s6, -1
	s_lshl_b64 s[6:7], s[24:25], 3
	s_branch .LBB15_5
.LBB15_2:                               ;   in Loop: Header=BB15_5 Depth=1
	v_add_co_u32 v7, vcc_lo, s16, v0
	s_wait_alu 0xfffd
	v_add_co_ci_u32_e64 v8, null, s17, v1, vcc_lo
	global_store_b64 v[7:8], v[4:5], off
.LBB15_3:                               ;   in Loop: Header=BB15_5 Depth=1
	s_or_b32 exec_lo, exec_lo, s23
.LBB15_4:                               ;   in Loop: Header=BB15_5 Depth=1
	s_add_co_i32 s2, s2, 0x10000
	s_wait_alu 0xfffe
	s_cmp_lt_u32 s2, s20
	s_cbranch_scc0 .LBB15_21
.LBB15_5:                               ; =>This Loop Header: Depth=1
                                        ;     Child Loop BB15_16 Depth 2
	s_wait_alu 0xfffe
	s_and_not1_b32 vcc_lo, exec_lo, s1
	s_wait_alu 0xfffe
	s_cbranch_vccnz .LBB15_4
; %bb.6:                                ;   in Loop: Header=BB15_5 Depth=1
	s_mul_u64 s[16:17], s[4:5], s[2:3]
	s_and_not1_b32 vcc_lo, exec_lo, s21
	s_wait_alu 0xfffe
	s_lshl_b64 s[16:17], s[16:17], 3
	s_mov_b32 s18, -1
	s_wait_alu 0xfffe
	s_add_nc_u64 s[16:17], s[14:15], s[16:17]
	s_cbranch_vccnz .LBB15_12
; %bb.7:                                ;   in Loop: Header=BB15_5 Depth=1
	s_and_saveexec_b32 s18, s0
	s_cbranch_execz .LBB15_11
; %bb.8:                                ;   in Loop: Header=BB15_5 Depth=1
	v_cmp_ne_u32_e32 vcc_lo, 1, v6
	v_dual_mov_b32 v4, 0 :: v_dual_mov_b32 v5, 0
	s_cbranch_vccnz .LBB15_10
; %bb.9:                                ;   in Loop: Header=BB15_5 Depth=1
	s_wait_alu 0xfffe
	v_add_co_u32 v4, vcc_lo, s16, v0
	s_wait_alu 0xfffd
	v_add_co_ci_u32_e64 v5, null, s17, v1, vcc_lo
	global_load_b64 v[7:8], v[4:5], off
	s_wait_loadcnt 0x0
	v_mul_f32_e32 v5, s10, v8
	s_delay_alu instid0(VALU_DEP_1) | instskip(NEXT) | instid1(VALU_DEP_1)
	v_dual_mul_f32 v4, s11, v8 :: v_dual_fmac_f32 v5, s11, v7
	v_fma_f32 v4, v7, s10, -v4
.LBB15_10:                              ;   in Loop: Header=BB15_5 Depth=1
	s_wait_alu 0xfffe
	v_add_co_u32 v7, vcc_lo, s16, v0
	s_wait_alu 0xfffd
	v_add_co_ci_u32_e64 v8, null, s17, v1, vcc_lo
	global_store_b64 v[7:8], v[4:5], off
.LBB15_11:                              ;   in Loop: Header=BB15_5 Depth=1
	s_or_b32 exec_lo, exec_lo, s18
	s_mov_b32 s18, 0
.LBB15_12:                              ;   in Loop: Header=BB15_5 Depth=1
	s_delay_alu instid0(SALU_CYCLE_1)
	s_and_not1_b32 vcc_lo, exec_lo, s18
	s_wait_alu 0xfffe
	s_cbranch_vccnz .LBB15_4
; %bb.13:                               ;   in Loop: Header=BB15_5 Depth=1
	s_and_saveexec_b32 s23, s0
	s_cbranch_execz .LBB15_3
; %bb.14:                               ;   in Loop: Header=BB15_5 Depth=1
	s_load_b32 s18, s[12:13], 0x0
	v_dual_mov_b32 v7, 0 :: v_dual_mov_b32 v8, 0
	s_wait_kmcnt 0x0
	s_cmp_ge_i32 ttmp9, s18
	s_cbranch_scc1 .LBB15_17
; %bb.15:                               ;   in Loop: Header=BB15_5 Depth=1
	s_mov_b32 s19, s3
	v_mov_b32_e32 v7, 0
	s_mul_u64 s[26:27], s[6:7], s[18:19]
	s_mov_b32 s24, ttmp9
	s_wait_alu 0xfffe
	v_mad_co_u64_u32 v[4:5], null, s26, s2, v[2:3]
	s_delay_alu instid0(VALU_DEP_1) | instskip(NEXT) | instid1(VALU_DEP_1)
	v_mad_co_u64_u32 v[8:9], null, s27, s2, v[5:6]
	v_dual_mov_b32 v5, v8 :: v_dual_mov_b32 v8, 0
.LBB15_16:                              ;   Parent Loop BB15_5 Depth=1
                                        ; =>  This Inner Loop Header: Depth=2
	global_load_b64 v[9:10], v[4:5], off offset:-4
	v_add_co_u32 v4, vcc_lo, v4, s6
	s_wait_alu 0xfffd
	v_add_co_ci_u32_e64 v5, null, s7, v5, vcc_lo
	s_wait_alu 0xfffe
	s_add_co_i32 s24, s24, 1
	s_wait_alu 0xfffe
	s_cmp_ge_i32 s24, s18
	s_wait_loadcnt 0x0
	v_dual_add_f32 v8, v8, v9 :: v_dual_add_f32 v7, v7, v10
	s_cbranch_scc0 .LBB15_16
.LBB15_17:                              ;   in Loop: Header=BB15_5 Depth=1
	s_delay_alu instid0(VALU_DEP_1) | instskip(SKIP_3) | instid1(VALU_DEP_2)
	v_mul_f32_e32 v5, s8, v7
	v_mul_f32_e32 v4, s9, v7
	s_and_b32 vcc_lo, exec_lo, s22
	s_mov_b32 s18, -1
	v_fmac_f32_e32 v5, s9, v8
	s_delay_alu instid0(VALU_DEP_2)
	v_fma_f32 v4, v8, s8, -v4
	s_wait_alu 0xfffe
	s_cbranch_vccz .LBB15_19
; %bb.18:                               ;   in Loop: Header=BB15_5 Depth=1
	s_mov_b32 s18, 0
.LBB15_19:                              ;   in Loop: Header=BB15_5 Depth=1
	s_delay_alu instid0(SALU_CYCLE_1)
	s_and_not1_b32 vcc_lo, exec_lo, s18
	s_wait_alu 0xfffe
	s_cbranch_vccnz .LBB15_2
; %bb.20:                               ;   in Loop: Header=BB15_5 Depth=1
	v_add_co_u32 v7, vcc_lo, s16, v0
	s_wait_alu 0xfffd
	v_add_co_ci_u32_e64 v8, null, s17, v1, vcc_lo
	global_load_b64 v[7:8], v[7:8], off
	s_wait_loadcnt 0x0
	v_mul_f32_e32 v9, s11, v8
	v_mul_f32_e32 v8, s10, v8
	s_delay_alu instid0(VALU_DEP_1) | instskip(NEXT) | instid1(VALU_DEP_3)
	v_fmac_f32_e32 v8, s11, v7
	v_fma_f32 v9, v7, s10, -v9
	s_delay_alu instid0(VALU_DEP_1)
	v_dual_add_f32 v5, v5, v8 :: v_dual_add_f32 v4, v4, v9
	s_branch .LBB15_2
.LBB15_21:
	s_endpgm
	.section	.rodata,"a",@progbits
	.p2align	6, 0x0
	.amdhsa_kernel _ZL36rocblas_hemvn_kernel_lower_block_sumILi64Ei19rocblas_complex_numIfEPS1_S1_EviT1_lS3_lT2_lT0_lPT3_i
		.amdhsa_group_segment_fixed_size 0
		.amdhsa_private_segment_fixed_size 0
		.amdhsa_kernarg_size 344
		.amdhsa_user_sgpr_count 2
		.amdhsa_user_sgpr_dispatch_ptr 0
		.amdhsa_user_sgpr_queue_ptr 0
		.amdhsa_user_sgpr_kernarg_segment_ptr 1
		.amdhsa_user_sgpr_dispatch_id 0
		.amdhsa_user_sgpr_private_segment_size 0
		.amdhsa_wavefront_size32 1
		.amdhsa_uses_dynamic_stack 0
		.amdhsa_enable_private_segment 0
		.amdhsa_system_sgpr_workgroup_id_x 1
		.amdhsa_system_sgpr_workgroup_id_y 0
		.amdhsa_system_sgpr_workgroup_id_z 1
		.amdhsa_system_sgpr_workgroup_info 0
		.amdhsa_system_vgpr_workitem_id 0
		.amdhsa_next_free_vgpr 11
		.amdhsa_next_free_sgpr 28
		.amdhsa_reserve_vcc 1
		.amdhsa_float_round_mode_32 0
		.amdhsa_float_round_mode_16_64 0
		.amdhsa_float_denorm_mode_32 3
		.amdhsa_float_denorm_mode_16_64 3
		.amdhsa_fp16_overflow 0
		.amdhsa_workgroup_processor_mode 1
		.amdhsa_memory_ordered 1
		.amdhsa_forward_progress 1
		.amdhsa_inst_pref_size 7
		.amdhsa_round_robin_scheduling 0
		.amdhsa_exception_fp_ieee_invalid_op 0
		.amdhsa_exception_fp_denorm_src 0
		.amdhsa_exception_fp_ieee_div_zero 0
		.amdhsa_exception_fp_ieee_overflow 0
		.amdhsa_exception_fp_ieee_underflow 0
		.amdhsa_exception_fp_ieee_inexact 0
		.amdhsa_exception_int_div_zero 0
	.end_amdhsa_kernel
	.section	.text._ZL36rocblas_hemvn_kernel_lower_block_sumILi64Ei19rocblas_complex_numIfEPS1_S1_EviT1_lS3_lT2_lT0_lPT3_i,"axG",@progbits,_ZL36rocblas_hemvn_kernel_lower_block_sumILi64Ei19rocblas_complex_numIfEPS1_S1_EviT1_lS3_lT2_lT0_lPT3_i,comdat
.Lfunc_end15:
	.size	_ZL36rocblas_hemvn_kernel_lower_block_sumILi64Ei19rocblas_complex_numIfEPS1_S1_EviT1_lS3_lT2_lT0_lPT3_i, .Lfunc_end15-_ZL36rocblas_hemvn_kernel_lower_block_sumILi64Ei19rocblas_complex_numIfEPS1_S1_EviT1_lS3_lT2_lT0_lPT3_i
                                        ; -- End function
	.set _ZL36rocblas_hemvn_kernel_lower_block_sumILi64Ei19rocblas_complex_numIfEPS1_S1_EviT1_lS3_lT2_lT0_lPT3_i.num_vgpr, 11
	.set _ZL36rocblas_hemvn_kernel_lower_block_sumILi64Ei19rocblas_complex_numIfEPS1_S1_EviT1_lS3_lT2_lT0_lPT3_i.num_agpr, 0
	.set _ZL36rocblas_hemvn_kernel_lower_block_sumILi64Ei19rocblas_complex_numIfEPS1_S1_EviT1_lS3_lT2_lT0_lPT3_i.numbered_sgpr, 28
	.set _ZL36rocblas_hemvn_kernel_lower_block_sumILi64Ei19rocblas_complex_numIfEPS1_S1_EviT1_lS3_lT2_lT0_lPT3_i.num_named_barrier, 0
	.set _ZL36rocblas_hemvn_kernel_lower_block_sumILi64Ei19rocblas_complex_numIfEPS1_S1_EviT1_lS3_lT2_lT0_lPT3_i.private_seg_size, 0
	.set _ZL36rocblas_hemvn_kernel_lower_block_sumILi64Ei19rocblas_complex_numIfEPS1_S1_EviT1_lS3_lT2_lT0_lPT3_i.uses_vcc, 1
	.set _ZL36rocblas_hemvn_kernel_lower_block_sumILi64Ei19rocblas_complex_numIfEPS1_S1_EviT1_lS3_lT2_lT0_lPT3_i.uses_flat_scratch, 0
	.set _ZL36rocblas_hemvn_kernel_lower_block_sumILi64Ei19rocblas_complex_numIfEPS1_S1_EviT1_lS3_lT2_lT0_lPT3_i.has_dyn_sized_stack, 0
	.set _ZL36rocblas_hemvn_kernel_lower_block_sumILi64Ei19rocblas_complex_numIfEPS1_S1_EviT1_lS3_lT2_lT0_lPT3_i.has_recursion, 0
	.set _ZL36rocblas_hemvn_kernel_lower_block_sumILi64Ei19rocblas_complex_numIfEPS1_S1_EviT1_lS3_lT2_lT0_lPT3_i.has_indirect_call, 0
	.section	.AMDGPU.csdata,"",@progbits
; Kernel info:
; codeLenInByte = 828
; TotalNumSgprs: 30
; NumVgprs: 11
; ScratchSize: 0
; MemoryBound: 0
; FloatMode: 240
; IeeeMode: 1
; LDSByteSize: 0 bytes/workgroup (compile time only)
; SGPRBlocks: 0
; VGPRBlocks: 1
; NumSGPRsForWavesPerEU: 30
; NumVGPRsForWavesPerEU: 11
; Occupancy: 16
; WaveLimiterHint : 0
; COMPUTE_PGM_RSRC2:SCRATCH_EN: 0
; COMPUTE_PGM_RSRC2:USER_SGPR: 2
; COMPUTE_PGM_RSRC2:TRAP_HANDLER: 0
; COMPUTE_PGM_RSRC2:TGID_X_EN: 1
; COMPUTE_PGM_RSRC2:TGID_Y_EN: 0
; COMPUTE_PGM_RSRC2:TGID_Z_EN: 1
; COMPUTE_PGM_RSRC2:TIDIG_COMP_CNT: 0
	.section	.text._ZL26rocblas_hemvn_kernel_upperILb1ELi64ELi4ELi33ELi32ELi16ElPK19rocblas_complex_numIdES3_PS1_EviT6_lT7_lT5_lS6_lS7_lS5_lT8_i,"axG",@progbits,_ZL26rocblas_hemvn_kernel_upperILb1ELi64ELi4ELi33ELi32ELi16ElPK19rocblas_complex_numIdES3_PS1_EviT6_lT7_lT5_lS6_lS7_lS5_lT8_i,comdat
	.globl	_ZL26rocblas_hemvn_kernel_upperILb1ELi64ELi4ELi33ELi32ELi16ElPK19rocblas_complex_numIdES3_PS1_EviT6_lT7_lT5_lS6_lS7_lS5_lT8_i ; -- Begin function _ZL26rocblas_hemvn_kernel_upperILb1ELi64ELi4ELi33ELi32ELi16ElPK19rocblas_complex_numIdES3_PS1_EviT6_lT7_lT5_lS6_lS7_lS5_lT8_i
	.p2align	8
	.type	_ZL26rocblas_hemvn_kernel_upperILb1ELi64ELi4ELi33ELi32ELi16ElPK19rocblas_complex_numIdES3_PS1_EviT6_lT7_lT5_lS6_lS7_lS5_lT8_i,@function
_ZL26rocblas_hemvn_kernel_upperILb1ELi64ELi4ELi33ELi32ELi16ElPK19rocblas_complex_numIdES3_PS1_EviT6_lT7_lT5_lS6_lS7_lS5_lT8_i: ; @_ZL26rocblas_hemvn_kernel_upperILb1ELi64ELi4ELi33ELi32ELi16ElPK19rocblas_complex_numIdES3_PS1_EviT6_lT7_lT5_lS6_lS7_lS5_lT8_i
; %bb.0:
	s_clause 0x1
	s_load_b64 s[2:3], s[0:1], 0x84
	s_load_b32 s33, s[0:1], 0x70
	s_lshr_b32 s34, ttmp7, 16
	s_wait_kmcnt 0x0
	s_lshr_b32 s4, s2, 16
	s_and_b32 s2, s2, 0xffff
	s_and_b32 s3, s3, 0xffff
	s_mul_i32 s2, s4, s2
	s_delay_alu instid0(SALU_CYCLE_1) | instskip(NEXT) | instid1(SALU_CYCLE_1)
	s_mul_i32 s2, s2, s3
	s_cmp_lg_u32 s2, 0x100
	s_cselect_b32 s2, -1, 0
	s_cmp_ge_u32 s34, s33
	s_cselect_b32 s3, -1, 0
	s_delay_alu instid0(SALU_CYCLE_1) | instskip(NEXT) | instid1(SALU_CYCLE_1)
	s_or_b32 s2, s2, s3
	s_and_b32 vcc_lo, exec_lo, s2
	s_cbranch_vccnz .LBB16_189
; %bb.1:
	s_clause 0x2
	s_load_b32 s2, s[0:1], 0x0
	s_load_b512 s[36:51], s[0:1], 0x8
	s_load_b256 s[24:31], s[0:1], 0x48
	v_and_b32_e32 v177, 0x3ff, v0
	s_lshl_b32 s22, ttmp9, 6
	v_bfe_u32 v11, v0, 10, 10
	s_add_nc_u64 s[6:7], s[0:1], 0x78
	s_delay_alu instid0(VALU_DEP_2) | instskip(SKIP_1) | instid1(VALU_DEP_2)
	v_dual_mov_b32 v1, 0 :: v_dual_add_nc_u32 v2, s22, v177
	s_load_b32 s52, s[6:7], 0x0
	v_lshlrev_b32_e32 v19, 6, v11
	v_and_b32_e32 v4, 31, v0
	s_load_b64 s[6:7], s[0:1], 0x68
	v_ashrrev_i32_e32 v3, 31, v2
	s_mov_b32 s4, ttmp9
	v_add_nc_u32_e32 v12, v19, v177
	s_mov_b32 s35, 0
	v_lshlrev_b32_e32 v197, 2, v11
	s_mov_b32 s53, s35
	v_add_nc_u32_e32 v24, 0x210, v19
	s_wait_kmcnt 0x0
	s_ashr_i32 s3, s2, 31
	s_lshl_b64 s[0:1], s[50:51], 4
	v_mul_lo_u32 v5, s24, v3
	v_mul_lo_u32 v8, s25, v2
	v_mad_co_u64_u32 v[6:7], null, s24, v2, 0
	s_lshr_b32 s5, s3, 26
	s_add_nc_u64 s[0:1], s[48:49], s[0:1]
	s_add_co_i32 s5, s2, s5
	s_add_co_i32 s10, s52, -1
	s_and_not1_b32 s5, s5, 63
	s_lshl_b64 s[8:9], s[42:43], 4
	v_add3_u32 v7, v7, v5, v8
	v_mov_b32_e32 v5, v1
	v_lshrrev_b32_e32 v10, 5, v12
	s_sub_co_i32 s68, s2, s5
	s_cmp_eq_u32 ttmp9, s10
	v_lshlrev_b64_e32 v[6:7], 4, v[6:7]
	s_add_nc_u64 s[8:9], s[40:41], s[8:9]
	v_mad_co_u64_u32 v[8:9], null, s44, v10, v[4:5]
	s_cselect_b32 s40, s68, 0
	s_mul_u64 s[42:43], s[52:53], s[2:3]
	v_add_co_u32 v236, vcc_lo, s0, v6
	s_cmp_lg_u32 s40, 0
	v_add_co_ci_u32_e64 v191, null, s1, v7, vcc_lo
	v_mov_b32_e32 v5, v9
	s_cselect_b32 s69, -1, 0
	s_cmp_eq_u32 s40, 0
	v_cmp_gt_i32_e32 vcc_lo, s40, v177
	s_cselect_b32 s1, -1, 0
	v_mad_co_u64_u32 v[5:6], null, s45, v10, v[5:6]
	v_lshlrev_b32_e32 v180, 4, v177
	s_ashr_i32 s5, ttmp9, 31
	s_ashr_i32 s23, s22, 31
	s_mul_u64 s[4:5], s[2:3], s[4:5]
	v_lshlrev_b32_e32 v20, 4, v4
	s_lshl_b64 s[2:3], s[4:5], 4
	s_delay_alu instid0(VALU_DEP_3)
	v_mov_b32_e32 v9, v5
	s_wait_alu 0xfffe
	s_lshl_b64 s[4:5], s[22:23], 4
	s_add_nc_u64 s[48:49], s[6:7], s[2:3]
	s_add_nc_u64 s[2:3], s[8:9], s[4:5]
	s_or_b32 s64, s1, vcc_lo
	v_lshlrev_b64_e32 v[5:6], 4, v[8:9]
	s_mul_u64 s[4:5], s[44:45], s[22:23]
	v_lshlrev_b32_e32 v15, 2, v10
	v_lshl_or_b32 v16, v4, 9, v20
	v_lshlrev_b32_e32 v17, 6, v10
	s_sub_co_i32 s19, s40, 32
	v_add_co_u32 v7, vcc_lo, s2, v5
	s_wait_alu 0xfffd
	v_add_co_ci_u32_e64 v8, null, s3, v6, vcc_lo
	s_lshl_b64 s[2:3], s[4:5], 4
	v_cmp_le_u32_e64 s6, v15, v4
	s_wait_alu 0xfffe
	v_add_co_u32 v193, vcc_lo, v7, s2
	s_wait_alu 0xfffd
	v_add_co_ci_u32_e64 v7, null, s3, v8, vcc_lo
	v_cmp_eq_u32_e64 s7, v15, v4
	v_or_b32_e32 v18, 1, v15
	v_add_nc_u32_e32 v189, v16, v17
	v_cmp_ge_u32_e64 s8, v15, v4
	v_or_b32_e32 v16, 2, v15
	v_or_b32_e32 v15, 3, v15
	v_lshlrev_b64_e32 v[2:3], 4, v[2:3]
	scratch_store_b32 off, v7, off          ; 4-byte Folded Spill
	v_sub_co_u32 v7, s2, 0, v4
	s_wait_alu 0xf1ff
	v_sub_co_ci_u32_e64 v8, null, 0, 0, s2
	v_add_nc_u32_e32 v9, 8, v10
	v_mad_u32_u24 v184, 0x210, v10, v20
	v_cmp_le_i32_e64 s2, s40, v10
	v_add_nc_u32_e32 v13, 16, v10
	v_add_nc_u32_e32 v14, 24, v10
	v_mul_u32_u24_e32 v21, 0x840, v10
	v_cmp_le_u32_e64 s10, v16, v4
	v_cmp_eq_u32_e64 s11, v16, v4
	v_cmp_le_u32_e64 s12, v15, v4
	v_lshlrev_b32_e32 v16, 4, v10
	v_cmp_eq_u32_e64 s13, v15, v4
	v_or_b32_e32 v15, 32, v4
	v_cmp_le_i32_e64 s16, s19, v10
	v_cmp_eq_u32_e64 s20, 1, v10
	v_mul_i32_i24_e32 v196, 0xffffffd0, v10
	v_and_b32_e32 v10, 48, v0
	v_cmp_le_i32_e64 s4, s40, v13
	v_cmp_gt_i32_e64 s15, s40, v15
	v_cmp_le_i32_e64 s18, s19, v13
	v_and_b32_e32 v13, 15, v0
	v_lshlrev_b32_e32 v15, 4, v10
	v_cmp_le_i32_e64 s3, s40, v9
	v_add_nc_u32_e32 v194, 0x4700, v17
	v_cmp_le_i32_e64 s17, s19, v9
	v_lshrrev_b32_e32 v9, 4, v12
	v_add_nc_u32_e32 v17, 0x200, v19
	v_mad_u32_u24 v201, 0x430, v13, v15
	v_add_nc_u32_e32 v15, 0x530, v19
	v_mul_u32_u24_e32 v22, 0x210, v18
	v_cmp_eq_u32_e64 s9, v18, v4
	v_mul_u32_u24_e32 v18, 33, v4
	s_add_co_i32 s21, ttmp9, 1
	s_xor_b32 s70, s64, -1
	s_ashr_i32 s41, s40, 31
	s_lshl_b64 s[50:51], s[44:45], 7
	s_lshl_b64 s[54:55], s[44:45], 8
	;; [unrolled: 1-line block ×3, first 2 shown]
	v_cmp_eq_u32_e64 s0, 0, v11
	v_cmp_le_i32_e64 s5, s40, v14
	v_cmp_gt_u32_e64 s14, 32, v12
	v_cmp_le_i32_e64 s19, s19, v14
	s_cmp_lt_u32 s21, s52
	v_lshlrev_b32_e32 v14, 6, v9
	v_mad_u32_u24 v199, 0x10c0, v11, v180
	v_mul_i32_i24_e32 v23, 0xffffffd0, v9
	v_mad_co_u64_u32 v[9:10], null, s44, v17, 0
	v_cmp_gt_u32_e64 s21, 64, v12
	v_mad_u32_u24 v203, 0x430, v11, v180
	v_mad_co_u64_u32 v[11:12], null, s44, v15, 0
	v_lshlrev_b32_e32 v192, 4, v18
	v_or_b32_e32 v18, 0xf0, v180
	v_mad_u32_u24 v200, 0x430, v13, v14
	v_add_nc_u32_e32 v204, 0x4700, v16
	s_mul_u64 s[58:59], s[24:25], s[22:23]
	v_add_nc_u32_e32 v195, v192, v16
	v_mad_u32_u24 v202, 0x430, v13, v18
	v_mad_co_u64_u32 v[13:14], null, s45, v17, v[10:11]
	v_sub_co_u32 v14, vcc_lo, v9, v5
	v_add_nc_u32_e32 v16, 0x220, v19
	v_add_nc_u32_e32 v18, 0x520, v19
	s_cselect_b32 s23, -1, 0
	s_add_co_i32 s72, s22, 64
	s_wait_alu 0xfffd
	s_delay_alu instid0(VALU_DEP_4)
	v_sub_co_ci_u32_e64 v13, null, v13, v6, vcc_lo
	v_mad_co_u64_u32 v[9:10], null, s44, v16, 0
	v_lshlrev_b64_e32 v[182:183], 4, v[7:8]
	scratch_store_b32 off, v13, off offset:4 ; 4-byte Folded Spill
	v_or_b32_e32 v13, 8, v14
	v_cmp_gt_i32_e64 s1, s40, v4
	v_add_nc_u32_e32 v0, 0x4300, v180
	v_add_nc_u32_e32 v237, v200, v23
	v_lshlrev_b32_e32 v238, 4, v4
	scratch_store_b32 off, v13, off offset:8 ; 4-byte Folded Spill
	v_mad_co_u64_u32 v[12:13], null, s45, v15, v[12:13]
	v_mad_co_u64_u32 v[15:16], null, s45, v16, v[10:11]
	v_sub_co_u32 v10, vcc_lo, v11, v5
	v_mad_co_u64_u32 v[13:14], null, s44, v18, 0
	v_mad_co_u64_u32 v[16:17], null, s44, v24, 0
	scratch_store_b32 off, v10, off offset:12 ; 4-byte Folded Spill
	s_wait_alu 0xfffd
	v_sub_co_ci_u32_e64 v10, null, v12, v6, vcc_lo
	v_sub_co_u32 v9, vcc_lo, v9, v5
	s_sub_nc_u64 s[62:63], 0, s[58:59]
	scratch_store_b32 off, v10, off offset:16 ; 4-byte Folded Spill
	v_mov_b32_e32 v10, v14
	scratch_store_b32 off, v9, off offset:20 ; 4-byte Folded Spill
	s_wait_alu 0xfffd
	v_sub_co_ci_u32_e64 v9, null, v15, v6, vcc_lo
	s_mul_u64 s[56:57], s[44:45], 0x180
	v_mad_co_u64_u32 v[10:11], null, s45, v18, v[10:11]
	scratch_store_b32 off, v9, off offset:24 ; 4-byte Folded Spill
	v_mov_b32_e32 v9, v17
	v_mad_u32_u24 v188, 0x210, v4, v20
	v_add_nc_u32_e32 v239, v20, v21
	v_add_nc_u32_e32 v240, v20, v22
	s_add_co_i32 s53, s52, -2
	v_mad_co_u64_u32 v[11:12], null, s45, v24, v[9:10]
	v_sub_co_u32 v9, s22, v13, v5
	v_add_nc_u32_e32 v24, 0x230, v19
	v_sub_co_u32 v12, vcc_lo, v16, v5
	scratch_store_b32 off, v9, off offset:28 ; 4-byte Folded Spill
	s_wait_alu 0xf1ff
	v_sub_co_ci_u32_e64 v9, null, v10, v6, s22
	s_wait_alu 0xfffd
	v_sub_co_ci_u32_e64 v10, null, v11, v6, vcc_lo
	v_mad_co_u64_u32 v[16:17], null, s44, v24, 0
	s_clause 0x1
	scratch_store_b32 off, v9, off offset:32
	scratch_store_b32 off, v10, off offset:36
	v_or_b32_e32 v10, 8, v12
	s_and_b32 s71, s0, s64
	s_wait_alu 0xfffe
	s_sub_nc_u64 s[58:59], 0, s[40:41]
	s_lshl_b64 s[60:61], s[60:61], 4
	s_lshl_b64 s[62:63], s[62:63], 4
	scratch_store_b32 off, v10, off offset:40 ; 4-byte Folded Spill
	v_mov_b32_e32 v10, v17
	v_add_nc_u32_e32 v18, 0x510, v19
	v_add_nc_u32_e32 v25, 0x300, v19
	;; [unrolled: 1-line block ×3, first 2 shown]
	scratch_store_b64 off, v[2:3], off offset:132 ; 8-byte Folded Spill
	v_mad_co_u64_u32 v[14:15], null, s44, v18, 0
	s_delay_alu instid0(VALU_DEP_1) | instskip(SKIP_1) | instid1(VALU_DEP_2)
	v_mov_b32_e32 v9, v15
	v_add_nc_u32_e32 v15, 0x500, v19
	v_mad_co_u64_u32 v[11:12], null, s45, v18, v[9:10]
	s_delay_alu instid0(VALU_DEP_2)
	v_mad_co_u64_u32 v[12:13], null, s44, v15, 0
	v_add_nc_u32_e32 v181, 0x4700, v180
	v_mad_co_u64_u32 v[17:18], null, s44, v25, 0
	v_add_nc_u32_e32 v186, 0x2100, v184
	v_mad_co_u64_u32 v[9:10], null, s45, v24, v[10:11]
	v_sub_co_u32 v10, vcc_lo, v14, v5
	scratch_store_b32 off, v10, off offset:44 ; 4-byte Folded Spill
	s_wait_alu 0xfffd
	v_sub_co_ci_u32_e64 v10, null, v11, v6, vcc_lo
	v_sub_co_u32 v11, vcc_lo, v16, v5
	s_wait_alu 0xfffd
	v_sub_co_ci_u32_e64 v9, null, v9, v6, vcc_lo
	scratch_store_b32 off, v10, off offset:48 ; 4-byte Folded Spill
	v_mov_b32_e32 v10, v13
	v_or_b32_e32 v11, 8, v11
	scratch_store_b32 off, v9, off offset:52 ; 4-byte Folded Spill
	v_dual_mov_b32 v9, v18 :: v_dual_add_nc_u32 v18, 0x310, v19
	v_sub_co_u32 v24, vcc_lo, v17, v5
	scratch_store_b32 off, v11, off offset:56 ; 4-byte Folded Spill
	v_mad_co_u64_u32 v[10:11], null, s45, v15, v[10:11]
	v_add_nc_u32_e32 v11, 0x430, v19
	v_mad_co_u64_u32 v[16:17], null, s44, v18, 0
	s_delay_alu instid0(VALU_DEP_3) | instskip(SKIP_1) | instid1(VALU_DEP_4)
	v_mad_co_u64_u32 v[13:14], null, s45, v25, v[9:10]
	v_sub_co_u32 v9, s22, v12, v5
	v_mad_co_u64_u32 v[14:15], null, s44, v11, 0
	v_add_nc_u32_e32 v190, 16, v189
	scratch_store_b32 off, v9, off offset:60 ; 4-byte Folded Spill
	s_wait_alu 0xf1ff
	v_sub_co_ci_u32_e64 v9, null, v10, v6, s22
	v_or_b32_e32 v10, 8, v24
	v_add_nc_u32_e32 v24, 0x330, v19
	scratch_store_b32 off, v9, off offset:64 ; 4-byte Folded Spill
	s_wait_alu 0xfffd
	v_sub_co_ci_u32_e64 v9, null, v13, v6, vcc_lo
	scratch_store_b32 off, v10, off offset:72 ; 4-byte Folded Spill
	v_dual_mov_b32 v10, v17 :: v_dual_add_nc_u32 v17, 0x320, v19
	scratch_store_b32 off, v9, off offset:68 ; 4-byte Folded Spill
	v_mov_b32_e32 v9, v15
	v_add_nc_u32_e32 v15, 0x420, v19
	s_delay_alu instid0(VALU_DEP_2) | instskip(NEXT) | instid1(VALU_DEP_2)
	v_mad_co_u64_u32 v[11:12], null, s45, v11, v[9:10]
	v_mad_co_u64_u32 v[12:13], null, s44, v15, 0
	v_add_nc_u32_e32 v185, 0x1080, v184
	s_delay_alu instid0(VALU_DEP_3)
	v_mad_co_u64_u32 v[9:10], null, s45, v18, v[10:11]
	v_sub_co_u32 v10, vcc_lo, v14, v5
	v_add_nc_u32_e32 v18, 0x410, v19
	v_add_nc_u32_e32 v19, 0x400, v19
	scratch_store_b32 off, v10, off offset:76 ; 4-byte Folded Spill
	s_wait_alu 0xfffd
	v_sub_co_ci_u32_e64 v10, null, v11, v6, vcc_lo
	v_sub_co_u32 v11, vcc_lo, v16, v5
	s_wait_alu 0xfffd
	v_sub_co_ci_u32_e64 v9, null, v9, v6, vcc_lo
	scratch_store_b32 off, v10, off offset:80 ; 4-byte Folded Spill
	v_mov_b32_e32 v10, v13
	v_mad_co_u64_u32 v[13:14], null, s44, v17, 0
	scratch_store_b32 off, v9, off offset:84 ; 4-byte Folded Spill
	v_mad_co_u64_u32 v[9:10], null, s45, v15, v[10:11]
	v_or_b32_e32 v10, 8, v11
	v_sub_co_u32 v11, vcc_lo, v12, v5
	scratch_store_b32 off, v10, off offset:88 ; 4-byte Folded Spill
	v_mov_b32_e32 v10, v14
	s_wait_alu 0xfffd
	v_sub_co_ci_u32_e64 v9, null, v9, v6, vcc_lo
	scratch_store_b32 off, v11, off offset:92 ; 4-byte Folded Spill
	v_mad_co_u64_u32 v[14:15], null, s44, v18, 0
	scratch_store_b32 off, v9, off offset:96 ; 4-byte Folded Spill
	v_mad_co_u64_u32 v[9:10], null, s45, v17, v[10:11]
	v_sub_co_u32 v13, vcc_lo, v13, v5
	v_mad_co_u64_u32 v[11:12], null, s44, v24, 0
	v_dual_mov_b32 v10, v15 :: v_dual_add_nc_u32 v187, 0x3180, v184
	s_wait_alu 0xfffd
	s_delay_alu instid0(VALU_DEP_4) | instskip(SKIP_1) | instid1(VALU_DEP_3)
	v_sub_co_ci_u32_e64 v9, null, v9, v6, vcc_lo
	v_mad_co_u64_u32 v[15:16], null, s44, v19, 0
	v_mad_co_u64_u32 v[17:18], null, s45, v18, v[10:11]
	scratch_store_b32 off, v9, off offset:100 ; 4-byte Folded Spill
	v_or_b32_e32 v9, 8, v13
	v_mov_b32_e32 v10, v16
	scratch_store_b32 off, v9, off offset:104 ; 4-byte Folded Spill
	v_mov_b32_e32 v9, v12
	v_sub_co_u32 v12, vcc_lo, v14, v5
	scratch_store_b32 off, v12, off offset:108 ; 4-byte Folded Spill
	s_wait_alu 0xfffd
	v_sub_co_ci_u32_e64 v12, null, v17, v6, vcc_lo
	scratch_store_b32 off, v12, off offset:112 ; 4-byte Folded Spill
	v_mad_co_u64_u32 v[12:13], null, s45, v24, v[9:10]
	v_mad_co_u64_u32 v[9:10], null, s45, v19, v[10:11]
	v_sub_co_u32 v10, vcc_lo, v11, v5
	v_sub_co_u32 v5, s22, v15, v5
	s_wait_alu 0xfffd
	s_delay_alu instid0(VALU_DEP_4) | instskip(NEXT) | instid1(VALU_DEP_3)
	v_sub_co_ci_u32_e64 v11, null, v12, v6, vcc_lo
	v_or_b32_e32 v10, 8, v10
	s_wait_alu 0xf1ff
	v_sub_co_ci_u32_e64 v6, null, v9, v6, s22
	v_or_b32_e32 v5, 8, v5
	s_lshl_b64 s[44:45], s[44:45], 10
	s_clause 0x3
	scratch_store_b32 off, v11, off offset:116
	scratch_store_b32 off, v10, off offset:120
	;; [unrolled: 1-line block ×4, first 2 shown]
	s_branch .LBB16_4
.LBB16_2:                               ;   in Loop: Header=BB16_4 Depth=1
	s_wait_alu 0xfffe
	s_or_b32 exec_lo, exec_lo, s22
.LBB16_3:                               ;   in Loop: Header=BB16_4 Depth=1
	s_add_co_i32 s34, s34, 0x10000
	s_delay_alu instid0(SALU_CYCLE_1)
	s_cmp_lt_u32 s34, s33
	s_cbranch_scc0 .LBB16_189
.LBB16_4:                               ; =>This Loop Header: Depth=1
                                        ;     Child Loop BB16_113 Depth 2
	s_mul_u64 s[64:65], s[38:39], s[34:35]
	s_wait_alu 0xfffe
	s_lshl_b64 s[64:65], s[64:65], 4
	s_wait_alu 0xfffe
	s_add_nc_u64 s[64:65], s[36:37], s[64:65]
	global_load_b128 v[2:5], v1, s[64:65]
	s_wait_loadcnt 0x0
	v_cmp_neq_f64_e32 vcc_lo, 0, v[2:3]
	v_cmp_neq_f64_e64 s22, 0, v[4:5]
	s_or_b32 s64, vcc_lo, s22
	s_mov_b32 s22, -1
	s_wait_alu 0xfffe
	s_and_b32 vcc_lo, exec_lo, s64
	s_wait_alu 0xfffe
	s_cbranch_vccnz .LBB16_6
; %bb.5:                                ;   in Loop: Header=BB16_4 Depth=1
	s_mul_u64 s[66:67], s[30:31], s[34:35]
	s_wait_alu 0xfffe
	s_lshl_b64 s[66:67], s[66:67], 4
	s_wait_alu 0xfffe
	s_add_nc_u64 s[66:67], s[28:29], s[66:67]
	global_load_b128 v[2:5], v1, s[66:67]
	s_wait_loadcnt 0x0
	v_cmp_neq_f64_e32 vcc_lo, 1.0, v[2:3]
	v_cmp_neq_f64_e64 s22, 0, v[4:5]
	s_or_b32 s22, vcc_lo, s22
.LBB16_6:                               ;   in Loop: Header=BB16_4 Depth=1
	s_wait_alu 0xfffe
	s_and_not1_b32 vcc_lo, exec_lo, s22
	s_wait_alu 0xfffe
	s_cbranch_vccnz .LBB16_3
; %bb.7:                                ;   in Loop: Header=BB16_4 Depth=1
	s_and_not1_b32 vcc_lo, exec_lo, s64
	s_wait_alu 0xfffe
	s_cbranch_vccnz .LBB16_3
; %bb.8:                                ;   in Loop: Header=BB16_4 Depth=1
	s_mul_u64 s[64:65], s[26:27], s[34:35]
	s_wait_alu 0xfffe
	s_lshl_b64 s[64:65], s[64:65], 4
	s_wait_alu 0xfffe
	v_add_co_u32 v41, vcc_lo, v236, s64
	s_wait_alu 0xfffd
	v_add_co_ci_u32_e64 v42, null, s65, v191, vcc_lo
	s_and_saveexec_b32 s22, s0
	s_cbranch_execz .LBB16_13
; %bb.9:                                ;   in Loop: Header=BB16_4 Depth=1
	s_and_saveexec_b32 s64, s70
	s_wait_alu 0xfffe
	s_xor_b32 s64, exec_lo, s64
; %bb.10:                               ;   in Loop: Header=BB16_4 Depth=1
	v_dual_mov_b32 v2, v1 :: v_dual_mov_b32 v3, v1
	v_mov_b32_e32 v4, v1
	ds_store_b128 v181, v[1:4]
; %bb.11:                               ;   in Loop: Header=BB16_4 Depth=1
	s_wait_alu 0xfffe
	s_and_not1_saveexec_b32 s64, s64
	s_cbranch_execz .LBB16_13
; %bb.12:                               ;   in Loop: Header=BB16_4 Depth=1
	global_load_b128 v[2:5], v[41:42], off
	s_wait_loadcnt 0x0
	ds_store_2addr_b64 v181, v[2:3], v[4:5] offset1:1
.LBB16_13:                              ;   in Loop: Header=BB16_4 Depth=1
	s_wait_alu 0xfffe
	s_or_b32 exec_lo, exec_lo, s22
	scratch_load_b32 v2, off, off           ; 4-byte Folded Reload
	s_mul_u64 s[64:65], s[46:47], s[34:35]
	s_mov_b32 s22, -1
	s_wait_alu 0xfffe
	s_lshl_b64 s[64:65], s[64:65], 4
                                        ; implicit-def: $vgpr9_vgpr10
	s_wait_alu 0xfffe
	v_add_co_u32 v5, vcc_lo, v193, s64
	s_wait_loadcnt 0x0
	s_wait_alu 0xfffd
	v_add_co_ci_u32_e64 v6, null, s65, v2, vcc_lo
	s_and_b32 vcc_lo, exec_lo, s69
	s_wait_alu 0xfffe
	s_cbranch_vccz .LBB16_25
; %bb.14:                               ;   in Loop: Header=BB16_4 Depth=1
	s_and_saveexec_b32 s22, s2
	s_wait_alu 0xfffe
	s_xor_b32 s22, exec_lo, s22
; %bb.15:                               ;   in Loop: Header=BB16_4 Depth=1
	v_dual_mov_b32 v2, v1 :: v_dual_mov_b32 v3, v1
	v_mov_b32_e32 v4, v1
	ds_store_b128 v184, v[1:4]
; %bb.16:                               ;   in Loop: Header=BB16_4 Depth=1
	s_wait_alu 0xfffe
	s_or_saveexec_b32 s22, s22
	v_add_co_u32 v2, vcc_lo, v5, v182
	s_wait_alu 0xfffd
	v_add_co_ci_u32_e64 v3, null, v6, v183, vcc_lo
	s_lshl_b64 s[64:65], s[40:41], 4
	s_wait_alu 0xfffe
	v_add_co_u32 v2, vcc_lo, v2, s64
	s_wait_alu 0xfffd
	v_add_co_ci_u32_e64 v3, null, s65, v3, vcc_lo
	s_delay_alu instid0(VALU_DEP_2) | instskip(SKIP_1) | instid1(VALU_DEP_2)
	v_add_co_u32 v2, vcc_lo, v2, -16
	s_wait_alu 0xfffd
	v_add_co_ci_u32_e64 v3, null, -1, v3, vcc_lo
	s_delay_alu instid0(VALU_DEP_2) | instskip(NEXT) | instid1(VALU_DEP_2)
	v_cndmask_b32_e64 v7, v2, v5, s1
	v_cndmask_b32_e64 v8, v3, v6, s1
	s_xor_b32 exec_lo, exec_lo, s22
	s_cbranch_execnz .LBB16_171
; %bb.17:                               ;   in Loop: Header=BB16_4 Depth=1
	s_or_b32 exec_lo, exec_lo, s22
	s_and_saveexec_b32 s22, s3
	s_wait_alu 0xfffe
	s_xor_b32 s22, exec_lo, s22
	s_cbranch_execnz .LBB16_172
.LBB16_18:                              ;   in Loop: Header=BB16_4 Depth=1
	s_wait_alu 0xfffe
	s_and_not1_saveexec_b32 s22, s22
	s_cbranch_execnz .LBB16_173
.LBB16_19:                              ;   in Loop: Header=BB16_4 Depth=1
	s_wait_alu 0xfffe
	s_or_b32 exec_lo, exec_lo, s22
	s_and_saveexec_b32 s22, s4
	s_wait_alu 0xfffe
	s_xor_b32 s22, exec_lo, s22
	s_cbranch_execnz .LBB16_174
.LBB16_20:                              ;   in Loop: Header=BB16_4 Depth=1
	s_wait_alu 0xfffe
	s_and_not1_saveexec_b32 s22, s22
	s_cbranch_execnz .LBB16_175
.LBB16_21:                              ;   in Loop: Header=BB16_4 Depth=1
	s_wait_alu 0xfffe
	s_or_b32 exec_lo, exec_lo, s22
	s_and_saveexec_b32 s22, s5
	s_wait_alu 0xfffe
	s_xor_b32 s22, exec_lo, s22
	s_cbranch_execnz .LBB16_176
.LBB16_22:                              ;   in Loop: Header=BB16_4 Depth=1
	s_wait_alu 0xfffe
	s_and_not1_saveexec_b32 s22, s22
	s_cbranch_execz .LBB16_24
.LBB16_23:                              ;   in Loop: Header=BB16_4 Depth=1
	v_add_co_u32 v2, vcc_lo, v7, s56
	s_wait_alu 0xfffd
	v_add_co_ci_u32_e64 v3, null, s57, v8, vcc_lo
	global_load_b128 v[9:12], v[2:3], off
	s_wait_loadcnt 0x0
	ds_store_2addr_b64 v187, v[9:10], v[11:12] offset1:1
.LBB16_24:                              ;   in Loop: Header=BB16_4 Depth=1
	s_wait_alu 0xfffe
	s_or_b32 exec_lo, exec_lo, s22
	v_add_co_u32 v2, vcc_lo, v7, v238
	s_wait_alu 0xfffd
	v_add_co_ci_u32_e64 v3, null, 0, v8, vcc_lo
	s_lshl_b64 s[64:65], s[58:59], 4
	s_mov_b32 s22, 0
	s_wait_alu 0xfffe
	v_add_co_u32 v2, vcc_lo, v2, s64
	s_wait_alu 0xfffd
	v_add_co_ci_u32_e64 v3, null, s65, v3, vcc_lo
	s_delay_alu instid0(VALU_DEP_2) | instskip(SKIP_1) | instid1(VALU_DEP_2)
	v_add_co_u32 v2, vcc_lo, v2, 16
	s_wait_alu 0xfffd
	v_add_co_ci_u32_e64 v3, null, 0, v3, vcc_lo
	s_delay_alu instid0(VALU_DEP_2) | instskip(NEXT) | instid1(VALU_DEP_2)
	v_cndmask_b32_e64 v9, v2, v5, s1
	v_cndmask_b32_e64 v10, v3, v6, s1
.LBB16_25:                              ;   in Loop: Header=BB16_4 Depth=1
	s_and_b32 vcc_lo, exec_lo, s22
	s_wait_alu 0xfffe
	s_cbranch_vccz .LBB16_27
; %bb.26:                               ;   in Loop: Header=BB16_4 Depth=1
	v_add_co_u32 v2, vcc_lo, v5, s50
	s_wait_alu 0xfffd
	v_add_co_ci_u32_e64 v3, null, s51, v6, vcc_lo
	s_delay_alu instid0(VALU_DEP_2) | instskip(SKIP_1) | instid1(VALU_DEP_2)
	v_add_co_u32 v7, vcc_lo, v2, s50
	s_wait_alu 0xfffd
	v_add_co_ci_u32_e64 v8, null, s51, v3, vcc_lo
	s_delay_alu instid0(VALU_DEP_2) | instskip(SKIP_1) | instid1(VALU_DEP_2)
	v_add_co_u32 v9, vcc_lo, v7, s50
	s_wait_alu 0xfffd
	v_add_co_ci_u32_e64 v10, null, s51, v8, vcc_lo
	s_clause 0x3
	global_load_b128 v[11:14], v[5:6], off
	global_load_b128 v[15:18], v[2:3], off
	;; [unrolled: 1-line block ×4, first 2 shown]
	v_dual_mov_b32 v10, v6 :: v_dual_mov_b32 v9, v5
	s_wait_loadcnt 0x3
	ds_store_2addr_b64 v184, v[11:12], v[13:14] offset1:1
	s_wait_loadcnt 0x2
	ds_store_2addr_b64 v185, v[15:16], v[17:18] offset1:1
	;; [unrolled: 2-line block ×4, first 2 shown]
.LBB16_27:                              ;   in Loop: Header=BB16_4 Depth=1
	s_mov_b32 s22, 0
	s_wait_storecnt_dscnt 0x0
	s_barrier_signal -1
	s_barrier_wait -1
	global_inv scope:SCOPE_SE
	s_and_saveexec_b32 s64, s6
	s_wait_alu 0xfffe
	s_xor_b32 s64, exec_lo, s64
; %bb.28:                               ;   in Loop: Header=BB16_4 Depth=1
	s_and_b32 s22, s7, exec_lo
; %bb.29:                               ;   in Loop: Header=BB16_4 Depth=1
	s_wait_alu 0xfffe
	s_or_saveexec_b32 s64, s64
	v_mov_b32_e32 v4, 0
	v_dual_mov_b32 v5, 0 :: v_dual_mov_b32 v6, v188
	s_wait_alu 0xfffe
	s_xor_b32 exec_lo, exec_lo, s64
	s_cbranch_execz .LBB16_31
; %bb.30:                               ;   in Loop: Header=BB16_4 Depth=1
	ds_load_b128 v[2:5], v239
	v_mov_b32_e32 v6, v189
	s_or_b32 s22, s22, exec_lo
	s_wait_dscnt 0x0
	v_xor_b32_e32 v5, 0x80000000, v5
	ds_store_b64 v189, v[2:3]
.LBB16_31:                              ;   in Loop: Header=BB16_4 Depth=1
	s_or_b32 exec_lo, exec_lo, s64
	s_wait_alu 0xfffe
	s_and_saveexec_b32 s64, s22
; %bb.32:                               ;   in Loop: Header=BB16_4 Depth=1
	ds_store_b64 v6, v[4:5] offset:8
; %bb.33:                               ;   in Loop: Header=BB16_4 Depth=1
	s_wait_alu 0xfffe
	s_or_b32 exec_lo, exec_lo, s64
	s_mov_b32 s22, 0
                                        ; implicit-def: $vgpr4_vgpr5
	s_and_saveexec_b32 s64, s8
	s_wait_alu 0xfffe
	s_xor_b32 s64, exec_lo, s64
	s_cbranch_execnz .LBB16_167
; %bb.34:                               ;   in Loop: Header=BB16_4 Depth=1
	s_wait_alu 0xfffe
	s_or_saveexec_b32 s64, s64
	v_mov_b32_e32 v2, v190
	s_wait_alu 0xfffe
	s_xor_b32 exec_lo, exec_lo, s64
	s_cbranch_execnz .LBB16_168
.LBB16_35:                              ;   in Loop: Header=BB16_4 Depth=1
	s_or_b32 exec_lo, exec_lo, s64
	s_and_saveexec_b32 s64, s22
.LBB16_36:                              ;   in Loop: Header=BB16_4 Depth=1
	ds_store_b64 v2, v[4:5] offset:8
.LBB16_37:                              ;   in Loop: Header=BB16_4 Depth=1
	s_wait_alu 0xfffe
	s_or_b32 exec_lo, exec_lo, s64
	s_mov_b32 s22, 0
	s_and_saveexec_b32 s64, s10
	s_wait_alu 0xfffe
	s_xor_b32 s64, exec_lo, s64
; %bb.38:                               ;   in Loop: Header=BB16_4 Depth=1
	s_and_b32 s22, s11, exec_lo
; %bb.39:                               ;   in Loop: Header=BB16_4 Depth=1
	s_wait_alu 0xfffe
	s_or_saveexec_b32 s64, s64
	v_mov_b32_e32 v4, 0
	v_dual_mov_b32 v5, 0 :: v_dual_mov_b32 v6, v188
	s_wait_alu 0xfffe
	s_xor_b32 exec_lo, exec_lo, s64
	s_cbranch_execz .LBB16_41
; %bb.40:                               ;   in Loop: Header=BB16_4 Depth=1
	ds_load_b128 v[2:5], v240 offset:528
	v_add_nc_u32_e32 v7, 32, v189
	s_or_b32 s22, s22, exec_lo
	s_delay_alu instid0(VALU_DEP_1)
	v_mov_b32_e32 v6, v7
	s_wait_dscnt 0x0
	v_xor_b32_e32 v5, 0x80000000, v5
	ds_store_b64 v7, v[2:3]
.LBB16_41:                              ;   in Loop: Header=BB16_4 Depth=1
	s_or_b32 exec_lo, exec_lo, s64
	s_wait_alu 0xfffe
	s_and_saveexec_b32 s64, s22
; %bb.42:                               ;   in Loop: Header=BB16_4 Depth=1
	ds_store_b64 v6, v[4:5] offset:8
; %bb.43:                               ;   in Loop: Header=BB16_4 Depth=1
	s_wait_alu 0xfffe
	s_or_b32 exec_lo, exec_lo, s64
	s_mov_b32 s22, 0
	s_and_saveexec_b32 s64, s12
	s_wait_alu 0xfffe
	s_xor_b32 s64, exec_lo, s64
; %bb.44:                               ;   in Loop: Header=BB16_4 Depth=1
	s_and_b32 s22, s13, exec_lo
; %bb.45:                               ;   in Loop: Header=BB16_4 Depth=1
	s_wait_alu 0xfffe
	s_or_saveexec_b32 s64, s64
	v_mov_b32_e32 v4, 0
	v_dual_mov_b32 v5, 0 :: v_dual_mov_b32 v6, v188
	s_wait_alu 0xfffe
	s_xor_b32 exec_lo, exec_lo, s64
	s_cbranch_execz .LBB16_47
; %bb.46:                               ;   in Loop: Header=BB16_4 Depth=1
	ds_load_b128 v[2:5], v240 offset:1056
	v_add_nc_u32_e32 v7, 48, v189
	s_or_b32 s22, s22, exec_lo
	s_delay_alu instid0(VALU_DEP_1)
	v_mov_b32_e32 v6, v7
	s_wait_dscnt 0x0
	v_xor_b32_e32 v5, 0x80000000, v5
	ds_store_b64 v7, v[2:3]
.LBB16_47:                              ;   in Loop: Header=BB16_4 Depth=1
	s_or_b32 exec_lo, exec_lo, s64
	s_wait_alu 0xfffe
	s_and_saveexec_b32 s64, s22
; %bb.48:                               ;   in Loop: Header=BB16_4 Depth=1
	ds_store_b64 v6, v[4:5] offset:8
; %bb.49:                               ;   in Loop: Header=BB16_4 Depth=1
	s_wait_alu 0xfffe
	s_or_b32 exec_lo, exec_lo, s64
	s_wait_loadcnt_dscnt 0x0
	s_barrier_signal -1
	s_barrier_wait -1
	global_inv scope:SCOPE_SE
	ds_load_b128 v[2:5], v239
	ds_load_b128 v[11:14], v194
	ds_load_b128 v[15:18], v194 offset:16
	ds_load_b128 v[19:22], v240 offset:1056
	s_wait_dscnt 0x2
	v_mul_f64_e32 v[27:28], v[13:14], v[4:5]
	v_mul_f64_e32 v[29:30], v[11:12], v[4:5]
	ds_load_b128 v[4:7], v240
	ds_load_b128 v[23:26], v240 offset:528
	s_wait_dscnt 0x1
	v_mul_f64_e32 v[31:32], v[17:18], v[6:7]
	v_mul_f64_e32 v[6:7], v[15:16], v[6:7]
	v_fma_f64 v[33:34], v[11:12], v[2:3], -v[27:28]
	v_fma_f64 v[2:3], v[13:14], v[2:3], v[29:30]
	ds_load_b128 v[11:14], v194 offset:32
	ds_load_b128 v[27:30], v194 offset:48
	s_wait_loadcnt_dscnt 0x0
	s_barrier_signal -1
	s_barrier_wait -1
	global_inv scope:SCOPE_SE
	v_mul_f64_e32 v[35:36], v[13:14], v[25:26]
	v_mul_f64_e32 v[25:26], v[11:12], v[25:26]
	v_fma_f64 v[15:16], v[15:16], v[4:5], -v[31:32]
	v_fma_f64 v[4:5], v[17:18], v[4:5], v[6:7]
	v_mul_f64_e32 v[17:18], v[29:30], v[21:22]
	v_mul_f64_e32 v[21:22], v[27:28], v[21:22]
	v_add_f64_e32 v[6:7], 0, v[33:34]
	v_add_f64_e32 v[2:3], 0, v[2:3]
	v_fma_f64 v[11:12], v[11:12], v[23:24], -v[35:36]
	v_fma_f64 v[13:14], v[13:14], v[23:24], v[25:26]
	s_delay_alu instid0(VALU_DEP_4) | instskip(NEXT) | instid1(VALU_DEP_4)
	v_add_f64_e32 v[6:7], v[6:7], v[15:16]
	v_add_f64_e32 v[2:3], v[2:3], v[4:5]
	v_fma_f64 v[4:5], v[27:28], v[19:20], -v[17:18]
	v_fma_f64 v[15:16], v[29:30], v[19:20], v[21:22]
	s_delay_alu instid0(VALU_DEP_4) | instskip(NEXT) | instid1(VALU_DEP_4)
	v_add_f64_e32 v[6:7], v[6:7], v[11:12]
	v_add_f64_e32 v[2:3], v[2:3], v[13:14]
	s_delay_alu instid0(VALU_DEP_2) | instskip(NEXT) | instid1(VALU_DEP_2)
	v_add_f64_e32 v[11:12], v[6:7], v[4:5]
	v_add_f64_e32 v[13:14], v[2:3], v[15:16]
	v_mov_b32_e32 v5, 0
	v_dual_mov_b32 v6, 0 :: v_dual_mov_b32 v7, 0
	v_mov_b32_e32 v8, 0
	ds_store_b128 v195, v[11:14]
	s_wait_loadcnt_dscnt 0x0
	s_barrier_signal -1
	s_barrier_wait -1
	global_inv scope:SCOPE_SE
	s_and_saveexec_b32 s22, s14
	s_cbranch_execz .LBB16_51
; %bb.50:                               ;   in Loop: Header=BB16_4 Depth=1
	ds_load_b128 v[2:5], v192
	ds_load_b128 v[11:14], v192 offset:16
	s_wait_dscnt 0x0
	v_add_f64_e32 v[6:7], v[11:12], v[2:3]
	v_add_f64_e32 v[15:16], v[13:14], v[4:5]
	ds_load_b128 v[2:5], v192 offset:32
	ds_load_b128 v[11:14], v192 offset:48
	s_wait_dscnt 0x1
	v_add_f64_e32 v[2:3], v[6:7], v[2:3]
	v_add_f64_e32 v[4:5], v[15:16], v[4:5]
	s_wait_dscnt 0x0
	s_delay_alu instid0(VALU_DEP_2) | instskip(NEXT) | instid1(VALU_DEP_2)
	v_add_f64_e32 v[6:7], v[2:3], v[11:12]
	v_add_f64_e32 v[15:16], v[4:5], v[13:14]
	ds_load_b128 v[2:5], v192 offset:64
	ds_load_b128 v[11:14], v192 offset:80
	s_wait_dscnt 0x1
	v_add_f64_e32 v[2:3], v[6:7], v[2:3]
	v_add_f64_e32 v[4:5], v[15:16], v[4:5]
	s_wait_dscnt 0x0
	s_delay_alu instid0(VALU_DEP_2) | instskip(NEXT) | instid1(VALU_DEP_2)
	;; [unrolled: 9-line block ×3, first 2 shown]
	v_add_f64_e32 v[5:6], v[2:3], v[11:12]
	v_add_f64_e32 v[7:8], v[7:8], v[13:14]
.LBB16_51:                              ;   in Loop: Header=BB16_4 Depth=1
	s_wait_alu 0xfffe
	s_or_b32 exec_lo, exec_lo, s22
	v_add_co_u32 v15, vcc_lo, v9, s60
	s_wait_alu 0xfffd
	v_add_co_ci_u32_e64 v16, null, s61, v10, vcc_lo
	s_mov_b32 s22, -1
	v_add_co_u32 v9, vcc_lo, 0x200, v15
	s_wait_alu 0xfffd
	v_add_co_ci_u32_e64 v10, null, 0, v16, vcc_lo
	s_and_b32 vcc_lo, exec_lo, s69
	s_wait_loadcnt 0x0
	s_barrier_signal -1
	s_barrier_wait -1
	global_inv scope:SCOPE_SE
                                        ; implicit-def: $vgpr13_vgpr14
	s_wait_alu 0xfffe
	s_cbranch_vccz .LBB16_63
; %bb.52:                               ;   in Loop: Header=BB16_4 Depth=1
	s_and_saveexec_b32 s22, s16
	s_wait_alu 0xfffe
	s_xor_b32 s22, exec_lo, s22
; %bb.53:                               ;   in Loop: Header=BB16_4 Depth=1
	v_dual_mov_b32 v2, v1 :: v_dual_mov_b32 v3, v1
	v_mov_b32_e32 v4, v1
	ds_store_b128 v184, v[1:4]
; %bb.54:                               ;   in Loop: Header=BB16_4 Depth=1
	s_wait_alu 0xfffe
	s_or_saveexec_b32 s22, s22
	v_add_co_u32 v2, vcc_lo, v15, v182
	s_wait_alu 0xfffd
	v_add_co_ci_u32_e64 v3, null, v16, v183, vcc_lo
	s_lshl_b64 s[64:65], s[40:41], 4
	s_wait_alu 0xfffe
	v_add_co_u32 v2, vcc_lo, v2, s64
	s_wait_alu 0xfffd
	v_add_co_ci_u32_e64 v3, null, s65, v3, vcc_lo
	s_delay_alu instid0(VALU_DEP_2) | instskip(SKIP_1) | instid1(VALU_DEP_2)
	v_add_co_u32 v2, vcc_lo, v2, -16
	s_wait_alu 0xfffd
	v_add_co_ci_u32_e64 v3, null, -1, v3, vcc_lo
	s_delay_alu instid0(VALU_DEP_2) | instskip(NEXT) | instid1(VALU_DEP_2)
	v_cndmask_b32_e64 v11, v2, v9, s15
	v_cndmask_b32_e64 v12, v3, v10, s15
	s_xor_b32 exec_lo, exec_lo, s22
	s_cbranch_execnz .LBB16_177
; %bb.55:                               ;   in Loop: Header=BB16_4 Depth=1
	s_or_b32 exec_lo, exec_lo, s22
	s_and_saveexec_b32 s22, s17
	s_wait_alu 0xfffe
	s_xor_b32 s22, exec_lo, s22
	s_cbranch_execnz .LBB16_178
.LBB16_56:                              ;   in Loop: Header=BB16_4 Depth=1
	s_wait_alu 0xfffe
	s_and_not1_saveexec_b32 s22, s22
	s_cbranch_execnz .LBB16_179
.LBB16_57:                              ;   in Loop: Header=BB16_4 Depth=1
	s_wait_alu 0xfffe
	s_or_b32 exec_lo, exec_lo, s22
	s_and_saveexec_b32 s22, s18
	s_wait_alu 0xfffe
	s_xor_b32 s22, exec_lo, s22
	s_cbranch_execnz .LBB16_180
.LBB16_58:                              ;   in Loop: Header=BB16_4 Depth=1
	s_wait_alu 0xfffe
	s_and_not1_saveexec_b32 s22, s22
	s_cbranch_execnz .LBB16_181
.LBB16_59:                              ;   in Loop: Header=BB16_4 Depth=1
	s_wait_alu 0xfffe
	s_or_b32 exec_lo, exec_lo, s22
	s_and_saveexec_b32 s22, s19
	s_wait_alu 0xfffe
	s_xor_b32 s22, exec_lo, s22
	s_cbranch_execnz .LBB16_182
.LBB16_60:                              ;   in Loop: Header=BB16_4 Depth=1
	s_wait_alu 0xfffe
	s_and_not1_saveexec_b32 s22, s22
	s_cbranch_execz .LBB16_62
.LBB16_61:                              ;   in Loop: Header=BB16_4 Depth=1
	v_add_co_u32 v2, vcc_lo, v11, s56
	s_wait_alu 0xfffd
	v_add_co_ci_u32_e64 v3, null, s57, v12, vcc_lo
	global_load_b128 v[17:20], v[2:3], off
	s_wait_loadcnt 0x0
	ds_store_2addr_b64 v187, v[17:18], v[19:20] offset1:1
.LBB16_62:                              ;   in Loop: Header=BB16_4 Depth=1
	s_wait_alu 0xfffe
	s_or_b32 exec_lo, exec_lo, s22
	v_add_co_u32 v2, vcc_lo, v11, v238
	s_wait_alu 0xfffd
	v_add_co_ci_u32_e64 v3, null, 0, v12, vcc_lo
	s_lshl_b64 s[64:65], s[58:59], 4
	s_mov_b32 s22, 0
	s_wait_alu 0xfffe
	v_add_co_u32 v2, vcc_lo, v2, s64
	s_wait_alu 0xfffd
	v_add_co_ci_u32_e64 v3, null, s65, v3, vcc_lo
	s_delay_alu instid0(VALU_DEP_2) | instskip(SKIP_1) | instid1(VALU_DEP_2)
	v_add_co_u32 v2, vcc_lo, 0x210, v2
	s_wait_alu 0xfffd
	v_add_co_ci_u32_e64 v3, null, 0, v3, vcc_lo
	s_delay_alu instid0(VALU_DEP_2) | instskip(NEXT) | instid1(VALU_DEP_2)
	v_cndmask_b32_e64 v13, v2, v9, s15
	v_cndmask_b32_e64 v14, v3, v10, s15
.LBB16_63:                              ;   in Loop: Header=BB16_4 Depth=1
	s_and_b32 vcc_lo, exec_lo, s22
	s_wait_alu 0xfffe
	s_cbranch_vccz .LBB16_65
; %bb.64:                               ;   in Loop: Header=BB16_4 Depth=1
	v_add_co_u32 v2, vcc_lo, v15, s50
	s_wait_alu 0xfffd
	v_add_co_ci_u32_e64 v3, null, s51, v16, vcc_lo
	s_delay_alu instid0(VALU_DEP_2) | instskip(SKIP_1) | instid1(VALU_DEP_2)
	v_add_co_u32 v11, vcc_lo, v2, s50
	s_wait_alu 0xfffd
	v_add_co_ci_u32_e64 v12, null, s51, v3, vcc_lo
	s_delay_alu instid0(VALU_DEP_2) | instskip(SKIP_1) | instid1(VALU_DEP_2)
	v_add_co_u32 v13, vcc_lo, v11, s50
	s_wait_alu 0xfffd
	v_add_co_ci_u32_e64 v14, null, s51, v12, vcc_lo
	s_clause 0x3
	global_load_b128 v[15:18], v[9:10], off
	global_load_b128 v[19:22], v[2:3], off offset:512
	global_load_b128 v[23:26], v[11:12], off offset:512
	global_load_b128 v[27:30], v[13:14], off offset:512
	v_dual_mov_b32 v14, v10 :: v_dual_mov_b32 v13, v9
	s_wait_loadcnt 0x3
	ds_store_2addr_b64 v184, v[15:16], v[17:18] offset1:1
	s_wait_loadcnt 0x2
	ds_store_2addr_b64 v185, v[19:20], v[21:22] offset1:1
	;; [unrolled: 2-line block ×4, first 2 shown]
.LBB16_65:                              ;   in Loop: Header=BB16_4 Depth=1
	s_mov_b32 s22, 0
	s_wait_loadcnt_dscnt 0x0
	s_barrier_signal -1
	s_barrier_wait -1
	global_inv scope:SCOPE_SE
	s_and_saveexec_b32 s64, s6
	s_wait_alu 0xfffe
	s_xor_b32 s64, exec_lo, s64
; %bb.66:                               ;   in Loop: Header=BB16_4 Depth=1
	s_and_b32 s22, s7, exec_lo
; %bb.67:                               ;   in Loop: Header=BB16_4 Depth=1
	s_wait_alu 0xfffe
	s_or_saveexec_b32 s64, s64
	v_dual_mov_b32 v11, 0 :: v_dual_mov_b32 v2, v188
	v_mov_b32_e32 v12, 0
	s_wait_alu 0xfffe
	s_xor_b32 exec_lo, exec_lo, s64
	s_cbranch_execz .LBB16_69
; %bb.68:                               ;   in Loop: Header=BB16_4 Depth=1
	ds_load_b128 v[9:12], v239
	v_mov_b32_e32 v2, v189
	s_or_b32 s22, s22, exec_lo
	s_wait_dscnt 0x0
	v_xor_b32_e32 v12, 0x80000000, v12
	ds_store_b64 v189, v[9:10]
.LBB16_69:                              ;   in Loop: Header=BB16_4 Depth=1
	s_or_b32 exec_lo, exec_lo, s64
	s_wait_alu 0xfffe
	s_and_saveexec_b32 s64, s22
; %bb.70:                               ;   in Loop: Header=BB16_4 Depth=1
	ds_store_b64 v2, v[11:12] offset:8
; %bb.71:                               ;   in Loop: Header=BB16_4 Depth=1
	s_wait_alu 0xfffe
	s_or_b32 exec_lo, exec_lo, s64
	s_mov_b32 s22, 0
                                        ; implicit-def: $vgpr11_vgpr12
	s_and_saveexec_b32 s64, s8
	s_wait_alu 0xfffe
	s_xor_b32 s64, exec_lo, s64
	s_cbranch_execnz .LBB16_169
; %bb.72:                               ;   in Loop: Header=BB16_4 Depth=1
	s_wait_alu 0xfffe
	s_or_saveexec_b32 s64, s64
	v_mov_b32_e32 v2, v190
	s_wait_alu 0xfffe
	s_xor_b32 exec_lo, exec_lo, s64
	s_cbranch_execnz .LBB16_170
.LBB16_73:                              ;   in Loop: Header=BB16_4 Depth=1
	s_or_b32 exec_lo, exec_lo, s64
	s_and_saveexec_b32 s64, s22
.LBB16_74:                              ;   in Loop: Header=BB16_4 Depth=1
	ds_store_b64 v2, v[11:12] offset:8
.LBB16_75:                              ;   in Loop: Header=BB16_4 Depth=1
	s_wait_alu 0xfffe
	s_or_b32 exec_lo, exec_lo, s64
	s_mov_b32 s22, 0
	s_and_saveexec_b32 s64, s10
	s_wait_alu 0xfffe
	s_xor_b32 s64, exec_lo, s64
; %bb.76:                               ;   in Loop: Header=BB16_4 Depth=1
	s_and_b32 s22, s11, exec_lo
; %bb.77:                               ;   in Loop: Header=BB16_4 Depth=1
	s_wait_alu 0xfffe
	s_or_saveexec_b32 s64, s64
	v_dual_mov_b32 v11, 0 :: v_dual_mov_b32 v2, v188
	v_mov_b32_e32 v12, 0
	s_wait_alu 0xfffe
	s_xor_b32 exec_lo, exec_lo, s64
	s_cbranch_execz .LBB16_79
; %bb.78:                               ;   in Loop: Header=BB16_4 Depth=1
	ds_load_b128 v[9:12], v240 offset:528
	v_add_nc_u32_e32 v3, 32, v189
	s_or_b32 s22, s22, exec_lo
	s_delay_alu instid0(VALU_DEP_1)
	v_mov_b32_e32 v2, v3
	s_wait_dscnt 0x0
	v_xor_b32_e32 v12, 0x80000000, v12
	ds_store_b64 v3, v[9:10]
.LBB16_79:                              ;   in Loop: Header=BB16_4 Depth=1
	s_or_b32 exec_lo, exec_lo, s64
	s_wait_alu 0xfffe
	s_and_saveexec_b32 s64, s22
; %bb.80:                               ;   in Loop: Header=BB16_4 Depth=1
	ds_store_b64 v2, v[11:12] offset:8
; %bb.81:                               ;   in Loop: Header=BB16_4 Depth=1
	s_wait_alu 0xfffe
	s_or_b32 exec_lo, exec_lo, s64
	s_mov_b32 s22, 0
	s_and_saveexec_b32 s64, s12
	s_wait_alu 0xfffe
	s_xor_b32 s64, exec_lo, s64
; %bb.82:                               ;   in Loop: Header=BB16_4 Depth=1
	s_and_b32 s22, s13, exec_lo
; %bb.83:                               ;   in Loop: Header=BB16_4 Depth=1
	s_wait_alu 0xfffe
	s_or_saveexec_b32 s64, s64
	v_dual_mov_b32 v11, 0 :: v_dual_mov_b32 v2, v188
	v_mov_b32_e32 v12, 0
	s_wait_alu 0xfffe
	s_xor_b32 exec_lo, exec_lo, s64
	s_cbranch_execz .LBB16_85
; %bb.84:                               ;   in Loop: Header=BB16_4 Depth=1
	ds_load_b128 v[9:12], v240 offset:1056
	v_add_nc_u32_e32 v3, 48, v189
	s_or_b32 s22, s22, exec_lo
	s_delay_alu instid0(VALU_DEP_1)
	v_mov_b32_e32 v2, v3
	s_wait_dscnt 0x0
	v_xor_b32_e32 v12, 0x80000000, v12
	ds_store_b64 v3, v[9:10]
.LBB16_85:                              ;   in Loop: Header=BB16_4 Depth=1
	s_or_b32 exec_lo, exec_lo, s64
	s_wait_alu 0xfffe
	s_and_saveexec_b32 s64, s22
; %bb.86:                               ;   in Loop: Header=BB16_4 Depth=1
	ds_store_b64 v2, v[11:12] offset:8
; %bb.87:                               ;   in Loop: Header=BB16_4 Depth=1
	s_wait_alu 0xfffe
	s_or_b32 exec_lo, exec_lo, s64
	s_wait_loadcnt_dscnt 0x0
	s_barrier_signal -1
	s_barrier_wait -1
	global_inv scope:SCOPE_SE
	ds_load_b128 v[9:12], v239
	ds_load_b128 v[15:18], v194 offset:512
	ds_load_b128 v[19:22], v194 offset:528
	ds_load_b128 v[23:26], v240 offset:1056
	ds_load_b128 v[27:30], v240
	ds_load_b128 v[31:34], v240 offset:528
	s_wait_dscnt 0x4
	v_mul_f64_e32 v[2:3], v[17:18], v[11:12]
	v_mul_f64_e32 v[11:12], v[15:16], v[11:12]
	s_wait_dscnt 0x1
	v_mul_f64_e32 v[35:36], v[21:22], v[29:30]
	v_mul_f64_e32 v[29:30], v[19:20], v[29:30]
	s_delay_alu instid0(VALU_DEP_4) | instskip(NEXT) | instid1(VALU_DEP_4)
	v_fma_f64 v[2:3], v[15:16], v[9:10], -v[2:3]
	v_fma_f64 v[37:38], v[17:18], v[9:10], v[11:12]
	ds_load_b128 v[9:12], v194 offset:544
	ds_load_b128 v[15:18], v194 offset:560
	v_fma_f64 v[19:20], v[19:20], v[27:28], -v[35:36]
	v_fma_f64 v[21:22], v[21:22], v[27:28], v[29:30]
	s_wait_loadcnt_dscnt 0x0
	s_barrier_signal -1
	s_barrier_wait -1
	global_inv scope:SCOPE_SE
	v_mul_f64_e32 v[39:40], v[11:12], v[33:34]
	v_mul_f64_e32 v[33:34], v[9:10], v[33:34]
	;; [unrolled: 1-line block ×4, first 2 shown]
	v_add_f64_e32 v[2:3], 0, v[2:3]
	v_add_f64_e32 v[27:28], 0, v[37:38]
	v_fma_f64 v[9:10], v[9:10], v[31:32], -v[39:40]
	v_fma_f64 v[11:12], v[11:12], v[31:32], v[33:34]
	v_fma_f64 v[15:16], v[15:16], v[23:24], -v[29:30]
	v_fma_f64 v[17:18], v[17:18], v[23:24], v[25:26]
	v_add_f64_e32 v[2:3], v[2:3], v[19:20]
	v_add_f64_e32 v[19:20], v[27:28], v[21:22]
	s_delay_alu instid0(VALU_DEP_2) | instskip(NEXT) | instid1(VALU_DEP_2)
	v_add_f64_e32 v[2:3], v[2:3], v[9:10]
	v_add_f64_e32 v[11:12], v[19:20], v[11:12]
	s_delay_alu instid0(VALU_DEP_2) | instskip(NEXT) | instid1(VALU_DEP_2)
	v_add_f64_e32 v[9:10], v[2:3], v[15:16]
	v_add_f64_e32 v[11:12], v[11:12], v[17:18]
	ds_store_b128 v195, v[9:12]
	s_wait_loadcnt_dscnt 0x0
	s_barrier_signal -1
	s_barrier_wait -1
	global_inv scope:SCOPE_SE
	s_and_saveexec_b32 s22, s20
	s_cbranch_execz .LBB16_89
; %bb.88:                               ;   in Loop: Header=BB16_4 Depth=1
	ds_load_b128 v[2:5], v192
	ds_load_b128 v[6:9], v192 offset:16
	s_wait_dscnt 0x0
	v_add_f64_e32 v[10:11], v[6:7], v[2:3]
	v_add_f64_e32 v[15:16], v[8:9], v[4:5]
	ds_load_b128 v[2:5], v192 offset:32
	ds_load_b128 v[6:9], v192 offset:48
	s_wait_dscnt 0x1
	v_add_f64_e32 v[2:3], v[10:11], v[2:3]
	v_add_f64_e32 v[4:5], v[15:16], v[4:5]
	s_wait_dscnt 0x0
	s_delay_alu instid0(VALU_DEP_2) | instskip(NEXT) | instid1(VALU_DEP_2)
	v_add_f64_e32 v[10:11], v[2:3], v[6:7]
	v_add_f64_e32 v[15:16], v[4:5], v[8:9]
	ds_load_b128 v[2:5], v192 offset:64
	ds_load_b128 v[6:9], v192 offset:80
	s_wait_dscnt 0x1
	v_add_f64_e32 v[2:3], v[10:11], v[2:3]
	v_add_f64_e32 v[4:5], v[15:16], v[4:5]
	s_wait_dscnt 0x0
	s_delay_alu instid0(VALU_DEP_2) | instskip(NEXT) | instid1(VALU_DEP_2)
	;; [unrolled: 9-line block ×3, first 2 shown]
	v_add_f64_e32 v[5:6], v[2:3], v[6:7]
	v_add_f64_e32 v[7:8], v[10:11], v[8:9]
.LBB16_89:                              ;   in Loop: Header=BB16_4 Depth=1
	s_wait_alu 0xfffe
	s_or_b32 exec_lo, exec_lo, s22
	v_add_co_u32 v9, vcc_lo, 0xfffffe00, v13
	s_wait_alu 0xfffd
	v_add_co_ci_u32_e64 v10, null, -1, v14, vcc_lo
	s_and_b32 vcc_lo, exec_lo, s69
	s_mov_b32 s22, -1
	s_wait_loadcnt 0x0
	s_barrier_signal -1
	s_barrier_wait -1
	global_inv scope:SCOPE_SE
                                        ; implicit-def: $vgpr2_vgpr3
	s_wait_alu 0xfffe
	s_cbranch_vccz .LBB16_101
; %bb.90:                               ;   in Loop: Header=BB16_4 Depth=1
	s_and_saveexec_b32 s22, s16
	s_wait_alu 0xfffe
	s_xor_b32 s22, exec_lo, s22
; %bb.91:                               ;   in Loop: Header=BB16_4 Depth=1
	v_dual_mov_b32 v2, v1 :: v_dual_mov_b32 v3, v1
	v_mov_b32_e32 v4, v1
	ds_store_b128 v184, v[1:4]
; %bb.92:                               ;   in Loop: Header=BB16_4 Depth=1
	s_wait_alu 0xfffe
	s_or_saveexec_b32 s22, s22
	v_add_co_u32 v2, vcc_lo, v13, v182
	s_wait_alu 0xfffd
	v_add_co_ci_u32_e64 v3, null, v14, v183, vcc_lo
	s_lshl_b64 s[64:65], s[40:41], 4
	s_wait_alu 0xfffe
	v_add_co_u32 v2, vcc_lo, v2, s64
	s_wait_alu 0xfffd
	v_add_co_ci_u32_e64 v3, null, s65, v3, vcc_lo
	s_delay_alu instid0(VALU_DEP_2) | instskip(SKIP_1) | instid1(VALU_DEP_2)
	v_add_co_u32 v2, vcc_lo, 0xfffffdf0, v2
	s_wait_alu 0xfffd
	v_add_co_ci_u32_e64 v3, null, -1, v3, vcc_lo
	s_delay_alu instid0(VALU_DEP_2) | instskip(NEXT) | instid1(VALU_DEP_2)
	v_cndmask_b32_e64 v11, v2, v9, s1
	v_cndmask_b32_e64 v12, v3, v10, s1
	s_xor_b32 exec_lo, exec_lo, s22
	s_cbranch_execnz .LBB16_183
; %bb.93:                               ;   in Loop: Header=BB16_4 Depth=1
	s_or_b32 exec_lo, exec_lo, s22
	s_and_saveexec_b32 s22, s17
	s_wait_alu 0xfffe
	s_xor_b32 s22, exec_lo, s22
	s_cbranch_execnz .LBB16_184
.LBB16_94:                              ;   in Loop: Header=BB16_4 Depth=1
	s_wait_alu 0xfffe
	s_and_not1_saveexec_b32 s22, s22
	s_cbranch_execnz .LBB16_185
.LBB16_95:                              ;   in Loop: Header=BB16_4 Depth=1
	s_wait_alu 0xfffe
	s_or_b32 exec_lo, exec_lo, s22
	s_and_saveexec_b32 s22, s18
	s_wait_alu 0xfffe
	s_xor_b32 s22, exec_lo, s22
	s_cbranch_execnz .LBB16_186
.LBB16_96:                              ;   in Loop: Header=BB16_4 Depth=1
	s_wait_alu 0xfffe
	s_and_not1_saveexec_b32 s22, s22
	s_cbranch_execnz .LBB16_187
.LBB16_97:                              ;   in Loop: Header=BB16_4 Depth=1
	s_wait_alu 0xfffe
	s_or_b32 exec_lo, exec_lo, s22
	s_and_saveexec_b32 s22, s19
	s_wait_alu 0xfffe
	s_xor_b32 s22, exec_lo, s22
	s_cbranch_execnz .LBB16_188
.LBB16_98:                              ;   in Loop: Header=BB16_4 Depth=1
	s_wait_alu 0xfffe
	s_and_not1_saveexec_b32 s22, s22
	s_cbranch_execz .LBB16_100
.LBB16_99:                              ;   in Loop: Header=BB16_4 Depth=1
	v_add_co_u32 v2, vcc_lo, v11, s56
	s_wait_alu 0xfffd
	v_add_co_ci_u32_e64 v3, null, s57, v12, vcc_lo
	global_load_b128 v[15:18], v[2:3], off
	s_wait_loadcnt 0x0
	ds_store_2addr_b64 v187, v[15:16], v[17:18] offset1:1
.LBB16_100:                             ;   in Loop: Header=BB16_4 Depth=1
	s_wait_alu 0xfffe
	s_or_b32 exec_lo, exec_lo, s22
	v_add_co_u32 v2, vcc_lo, v11, v238
	s_wait_alu 0xfffd
	v_add_co_ci_u32_e64 v3, null, 0, v12, vcc_lo
	s_lshl_b64 s[64:65], s[58:59], 4
	s_mov_b32 s22, 0
	s_wait_alu 0xfffe
	v_add_co_u32 v2, vcc_lo, v2, s64
	s_wait_alu 0xfffd
	v_add_co_ci_u32_e64 v3, null, s65, v3, vcc_lo
	s_delay_alu instid0(VALU_DEP_2) | instskip(SKIP_1) | instid1(VALU_DEP_2)
	v_add_co_u32 v2, vcc_lo, v2, 16
	s_wait_alu 0xfffd
	v_add_co_ci_u32_e64 v3, null, 0, v3, vcc_lo
	s_delay_alu instid0(VALU_DEP_2) | instskip(NEXT) | instid1(VALU_DEP_2)
	v_cndmask_b32_e64 v2, v2, v9, s1
	v_cndmask_b32_e64 v3, v3, v10, s1
.LBB16_101:                             ;   in Loop: Header=BB16_4 Depth=1
	s_and_b32 vcc_lo, exec_lo, s22
	s_wait_alu 0xfffe
	s_cbranch_vccz .LBB16_103
; %bb.102:                              ;   in Loop: Header=BB16_4 Depth=1
	v_add_co_u32 v2, vcc_lo, v13, s50
	s_wait_alu 0xfffd
	v_add_co_ci_u32_e64 v3, null, s51, v14, vcc_lo
	s_delay_alu instid0(VALU_DEP_2) | instskip(SKIP_1) | instid1(VALU_DEP_2)
	v_add_co_u32 v19, vcc_lo, v2, s50
	s_wait_alu 0xfffd
	v_add_co_ci_u32_e64 v20, null, s51, v3, vcc_lo
	s_delay_alu instid0(VALU_DEP_2) | instskip(SKIP_1) | instid1(VALU_DEP_2)
	v_add_co_u32 v23, vcc_lo, v19, s50
	s_wait_alu 0xfffd
	v_add_co_ci_u32_e64 v24, null, s51, v20, vcc_lo
	s_clause 0x3
	global_load_b128 v[11:14], v[9:10], off
	global_load_b128 v[15:18], v[2:3], off offset:-512
	global_load_b128 v[19:22], v[19:20], off offset:-512
	global_load_b128 v[23:26], v[23:24], off offset:-512
	v_dual_mov_b32 v2, v9 :: v_dual_mov_b32 v3, v10
	s_wait_loadcnt 0x3
	ds_store_2addr_b64 v184, v[11:12], v[13:14] offset1:1
	s_wait_loadcnt 0x2
	ds_store_2addr_b64 v185, v[15:16], v[17:18] offset1:1
	;; [unrolled: 2-line block ×4, first 2 shown]
.LBB16_103:                             ;   in Loop: Header=BB16_4 Depth=1
	v_add_nc_u32_e32 v4, v189, v196
	v_add_nc_u32_e32 v13, v194, v196
	s_wait_loadcnt_dscnt 0x0
	s_barrier_signal -1
	s_barrier_wait -1
	global_inv scope:SCOPE_SE
	ds_load_b128 v[9:12], v4
	ds_load_b128 v[13:16], v13
	ds_load_b128 v[17:20], v204 offset:128
	ds_load_b128 v[21:24], v195 offset:128
	ds_load_b128 v[25:28], v195 offset:256
	ds_load_b128 v[29:32], v195 offset:384
	s_wait_dscnt 0x2
	v_mul_f64_e32 v[35:36], v[23:24], v[19:20]
	v_mul_f64_e32 v[33:34], v[11:12], v[15:16]
	;; [unrolled: 1-line block ×4, first 2 shown]
	s_delay_alu instid0(VALU_DEP_4) | instskip(NEXT) | instid1(VALU_DEP_4)
	v_fma_f64 v[17:18], v[21:22], v[17:18], v[35:36]
	v_fma_f64 v[33:34], v[9:10], v[13:14], v[33:34]
	s_delay_alu instid0(VALU_DEP_4)
	v_fma_f64 v[37:38], v[9:10], v[15:16], -v[11:12]
	ds_load_b128 v[9:12], v204 offset:256
	ds_load_b128 v[13:16], v204 offset:384
	v_fma_f64 v[19:20], v[21:22], v[19:20], -v[23:24]
	s_wait_dscnt 0x1
	v_mul_f64_e32 v[39:40], v[27:28], v[11:12]
	v_mul_f64_e32 v[27:28], v[27:28], v[9:10]
	v_add_f64_e32 v[21:22], 0, v[33:34]
	v_add_f64_e32 v[23:24], 0, v[37:38]
	s_wait_dscnt 0x0
	v_mul_f64_e32 v[33:34], v[31:32], v[15:16]
	v_mul_f64_e32 v[31:32], v[31:32], v[13:14]
	v_fma_f64 v[9:10], v[25:26], v[9:10], v[39:40]
	v_fma_f64 v[11:12], v[25:26], v[11:12], -v[27:28]
	v_add_f64_e32 v[17:18], v[21:22], v[17:18]
	v_add_f64_e32 v[19:20], v[23:24], v[19:20]
	v_fma_f64 v[13:14], v[29:30], v[13:14], v[33:34]
	v_fma_f64 v[15:16], v[29:30], v[15:16], -v[31:32]
	s_delay_alu instid0(VALU_DEP_4) | instskip(NEXT) | instid1(VALU_DEP_4)
	v_add_f64_e32 v[9:10], v[17:18], v[9:10]
	v_add_f64_e32 v[11:12], v[19:20], v[11:12]
	s_delay_alu instid0(VALU_DEP_2) | instskip(NEXT) | instid1(VALU_DEP_2)
	v_add_f64_e32 v[43:44], v[9:10], v[13:14]
	v_add_f64_e32 v[45:46], v[11:12], v[15:16]
	ds_load_b128 v[33:36], v194 offset:512
	ds_load_b128 v[25:28], v194 offset:528
	;; [unrolled: 1-line block ×4, first 2 shown]
	ds_load_b128 v[29:32], v240
	ds_load_b128 v[21:24], v240 offset:528
	ds_load_b128 v[37:40], v239
	ds_load_b128 v[17:20], v240 offset:1056
	s_wait_loadcnt_dscnt 0x0
	s_barrier_signal -1
	s_barrier_wait -1
	global_inv scope:SCOPE_SE
	ds_store_b128 v195, v[43:46]
	s_wait_loadcnt_dscnt 0x0
	s_barrier_signal -1
	s_barrier_wait -1
	global_inv scope:SCOPE_SE
	s_and_saveexec_b32 s22, s20
	s_cbranch_execz .LBB16_105
; %bb.104:                              ;   in Loop: Header=BB16_4 Depth=1
	ds_load_b128 v[43:46], v192
	ds_load_b128 v[47:50], v192 offset:16
	s_wait_dscnt 0x1
	v_add_f64_e32 v[4:5], v[5:6], v[43:44]
	v_add_f64_e32 v[6:7], v[7:8], v[45:46]
	s_wait_dscnt 0x0
	s_delay_alu instid0(VALU_DEP_2) | instskip(NEXT) | instid1(VALU_DEP_2)
	v_add_f64_e32 v[47:48], v[4:5], v[47:48]
	v_add_f64_e32 v[49:50], v[6:7], v[49:50]
	ds_load_b128 v[4:7], v192 offset:32
	ds_load_b128 v[43:46], v192 offset:48
	s_wait_dscnt 0x1
	v_add_f64_e32 v[4:5], v[47:48], v[4:5]
	v_add_f64_e32 v[6:7], v[49:50], v[6:7]
	s_wait_dscnt 0x0
	s_delay_alu instid0(VALU_DEP_2) | instskip(NEXT) | instid1(VALU_DEP_2)
	v_add_f64_e32 v[47:48], v[4:5], v[43:44]
	v_add_f64_e32 v[49:50], v[6:7], v[45:46]
	ds_load_b128 v[4:7], v192 offset:64
	;; [unrolled: 9-line block ×3, first 2 shown]
	ds_load_b128 v[43:46], v192 offset:112
	s_wait_dscnt 0x1
	v_add_f64_e32 v[4:5], v[47:48], v[4:5]
	v_add_f64_e32 v[7:8], v[49:50], v[6:7]
	s_wait_dscnt 0x0
	s_delay_alu instid0(VALU_DEP_2) | instskip(NEXT) | instid1(VALU_DEP_2)
	v_add_f64_e32 v[5:6], v[4:5], v[43:44]
	v_add_f64_e32 v[7:8], v[7:8], v[45:46]
.LBB16_105:                             ;   in Loop: Header=BB16_4 Depth=1
	s_wait_alu 0xfffe
	s_or_b32 exec_lo, exec_lo, s22
	v_mul_f64_e32 v[43:44], v[35:36], v[39:40]
	v_mul_f64_e32 v[39:40], v[33:34], v[39:40]
	;; [unrolled: 1-line block ×4, first 2 shown]
	s_wait_loadcnt 0x0
	s_barrier_signal -1
	s_barrier_wait -1
	global_inv scope:SCOPE_SE
	v_fma_f64 v[33:34], v[33:34], v[37:38], -v[43:44]
	v_fma_f64 v[35:36], v[35:36], v[37:38], v[39:40]
	v_mul_f64_e32 v[37:38], v[15:16], v[23:24]
	v_mul_f64_e32 v[23:24], v[13:14], v[23:24]
	v_fma_f64 v[25:26], v[25:26], v[29:30], -v[45:46]
	v_fma_f64 v[27:28], v[27:28], v[29:30], v[31:32]
	v_add_f64_e32 v[29:30], 0, v[33:34]
	v_add_f64_e32 v[31:32], 0, v[35:36]
	v_mul_f64_e32 v[33:34], v[11:12], v[19:20]
	v_mul_f64_e32 v[19:20], v[9:10], v[19:20]
	v_fma_f64 v[13:14], v[13:14], v[21:22], -v[37:38]
	v_fma_f64 v[15:16], v[15:16], v[21:22], v[23:24]
	v_add_f64_e32 v[21:22], v[29:30], v[25:26]
	v_add_f64_e32 v[23:24], v[31:32], v[27:28]
	v_fma_f64 v[9:10], v[9:10], v[17:18], -v[33:34]
	v_fma_f64 v[11:12], v[11:12], v[17:18], v[19:20]
	s_delay_alu instid0(VALU_DEP_4) | instskip(NEXT) | instid1(VALU_DEP_4)
	v_add_f64_e32 v[13:14], v[21:22], v[13:14]
	v_add_f64_e32 v[15:16], v[23:24], v[15:16]
	s_delay_alu instid0(VALU_DEP_2) | instskip(NEXT) | instid1(VALU_DEP_2)
	v_add_f64_e32 v[9:10], v[13:14], v[9:10]
	v_add_f64_e32 v[11:12], v[15:16], v[11:12]
	ds_store_b128 v195, v[9:12]
	s_wait_loadcnt_dscnt 0x0
	s_barrier_signal -1
	s_barrier_wait -1
	global_inv scope:SCOPE_SE
	s_and_saveexec_b32 s22, s14
	s_cbranch_execz .LBB16_107
; %bb.106:                              ;   in Loop: Header=BB16_4 Depth=1
	ds_load_b128 v[9:12], v192
	ds_load_b128 v[13:16], v192 offset:16
	s_wait_dscnt 0x1
	v_add_f64_e32 v[4:5], v[5:6], v[9:10]
	v_add_f64_e32 v[6:7], v[7:8], v[11:12]
	s_wait_dscnt 0x0
	s_delay_alu instid0(VALU_DEP_2) | instskip(NEXT) | instid1(VALU_DEP_2)
	v_add_f64_e32 v[12:13], v[4:5], v[13:14]
	v_add_f64_e32 v[14:15], v[6:7], v[15:16]
	ds_load_b128 v[4:7], v192 offset:32
	ds_load_b128 v[8:11], v192 offset:48
	s_wait_dscnt 0x1
	v_add_f64_e32 v[4:5], v[12:13], v[4:5]
	v_add_f64_e32 v[6:7], v[14:15], v[6:7]
	s_wait_dscnt 0x0
	s_delay_alu instid0(VALU_DEP_2) | instskip(NEXT) | instid1(VALU_DEP_2)
	v_add_f64_e32 v[12:13], v[4:5], v[8:9]
	v_add_f64_e32 v[14:15], v[6:7], v[10:11]
	ds_load_b128 v[4:7], v192 offset:64
	;; [unrolled: 9-line block ×3, first 2 shown]
	ds_load_b128 v[8:11], v192 offset:112
	s_wait_dscnt 0x1
	v_add_f64_e32 v[4:5], v[12:13], v[4:5]
	v_add_f64_e32 v[12:13], v[14:15], v[6:7]
	s_wait_dscnt 0x0
	s_delay_alu instid0(VALU_DEP_2) | instskip(NEXT) | instid1(VALU_DEP_2)
	v_add_f64_e32 v[5:6], v[4:5], v[8:9]
	v_add_f64_e32 v[7:8], v[12:13], v[10:11]
.LBB16_107:                             ;   in Loop: Header=BB16_4 Depth=1
	s_wait_alu 0xfffe
	s_or_b32 exec_lo, exec_lo, s22
	s_mul_u64 s[64:65], s[42:43], s[34:35]
	s_and_not1_b32 vcc_lo, exec_lo, s23
	s_wait_alu 0xfffe
	s_lshl_b64 s[64:65], s[64:65], 4
	s_wait_loadcnt 0x0
	s_wait_alu 0xfffe
	s_add_nc_u64 s[64:65], s[48:49], s[64:65]
	s_barrier_signal -1
	s_barrier_wait -1
	global_inv scope:SCOPE_SE
	s_cbranch_vccnz .LBB16_165
; %bb.108:                              ;   in Loop: Header=BB16_4 Depth=1
	scratch_load_b32 v4, off, off offset:8  ; 4-byte Folded Reload
	v_add_co_u32 v241, vcc_lo, v41, s62
	s_wait_alu 0xfffd
	v_add_co_ci_u32_e64 v242, null, s63, v42, vcc_lo
	s_mov_b32 s73, ttmp9
	s_mov_b32 s66, s72
	s_wait_loadcnt 0x0
	v_add_co_u32 v243, vcc_lo, v2, v4
	scratch_load_b32 v4, off, off offset:4  ; 4-byte Folded Reload
	s_wait_loadcnt 0x0
	s_wait_alu 0xfffd
	v_add_co_ci_u32_e64 v244, null, v3, v4, vcc_lo
	scratch_load_b32 v4, off, off offset:12 ; 4-byte Folded Reload
	s_wait_loadcnt 0x0
	v_add_co_u32 v245, vcc_lo, v2, v4
	scratch_load_b32 v4, off, off offset:16 ; 4-byte Folded Reload
	s_wait_loadcnt 0x0
	s_wait_alu 0xfffd
	v_add_co_ci_u32_e64 v246, null, v3, v4, vcc_lo
	scratch_load_b32 v4, off, off offset:20 ; 4-byte Folded Reload
	s_wait_loadcnt 0x0
	v_add_co_u32 v247, vcc_lo, v2, v4
	scratch_load_b32 v4, off, off offset:24 ; 4-byte Folded Reload
	;; [unrolled: 7-line block ×15, first 2 shown]
	s_wait_loadcnt 0x0
	s_wait_alu 0xfffd
	v_add_co_ci_u32_e64 v223, null, v3, v2, vcc_lo
	s_cmp_eq_u32 s53, s73
	s_cselect_b32 s74, s68, 0
	s_and_saveexec_b32 s22, s0
	s_cbranch_execz .LBB16_113
.LBB16_109:                             ;   in Loop: Header=BB16_4 Depth=1
	s_wait_alu 0xfffe
	v_cmp_le_i32_e32 vcc_lo, s74, v177
	s_cmp_lg_u32 s74, 0
	s_cselect_b32 s67, -1, 0
	s_wait_alu 0xfffe
	s_and_b32 s67, s67, vcc_lo
	s_wait_alu 0xfffe
	s_and_saveexec_b32 s75, s67
	s_wait_alu 0xfffe
	s_xor_b32 s67, exec_lo, s75
; %bb.110:                              ;   in Loop: Header=BB16_4 Depth=1
	v_dual_mov_b32 v2, v1 :: v_dual_mov_b32 v3, v1
	v_mov_b32_e32 v4, v1
	ds_store_b128 v0, v[1:4]
; %bb.111:                              ;   in Loop: Header=BB16_4 Depth=1
	s_wait_alu 0xfffe
	s_and_not1_saveexec_b32 s67, s67
	s_cbranch_execz .LBB16_113
; %bb.112:                              ;   in Loop: Header=BB16_4 Depth=1
	s_ashr_i32 s67, s66, 31
	s_wait_alu 0xfffe
	s_mul_u64 s[76:77], s[24:25], s[66:67]
	s_wait_alu 0xfffe
	s_lshl_b64 s[76:77], s[76:77], 4
	s_wait_alu 0xfffe
	v_add_co_u32 v2, vcc_lo, v241, s76
	s_wait_alu 0xfffd
	v_add_co_ci_u32_e64 v3, null, s77, v242, vcc_lo
	global_load_b128 v[9:12], v[2:3], off
	s_wait_loadcnt 0x0
	ds_store_2addr_b64 v0, v[9:10], v[11:12] offset1:1
.LBB16_113:                             ;   Parent Loop BB16_4 Depth=1
                                        ; =>  This Inner Loop Header: Depth=2
	s_wait_alu 0xfffe
	s_or_b32 exec_lo, exec_lo, s22
	s_cmp_eq_u32 s74, 0
	v_add_co_u32 v2, vcc_lo, v243, v180
	s_cselect_b32 s67, -1, 0
	s_cmp_lg_u32 s74, 0
	s_wait_alu 0xfffd
	v_add_co_ci_u32_e64 v3, null, 0, v244, vcc_lo
	s_cselect_b32 s22, -1, 0
	s_wait_dscnt 0x0
	s_wait_alu 0xfffe
	s_and_b32 vcc_lo, exec_lo, s22
	s_barrier_signal -1
	s_barrier_wait -1
	global_inv scope:SCOPE_SE
	s_wait_alu 0xfffe
	s_cbranch_vccz .LBB16_121
; %bb.114:                              ;   in Loop: Header=BB16_113 Depth=2
	v_mov_b32_e32 v9, 0
	v_dual_mov_b32 v10, 0 :: v_dual_mov_b32 v13, 0
	v_dual_mov_b32 v15, 0 :: v_dual_mov_b32 v14, 0
	v_mov_b32_e32 v16, 0
	s_mov_b32 s75, exec_lo
	v_cmpx_gt_i32_e64 s74, v197
	s_cbranch_execz .LBB16_116
; %bb.115:                              ;   in Loop: Header=BB16_113 Depth=2
	global_load_b128 v[13:16], v[2:3], off offset:-8
.LBB16_116:                             ;   in Loop: Header=BB16_113 Depth=2
	s_wait_alu 0xfffe
	s_or_b32 exec_lo, exec_lo, s75
	v_mov_b32_e32 v11, 0
	v_or_b32_e32 v4, 1, v197
	v_mov_b32_e32 v12, 0
	s_mov_b32 s75, exec_lo
	s_delay_alu instid0(VALU_DEP_2)
	v_cmpx_gt_i32_e64 s74, v4
	s_cbranch_execz .LBB16_118
; %bb.117:                              ;   in Loop: Header=BB16_113 Depth=2
	v_add_co_u32 v9, vcc_lo, v251, v180
	s_wait_alu 0xfffd
	v_add_co_ci_u32_e64 v10, null, 0, v252, vcc_lo
	global_load_b128 v[9:12], v[9:10], off offset:-8
.LBB16_118:                             ;   in Loop: Header=BB16_113 Depth=2
	s_wait_alu 0xfffe
	s_or_b32 exec_lo, exec_lo, s75
	v_mov_b32_e32 v17, 0
	v_dual_mov_b32 v18, 0 :: v_dual_mov_b32 v19, 0
	v_or_b32_e32 v4, 2, v197
	v_mov_b32_e32 v20, 0
	s_mov_b32 s75, exec_lo
	s_delay_alu instid0(VALU_DEP_2)
	v_cmpx_gt_i32_e64 s74, v4
	s_cbranch_execz .LBB16_120
; %bb.119:                              ;   in Loop: Header=BB16_113 Depth=2
	v_add_co_u32 v17, vcc_lo, v247, v180
	s_wait_alu 0xfffd
	v_add_co_ci_u32_e64 v18, null, 0, v248, vcc_lo
	global_load_b128 v[17:20], v[17:18], off
.LBB16_120:                             ;   in Loop: Header=BB16_113 Depth=2
	s_wait_alu 0xfffe
	s_or_b32 exec_lo, exec_lo, s75
	v_or_b32_e32 v4, 3, v197
	s_delay_alu instid0(VALU_DEP_1)
	v_cmp_gt_i32_e64 s75, s74, v4
	s_branch .LBB16_123
.LBB16_121:                             ;   in Loop: Header=BB16_113 Depth=2
	s_mov_b32 s75, 0
                                        ; implicit-def: $vgpr19_vgpr20
                                        ; implicit-def: $vgpr11_vgpr12
                                        ; implicit-def: $vgpr15_vgpr16
	s_cbranch_execz .LBB16_123
; %bb.122:                              ;   in Loop: Header=BB16_113 Depth=2
	s_wait_loadcnt 0x0
	v_add_co_u32 v9, vcc_lo, v251, v180
	s_wait_alu 0xfffd
	v_add_co_ci_u32_e64 v10, null, 0, v252, vcc_lo
	v_add_co_u32 v17, vcc_lo, v247, v180
	s_wait_alu 0xfffd
	v_add_co_ci_u32_e64 v18, null, 0, v248, vcc_lo
	global_load_b128 v[13:16], v[2:3], off offset:-8
	global_load_b128 v[9:12], v[9:10], off offset:-8
	global_load_b128 v[17:20], v[17:18], off
	s_wait_alu 0xfffe
	s_or_b32 s75, s75, exec_lo
.LBB16_123:                             ;   in Loop: Header=BB16_113 Depth=2
	v_mov_b32_e32 v21, 0
	v_dual_mov_b32 v22, 0 :: v_dual_mov_b32 v23, 0
	v_mov_b32_e32 v24, 0
	s_wait_alu 0xfffe
	s_and_saveexec_b32 s76, s75
	s_cbranch_execz .LBB16_125
; %bb.124:                              ;   in Loop: Header=BB16_113 Depth=2
	v_add_co_u32 v2, vcc_lo, v255, v180
	s_wait_alu 0xfffd
	v_add_co_ci_u32_e64 v3, null, 0, v205, vcc_lo
	global_load_b128 v[21:24], v[2:3], off offset:-8
.LBB16_125:                             ;   in Loop: Header=BB16_113 Depth=2
	s_wait_alu 0xfffe
	s_or_b32 exec_lo, exec_lo, s76
	ds_load_b128 v[29:32], v181
	ds_load_b128 v[25:28], v198
	v_cndmask_b32_e64 v4, 0, 1, s22
	s_wait_loadcnt_dscnt 0x1
	v_mul_f64_e32 v[2:3], v[15:16], v[31:32]
	v_mul_f64_e32 v[33:34], v[15:16], v[29:30]
	;; [unrolled: 1-line block ×8, first 2 shown]
	v_fma_f64 v[41:42], v[13:14], v[29:30], v[2:3]
	v_fma_f64 v[43:44], v[13:14], v[31:32], -v[33:34]
	v_fma_f64 v[45:46], v[9:10], v[29:30], v[35:36]
	v_fma_f64 v[47:48], v[9:10], v[31:32], -v[37:38]
	;; [unrolled: 2-line block ×4, first 2 shown]
	ds_load_b128 v[37:40], v198 offset:16
	ds_load_b128 v[33:36], v198 offset:32
	;; [unrolled: 1-line block ×3, first 2 shown]
	v_add_co_u32 v2, vcc_lo, v208, v180
	s_wait_alu 0xfffd
	v_add_co_ci_u32_e64 v3, null, 0, v209, vcc_lo
	s_and_not1_b32 vcc_lo, exec_lo, s22
	ds_store_b128 v199, v[41:44]
	ds_store_b128 v199, v[45:48] offset:1072
	ds_store_b128 v199, v[49:52] offset:2144
	;; [unrolled: 1-line block ×3, first 2 shown]
	s_wait_dscnt 0x0
	s_barrier_signal -1
	s_barrier_wait -1
	global_inv scope:SCOPE_SE
	ds_load_b128 v[97:100], v200
	ds_load_b128 v[93:96], v200 offset:16
	ds_load_b128 v[89:92], v200 offset:32
	;; [unrolled: 1-line block ×3, first 2 shown]
	s_wait_loadcnt_dscnt 0x0
	s_barrier_signal -1
	s_barrier_wait -1
	global_inv scope:SCOPE_SE
	s_wait_alu 0xfffe
	s_cbranch_vccnz .LBB16_133
; %bb.126:                              ;   in Loop: Header=BB16_113 Depth=2
	v_mov_b32_e32 v41, 0
	v_mov_b32_e32 v45, 0
	;; [unrolled: 1-line block ×3, first 2 shown]
	v_dual_mov_b32 v42, 0 :: v_dual_add_nc_u32 v43, 16, v197
	v_mov_b32_e32 v46, 0
	v_mov_b32_e32 v48, 0
	s_mov_b32 s22, exec_lo
	s_delay_alu instid0(VALU_DEP_3)
	v_cmpx_gt_i32_e64 s74, v43
	s_cbranch_execz .LBB16_128
; %bb.127:                              ;   in Loop: Header=BB16_113 Depth=2
	global_load_b128 v[45:48], v[2:3], off offset:-8
.LBB16_128:                             ;   in Loop: Header=BB16_113 Depth=2
	s_wait_alu 0xfffe
	s_or_b32 exec_lo, exec_lo, s22
	v_mov_b32_e32 v43, 0
	v_dual_mov_b32 v44, 0 :: v_dual_add_nc_u32 v49, 17, v197
	s_mov_b32 s22, exec_lo
	s_delay_alu instid0(VALU_DEP_1)
	v_cmpx_gt_i32_e64 s74, v49
	s_cbranch_execz .LBB16_130
; %bb.129:                              ;   in Loop: Header=BB16_113 Depth=2
	v_add_co_u32 v41, vcc_lo, v212, v180
	s_wait_alu 0xfffd
	v_add_co_ci_u32_e64 v42, null, 0, v213, vcc_lo
	global_load_b128 v[41:44], v[41:42], off offset:-8
.LBB16_130:                             ;   in Loop: Header=BB16_113 Depth=2
	s_wait_alu 0xfffe
	s_or_b32 exec_lo, exec_lo, s22
	v_mov_b32_e32 v49, 0
	v_mov_b32_e32 v51, 0
	v_dual_mov_b32 v50, 0 :: v_dual_add_nc_u32 v53, 18, v197
	v_mov_b32_e32 v52, 0
	s_mov_b32 s22, exec_lo
	s_delay_alu instid0(VALU_DEP_2)
	v_cmpx_gt_i32_e64 s74, v53
	s_cbranch_execz .LBB16_132
; %bb.131:                              ;   in Loop: Header=BB16_113 Depth=2
	v_add_co_u32 v49, vcc_lo, v216, v180
	s_wait_alu 0xfffd
	v_add_co_ci_u32_e64 v50, null, 0, v217, vcc_lo
	global_load_b128 v[49:52], v[49:50], off offset:-8
.LBB16_132:                             ;   in Loop: Header=BB16_113 Depth=2
	s_wait_alu 0xfffe
	s_or_b32 exec_lo, exec_lo, s22
	v_add_nc_u32_e32 v53, 19, v197
	s_delay_alu instid0(VALU_DEP_1)
	v_cmp_gt_i32_e64 s22, s74, v53
	s_branch .LBB16_135
.LBB16_133:                             ;   in Loop: Header=BB16_113 Depth=2
	s_mov_b32 s22, 0
                                        ; implicit-def: $vgpr51_vgpr52
                                        ; implicit-def: $vgpr43_vgpr44
                                        ; implicit-def: $vgpr47_vgpr48
	s_cbranch_execz .LBB16_135
; %bb.134:                              ;   in Loop: Header=BB16_113 Depth=2
	s_wait_loadcnt 0x0
	v_add_co_u32 v41, vcc_lo, v212, v180
	s_wait_alu 0xfffd
	v_add_co_ci_u32_e64 v42, null, 0, v213, vcc_lo
	v_add_co_u32 v49, vcc_lo, v216, v180
	s_wait_alu 0xfffd
	v_add_co_ci_u32_e64 v50, null, 0, v217, vcc_lo
	global_load_b128 v[45:48], v[2:3], off offset:-8
	global_load_b128 v[41:44], v[41:42], off offset:-8
	;; [unrolled: 1-line block ×3, first 2 shown]
	s_wait_alu 0xfffe
	s_or_b32 s22, s22, exec_lo
.LBB16_135:                             ;   in Loop: Header=BB16_113 Depth=2
	v_mov_b32_e32 v53, 0
	v_dual_mov_b32 v54, 0 :: v_dual_mov_b32 v55, 0
	v_mov_b32_e32 v56, 0
	s_wait_alu 0xfffe
	s_and_saveexec_b32 s75, s22
	s_cbranch_execz .LBB16_137
; %bb.136:                              ;   in Loop: Header=BB16_113 Depth=2
	v_add_co_u32 v2, vcc_lo, v220, v180
	s_wait_alu 0xfffd
	v_add_co_ci_u32_e64 v3, null, 0, v221, vcc_lo
	global_load_b128 v[53:56], v[2:3], off offset:-8
.LBB16_137:                             ;   in Loop: Header=BB16_113 Depth=2
	s_wait_alu 0xfffe
	s_or_b32 exec_lo, exec_lo, s75
	ds_load_b128 v[61:64], v181
	ds_load_b128 v[57:60], v198 offset:256
	v_cmp_ne_u32_e32 vcc_lo, 1, v4
	s_and_b32 vcc_lo, exec_lo, vcc_lo
	s_wait_loadcnt_dscnt 0x1
	v_mul_f64_e32 v[2:3], v[47:48], v[63:64]
	v_mul_f64_e32 v[65:66], v[47:48], v[61:62]
	;; [unrolled: 1-line block ×8, first 2 shown]
	v_fma_f64 v[73:74], v[45:46], v[61:62], v[2:3]
	v_fma_f64 v[75:76], v[45:46], v[63:64], -v[65:66]
	v_fma_f64 v[77:78], v[41:42], v[61:62], v[67:68]
	v_fma_f64 v[79:80], v[41:42], v[63:64], -v[69:70]
	;; [unrolled: 2-line block ×4, first 2 shown]
	ds_load_b128 v[69:72], v198 offset:272
	ds_load_b128 v[65:68], v198 offset:288
	;; [unrolled: 1-line block ×3, first 2 shown]
	v_add_co_u32 v2, s22, v222, v180
	s_wait_alu 0xf1ff
	v_add_co_ci_u32_e64 v3, null, 0, v223, s22
	ds_store_b128 v199, v[73:76]
	ds_store_b128 v199, v[77:80] offset:1072
	ds_store_b128 v199, v[81:84] offset:2144
	;; [unrolled: 1-line block ×3, first 2 shown]
	s_wait_dscnt 0x0
	s_barrier_signal -1
	s_barrier_wait -1
	global_inv scope:SCOPE_SE
	ds_load_b128 v[145:148], v200
	ds_load_b128 v[141:144], v200 offset:16
	ds_load_b128 v[137:140], v200 offset:32
	;; [unrolled: 1-line block ×3, first 2 shown]
	s_wait_loadcnt_dscnt 0x0
	s_barrier_signal -1
	s_barrier_wait -1
	global_inv scope:SCOPE_SE
	s_wait_alu 0xfffe
	s_cbranch_vccnz .LBB16_145
; %bb.138:                              ;   in Loop: Header=BB16_113 Depth=2
	v_mov_b32_e32 v73, 0
	v_mov_b32_e32 v77, 0
	;; [unrolled: 1-line block ×3, first 2 shown]
	v_dual_mov_b32 v74, 0 :: v_dual_add_nc_u32 v75, 32, v197
	v_mov_b32_e32 v78, 0
	v_mov_b32_e32 v80, 0
	s_mov_b32 s22, exec_lo
	s_delay_alu instid0(VALU_DEP_3)
	v_cmpx_gt_i32_e64 s74, v75
	s_cbranch_execz .LBB16_140
; %bb.139:                              ;   in Loop: Header=BB16_113 Depth=2
	global_load_b128 v[77:80], v[2:3], off offset:-8
.LBB16_140:                             ;   in Loop: Header=BB16_113 Depth=2
	s_wait_alu 0xfffe
	s_or_b32 exec_lo, exec_lo, s22
	v_mov_b32_e32 v75, 0
	v_dual_mov_b32 v76, 0 :: v_dual_add_nc_u32 v81, 33, v197
	s_mov_b32 s22, exec_lo
	s_delay_alu instid0(VALU_DEP_1)
	v_cmpx_gt_i32_e64 s74, v81
	s_cbranch_execz .LBB16_142
; %bb.141:                              ;   in Loop: Header=BB16_113 Depth=2
	v_add_co_u32 v73, vcc_lo, v218, v180
	s_wait_alu 0xfffd
	v_add_co_ci_u32_e64 v74, null, 0, v219, vcc_lo
	global_load_b128 v[73:76], v[73:74], off
.LBB16_142:                             ;   in Loop: Header=BB16_113 Depth=2
	s_wait_alu 0xfffe
	s_or_b32 exec_lo, exec_lo, s22
	v_mov_b32_e32 v81, 0
	v_mov_b32_e32 v83, 0
	v_dual_mov_b32 v82, 0 :: v_dual_add_nc_u32 v101, 34, v197
	v_mov_b32_e32 v84, 0
	s_mov_b32 s22, exec_lo
	s_delay_alu instid0(VALU_DEP_2)
	v_cmpx_gt_i32_e64 s74, v101
	s_cbranch_execz .LBB16_144
; %bb.143:                              ;   in Loop: Header=BB16_113 Depth=2
	v_add_co_u32 v81, vcc_lo, v214, v180
	s_wait_alu 0xfffd
	v_add_co_ci_u32_e64 v82, null, 0, v215, vcc_lo
	global_load_b128 v[81:84], v[81:82], off
.LBB16_144:                             ;   in Loop: Header=BB16_113 Depth=2
	s_wait_alu 0xfffe
	s_or_b32 exec_lo, exec_lo, s22
	v_add_nc_u32_e32 v101, 35, v197
	s_delay_alu instid0(VALU_DEP_1)
	v_cmp_gt_i32_e64 s22, s74, v101
	s_branch .LBB16_147
.LBB16_145:                             ;   in Loop: Header=BB16_113 Depth=2
	s_mov_b32 s22, 0
                                        ; implicit-def: $vgpr83_vgpr84
                                        ; implicit-def: $vgpr75_vgpr76
                                        ; implicit-def: $vgpr79_vgpr80
	s_cbranch_execz .LBB16_147
; %bb.146:                              ;   in Loop: Header=BB16_113 Depth=2
	s_wait_loadcnt 0x0
	v_add_co_u32 v73, vcc_lo, v218, v180
	s_wait_alu 0xfffd
	v_add_co_ci_u32_e64 v74, null, 0, v219, vcc_lo
	v_add_co_u32 v81, vcc_lo, v214, v180
	s_wait_alu 0xfffd
	v_add_co_ci_u32_e64 v82, null, 0, v215, vcc_lo
	global_load_b128 v[77:80], v[2:3], off offset:-8
	global_load_b128 v[73:76], v[73:74], off
	global_load_b128 v[81:84], v[81:82], off
	s_wait_alu 0xfffe
	s_or_b32 s22, s22, exec_lo
.LBB16_147:                             ;   in Loop: Header=BB16_113 Depth=2
	v_mov_b32_e32 v101, 0
	v_dual_mov_b32 v102, 0 :: v_dual_mov_b32 v103, 0
	v_mov_b32_e32 v104, 0
	s_wait_alu 0xfffe
	s_and_saveexec_b32 s75, s22
	s_cbranch_execz .LBB16_149
; %bb.148:                              ;   in Loop: Header=BB16_113 Depth=2
	v_add_co_u32 v2, vcc_lo, v210, v180
	s_wait_alu 0xfffd
	v_add_co_ci_u32_e64 v3, null, 0, v211, vcc_lo
	global_load_b128 v[101:104], v[2:3], off
.LBB16_149:                             ;   in Loop: Header=BB16_113 Depth=2
	s_wait_alu 0xfffe
	s_or_b32 exec_lo, exec_lo, s75
	ds_load_b128 v[109:112], v181
	ds_load_b128 v[105:108], v198 offset:512
	v_cmp_ne_u32_e32 vcc_lo, 1, v4
	s_and_b32 vcc_lo, exec_lo, vcc_lo
	s_wait_loadcnt_dscnt 0x1
	v_mul_f64_e32 v[2:3], v[79:80], v[111:112]
	v_mul_f64_e32 v[115:116], v[79:80], v[109:110]
	;; [unrolled: 1-line block ×6, first 2 shown]
	v_fma_f64 v[113:114], v[77:78], v[109:110], v[2:3]
	v_mul_f64_e32 v[2:3], v[83:84], v[109:110]
	v_fma_f64 v[115:116], v[77:78], v[111:112], -v[115:116]
	v_fma_f64 v[117:118], v[73:74], v[109:110], v[117:118]
	v_fma_f64 v[119:120], v[73:74], v[111:112], -v[119:120]
	v_fma_f64 v[121:122], v[81:82], v[109:110], v[121:122]
	v_fma_f64 v[127:128], v[101:102], v[111:112], -v[127:128]
	ds_store_b128 v199, v[113:116]
	ds_store_b128 v199, v[117:120] offset:1072
	v_fma_f64 v[123:124], v[81:82], v[111:112], -v[2:3]
	v_mul_f64_e32 v[2:3], v[103:104], v[111:112]
	s_delay_alu instid0(VALU_DEP_1)
	v_fma_f64 v[125:126], v[101:102], v[109:110], v[2:3]
	ds_load_b128 v[113:116], v198 offset:528
	ds_load_b128 v[109:112], v198 offset:544
	ds_store_b128 v199, v[121:124] offset:2144
	ds_load_b128 v[117:120], v198 offset:560
	v_add_co_u32 v2, s22, v206, v180
	s_wait_alu 0xf1ff
	v_add_co_ci_u32_e64 v3, null, 0, v207, s22
	ds_store_b128 v199, v[125:128] offset:3216
	s_wait_dscnt 0x0
	s_barrier_signal -1
	s_barrier_wait -1
	global_inv scope:SCOPE_SE
	ds_load_b128 v[169:172], v200
	ds_load_b128 v[165:168], v200 offset:16
	ds_load_b128 v[161:164], v200 offset:32
	;; [unrolled: 1-line block ×3, first 2 shown]
	s_wait_loadcnt_dscnt 0x0
	s_barrier_signal -1
	s_barrier_wait -1
	global_inv scope:SCOPE_SE
	s_wait_alu 0xfffe
	s_cbranch_vccnz .LBB16_157
; %bb.150:                              ;   in Loop: Header=BB16_113 Depth=2
	v_dual_mov_b32 v121, 0 :: v_dual_add_nc_u32 v4, 48, v197
	v_dual_mov_b32 v122, 0 :: v_dual_mov_b32 v125, 0
	v_dual_mov_b32 v126, 0 :: v_dual_mov_b32 v127, 0
	v_mov_b32_e32 v128, 0
	s_mov_b32 s22, exec_lo
	v_cmpx_gt_i32_e64 s74, v4
	s_cbranch_execz .LBB16_152
; %bb.151:                              ;   in Loop: Header=BB16_113 Depth=2
	global_load_b128 v[125:128], v[2:3], off
.LBB16_152:                             ;   in Loop: Header=BB16_113 Depth=2
	s_wait_alu 0xfffe
	s_or_b32 exec_lo, exec_lo, s22
	v_dual_mov_b32 v123, 0 :: v_dual_add_nc_u32 v4, 49, v197
	v_mov_b32_e32 v124, 0
	s_mov_b32 s22, exec_lo
	s_delay_alu instid0(VALU_DEP_2)
	v_cmpx_gt_i32_e64 s74, v4
	s_cbranch_execz .LBB16_154
; %bb.153:                              ;   in Loop: Header=BB16_113 Depth=2
	v_add_co_u32 v121, vcc_lo, v253, v180
	s_wait_alu 0xfffd
	v_add_co_ci_u32_e64 v122, null, 0, v254, vcc_lo
	global_load_b128 v[121:124], v[121:122], off
.LBB16_154:                             ;   in Loop: Header=BB16_113 Depth=2
	s_wait_alu 0xfffe
	s_or_b32 exec_lo, exec_lo, s22
	v_dual_mov_b32 v129, 0 :: v_dual_add_nc_u32 v4, 50, v197
	v_dual_mov_b32 v130, 0 :: v_dual_mov_b32 v131, 0
	v_mov_b32_e32 v132, 0
	s_mov_b32 s22, exec_lo
	s_delay_alu instid0(VALU_DEP_3)
	v_cmpx_gt_i32_e64 s74, v4
	s_cbranch_execz .LBB16_156
; %bb.155:                              ;   in Loop: Header=BB16_113 Depth=2
	v_add_co_u32 v129, vcc_lo, v249, v180
	s_wait_alu 0xfffd
	v_add_co_ci_u32_e64 v130, null, 0, v250, vcc_lo
	global_load_b128 v[129:132], v[129:130], off
.LBB16_156:                             ;   in Loop: Header=BB16_113 Depth=2
	s_wait_alu 0xfffe
	s_or_b32 exec_lo, exec_lo, s22
	v_add_nc_u32_e32 v4, 51, v197
	s_delay_alu instid0(VALU_DEP_1)
	v_cmp_gt_i32_e64 s22, s74, v4
	s_branch .LBB16_159
.LBB16_157:                             ;   in Loop: Header=BB16_113 Depth=2
	s_mov_b32 s22, 0
                                        ; implicit-def: $vgpr131_vgpr132
                                        ; implicit-def: $vgpr123_vgpr124
                                        ; implicit-def: $vgpr127_vgpr128
	s_cbranch_execz .LBB16_159
; %bb.158:                              ;   in Loop: Header=BB16_113 Depth=2
	s_wait_loadcnt 0x0
	v_add_co_u32 v121, vcc_lo, v253, v180
	s_wait_alu 0xfffd
	v_add_co_ci_u32_e64 v122, null, 0, v254, vcc_lo
	v_add_co_u32 v129, vcc_lo, v249, v180
	s_wait_alu 0xfffd
	v_add_co_ci_u32_e64 v130, null, 0, v250, vcc_lo
	global_load_b128 v[125:128], v[2:3], off
	global_load_b128 v[121:124], v[121:122], off
	;; [unrolled: 1-line block ×3, first 2 shown]
	s_wait_alu 0xfffe
	s_or_b32 s22, s22, exec_lo
.LBB16_159:                             ;   in Loop: Header=BB16_113 Depth=2
	v_mov_b32_e32 v149, 0
	v_dual_mov_b32 v150, 0 :: v_dual_mov_b32 v151, 0
	v_mov_b32_e32 v152, 0
	s_wait_alu 0xfffe
	s_and_saveexec_b32 s75, s22
	s_cbranch_execz .LBB16_161
; %bb.160:                              ;   in Loop: Header=BB16_113 Depth=2
	v_add_co_u32 v2, vcc_lo, v245, v180
	s_wait_alu 0xfffd
	v_add_co_ci_u32_e64 v3, null, 0, v246, vcc_lo
	global_load_b128 v[149:152], v[2:3], off
.LBB16_161:                             ;   in Loop: Header=BB16_113 Depth=2
	s_wait_alu 0xfffe
	s_or_b32 exec_lo, exec_lo, s75
	ds_load_b128 v[224:227], v181
	ds_load_b128 v[153:156], v198 offset:768
	v_cmp_gt_i32_e32 vcc_lo, s74, v177
	s_or_b32 s22, s67, vcc_lo
	s_wait_alu 0xfffe
	s_and_b32 s67, s21, s22
	s_wait_loadcnt_dscnt 0x1
	v_mul_f64_e32 v[2:3], v[127:128], v[226:227]
	v_mul_f64_e32 v[173:174], v[127:128], v[224:225]
	;; [unrolled: 1-line block ×4, first 2 shown]
	s_delay_alu instid0(VALU_DEP_4) | instskip(SKIP_4) | instid1(VALU_DEP_4)
	v_fma_f64 v[228:229], v[125:126], v[224:225], v[2:3]
	v_mul_f64_e32 v[2:3], v[123:124], v[226:227]
	v_fma_f64 v[230:231], v[125:126], v[226:227], -v[173:174]
	v_mul_f64_e32 v[173:174], v[123:124], v[224:225]
	v_fma_f64 v[175:176], v[129:130], v[226:227], -v[175:176]
	v_fma_f64 v[232:233], v[121:122], v[224:225], v[2:3]
	v_mul_f64_e32 v[2:3], v[131:132], v[226:227]
	s_delay_alu instid0(VALU_DEP_4) | instskip(NEXT) | instid1(VALU_DEP_2)
	v_fma_f64 v[234:235], v[121:122], v[226:227], -v[173:174]
	v_fma_f64 v[173:174], v[129:130], v[224:225], v[2:3]
	v_mul_f64_e32 v[2:3], v[151:152], v[226:227]
	v_fma_f64 v[226:227], v[149:150], v[226:227], -v[178:179]
	s_delay_alu instid0(VALU_DEP_2)
	v_fma_f64 v[224:225], v[149:150], v[224:225], v[2:3]
	v_add_f64_e32 v[2:3], 0, v[169:170]
	v_add_f64_e32 v[169:170], 0, v[171:172]
	ds_store_b128 v199, v[228:231]
	ds_store_b128 v199, v[232:235] offset:1072
	ds_store_b128 v199, v[173:176] offset:2144
	;; [unrolled: 1-line block ×3, first 2 shown]
	v_add_f64_e32 v[2:3], v[2:3], v[165:166]
	v_add_f64_e32 v[165:166], v[169:170], v[167:168]
	s_delay_alu instid0(VALU_DEP_2) | instskip(NEXT) | instid1(VALU_DEP_2)
	v_add_f64_e32 v[2:3], v[2:3], v[161:162]
	v_add_f64_e32 v[161:162], v[165:166], v[163:164]
	s_delay_alu instid0(VALU_DEP_2) | instskip(SKIP_2) | instid1(VALU_DEP_4)
	v_add_f64_e32 v[157:158], v[2:3], v[157:158]
	v_add_f64_e32 v[2:3], 0, v[97:98]
	;; [unrolled: 1-line block ×4, first 2 shown]
	s_delay_alu instid0(VALU_DEP_3) | instskip(NEXT) | instid1(VALU_DEP_3)
	v_add_f64_e32 v[2:3], v[2:3], v[93:94]
	v_add_f64_e32 v[93:94], v[97:98], v[95:96]
	s_delay_alu instid0(VALU_DEP_2) | instskip(NEXT) | instid1(VALU_DEP_2)
	v_add_f64_e32 v[2:3], v[2:3], v[89:90]
	v_add_f64_e32 v[89:90], v[93:94], v[91:92]
	s_delay_alu instid0(VALU_DEP_2) | instskip(SKIP_2) | instid1(VALU_DEP_4)
	v_add_f64_e32 v[97:98], v[2:3], v[85:86]
	v_add_f64_e32 v[85:86], 0, v[147:148]
	;; [unrolled: 1-line block ×4, first 2 shown]
	s_delay_alu instid0(VALU_DEP_3) | instskip(NEXT) | instid1(VALU_DEP_3)
	v_add_f64_e32 v[85:86], v[85:86], v[143:144]
	v_add_f64_e32 v[2:3], v[2:3], v[141:142]
	s_delay_alu instid0(VALU_DEP_2) | instskip(NEXT) | instid1(VALU_DEP_2)
	v_add_f64_e32 v[85:86], v[85:86], v[139:140]
	v_add_f64_e32 v[2:3], v[2:3], v[137:138]
	s_delay_alu instid0(VALU_DEP_2)
	v_add_f64_e32 v[135:136], v[85:86], v[135:136]
	ds_load_b128 v[93:96], v198 offset:784
	ds_load_b128 v[89:92], v198 offset:800
	;; [unrolled: 1-line block ×3, first 2 shown]
	s_wait_dscnt 0x0
	s_barrier_signal -1
	s_barrier_wait -1
	global_inv scope:SCOPE_SE
	ds_load_b128 v[137:140], v200
	ds_load_b128 v[141:144], v200 offset:16
	v_add_f64_e32 v[133:134], v[2:3], v[133:134]
	s_wait_dscnt 0x1
	v_add_f64_e32 v[2:3], 0, v[137:138]
	v_add_f64_e32 v[137:138], 0, v[139:140]
	s_wait_dscnt 0x0
	s_delay_alu instid0(VALU_DEP_2) | instskip(NEXT) | instid1(VALU_DEP_2)
	v_add_f64_e32 v[2:3], v[2:3], v[141:142]
	v_add_f64_e32 v[145:146], v[137:138], v[143:144]
	ds_load_b128 v[137:140], v200 offset:32
	ds_load_b128 v[141:144], v200 offset:48
	s_wait_loadcnt_dscnt 0x0
	s_barrier_signal -1
	s_barrier_wait -1
	global_inv scope:SCOPE_SE
	ds_store_b128 v237, v[97:100]
	ds_store_b128 v237, v[133:136] offset:256
	ds_store_b128 v237, v[157:160] offset:512
	v_add_f64_e32 v[2:3], v[2:3], v[137:138]
	v_add_f64_e32 v[139:140], v[145:146], v[139:140]
	s_delay_alu instid0(VALU_DEP_2) | instskip(NEXT) | instid1(VALU_DEP_2)
	v_add_f64_e32 v[137:138], v[2:3], v[141:142]
	v_add_f64_e32 v[139:140], v[139:140], v[143:144]
	ds_store_b128 v237, v[137:140] offset:768
	s_wait_loadcnt_dscnt 0x0
	s_barrier_signal -1
	s_barrier_wait -1
	global_inv scope:SCOPE_SE
	s_wait_alu 0xfffe
	s_and_saveexec_b32 s22, s67
	s_cbranch_execz .LBB16_163
; %bb.162:                              ;   in Loop: Header=BB16_113 Depth=2
	ds_load_b128 v[97:100], v201
	ds_load_b128 v[133:136], v201 offset:16
	s_wait_dscnt 0x0
	v_add_f64_e32 v[2:3], v[133:134], v[97:98]
	v_add_f64_e32 v[137:138], v[135:136], v[99:100]
	ds_load_b128 v[97:100], v201 offset:32
	ds_load_b128 v[133:136], v201 offset:48
	s_wait_dscnt 0x1
	v_add_f64_e32 v[2:3], v[2:3], v[97:98]
	v_add_f64_e32 v[97:98], v[137:138], v[99:100]
	s_wait_dscnt 0x0
	s_delay_alu instid0(VALU_DEP_2) | instskip(NEXT) | instid1(VALU_DEP_2)
	v_add_f64_e32 v[2:3], v[2:3], v[133:134]
	v_add_f64_e32 v[137:138], v[97:98], v[135:136]
	ds_load_b128 v[97:100], v201 offset:64
	ds_load_b128 v[133:136], v201 offset:80
	s_wait_dscnt 0x1
	v_add_f64_e32 v[2:3], v[2:3], v[97:98]
	v_add_f64_e32 v[97:98], v[137:138], v[99:100]
	s_wait_dscnt 0x0
	s_delay_alu instid0(VALU_DEP_2) | instskip(NEXT) | instid1(VALU_DEP_2)
	v_add_f64_e32 v[2:3], v[2:3], v[133:134]
	v_add_f64_e32 v[137:138], v[97:98], v[135:136]
	ds_load_b128 v[97:100], v201 offset:96
	ds_load_b128 v[133:136], v201 offset:112
	s_wait_dscnt 0x1
	v_add_f64_e32 v[2:3], v[2:3], v[97:98]
	v_add_f64_e32 v[97:98], v[137:138], v[99:100]
	s_wait_dscnt 0x0
	s_delay_alu instid0(VALU_DEP_2) | instskip(NEXT) | instid1(VALU_DEP_2)
	v_add_f64_e32 v[2:3], v[2:3], v[133:134]
	v_add_f64_e32 v[137:138], v[97:98], v[135:136]
	ds_load_b128 v[97:100], v201 offset:128
	ds_load_b128 v[133:136], v201 offset:144
	s_wait_dscnt 0x1
	v_add_f64_e32 v[2:3], v[2:3], v[97:98]
	v_add_f64_e32 v[97:98], v[137:138], v[99:100]
	s_wait_dscnt 0x0
	s_delay_alu instid0(VALU_DEP_2) | instskip(NEXT) | instid1(VALU_DEP_2)
	v_add_f64_e32 v[2:3], v[2:3], v[133:134]
	v_add_f64_e32 v[137:138], v[97:98], v[135:136]
	ds_load_b128 v[97:100], v201 offset:160
	ds_load_b128 v[133:136], v201 offset:176
	s_wait_dscnt 0x1
	v_add_f64_e32 v[2:3], v[2:3], v[97:98]
	v_add_f64_e32 v[97:98], v[137:138], v[99:100]
	s_wait_dscnt 0x0
	s_delay_alu instid0(VALU_DEP_2) | instskip(NEXT) | instid1(VALU_DEP_2)
	v_add_f64_e32 v[2:3], v[2:3], v[133:134]
	v_add_f64_e32 v[137:138], v[97:98], v[135:136]
	ds_load_b128 v[97:100], v201 offset:192
	ds_load_b128 v[133:136], v201 offset:208
	s_wait_dscnt 0x1
	v_add_f64_e32 v[2:3], v[2:3], v[97:98]
	v_add_f64_e32 v[97:98], v[137:138], v[99:100]
	s_wait_dscnt 0x0
	s_delay_alu instid0(VALU_DEP_2) | instskip(NEXT) | instid1(VALU_DEP_2)
	v_add_f64_e32 v[2:3], v[2:3], v[133:134]
	v_add_f64_e32 v[137:138], v[97:98], v[135:136]
	ds_load_b128 v[97:100], v201 offset:224
	ds_load_b128 v[133:136], v202
	s_wait_dscnt 0x1
	v_add_f64_e32 v[2:3], v[2:3], v[97:98]
	v_add_f64_e32 v[99:100], v[137:138], v[99:100]
	s_wait_dscnt 0x0
	s_delay_alu instid0(VALU_DEP_2) | instskip(NEXT) | instid1(VALU_DEP_2)
	v_add_f64_e32 v[97:98], v[2:3], v[133:134]
	v_add_f64_e32 v[99:100], v[99:100], v[135:136]
	v_add_nc_u32_e32 v2, s66, v177
	s_delay_alu instid0(VALU_DEP_1) | instskip(NEXT) | instid1(VALU_DEP_1)
	v_ashrrev_i32_e32 v3, 31, v2
	v_lshlrev_b64_e32 v[2:3], 4, v[2:3]
	s_delay_alu instid0(VALU_DEP_1) | instskip(SKIP_1) | instid1(VALU_DEP_2)
	v_add_co_u32 v2, vcc_lo, s64, v2
	s_wait_alu 0xfffd
	v_add_co_ci_u32_e64 v3, null, s65, v3, vcc_lo
	global_store_b128 v[2:3], v[97:100], off
.LBB16_163:                             ;   in Loop: Header=BB16_113 Depth=2
	s_wait_alu 0xfffe
	s_or_b32 exec_lo, exec_lo, s22
	v_mul_f64_e32 v[2:3], v[15:16], v[27:28]
	v_add_co_u32 v243, vcc_lo, v243, s44
	s_wait_alu 0xfffd
	v_add_co_ci_u32_e64 v244, null, s45, v244, vcc_lo
	v_add_co_u32 v245, vcc_lo, v245, s44
	s_wait_alu 0xfffd
	v_add_co_ci_u32_e64 v246, null, s45, v246, vcc_lo
	v_add_co_u32 v247, vcc_lo, v247, s44
	s_wait_alu 0xfffd
	v_add_co_ci_u32_e64 v248, null, s45, v248, vcc_lo
	v_add_co_u32 v249, vcc_lo, v249, s44
	s_wait_alu 0xfffd
	v_add_co_ci_u32_e64 v250, null, s45, v250, vcc_lo
	v_add_co_u32 v251, vcc_lo, v251, s44
	s_wait_alu 0xfffd
	v_add_co_ci_u32_e64 v252, null, s45, v252, vcc_lo
	v_add_co_u32 v253, vcc_lo, v253, s44
	s_wait_alu 0xfffd
	v_add_co_ci_u32_e64 v254, null, s45, v254, vcc_lo
	v_add_co_u32 v255, vcc_lo, v255, s44
	s_wait_alu 0xfffd
	v_add_co_ci_u32_e64 v205, null, s45, v205, vcc_lo
	v_add_co_u32 v206, vcc_lo, v206, s44
	s_wait_alu 0xfffd
	v_add_co_ci_u32_e64 v207, null, s45, v207, vcc_lo
	v_add_co_u32 v208, vcc_lo, v208, s44
	s_wait_alu 0xfffd
	v_add_co_ci_u32_e64 v209, null, s45, v209, vcc_lo
	v_add_co_u32 v210, vcc_lo, v210, s44
	v_fma_f64 v[2:3], v[13:14], v[25:26], -v[2:3]
	v_mul_f64_e32 v[13:14], v[13:14], v[27:28]
	v_mul_f64_e32 v[27:28], v[43:44], v[71:72]
	s_wait_alu 0xfffd
	v_add_co_ci_u32_e64 v211, null, s45, v211, vcc_lo
	v_add_co_u32 v212, vcc_lo, v212, s44
	s_wait_alu 0xfffd
	v_add_co_ci_u32_e64 v213, null, s45, v213, vcc_lo
	v_add_co_u32 v214, vcc_lo, v214, s44
	;; [unrolled: 3-line block ×6, first 2 shown]
	s_wait_alu 0xfffd
	v_add_co_ci_u32_e64 v223, null, s45, v223, vcc_lo
	s_add_co_i32 s67, s73, 2
	s_add_co_i32 s22, s73, 1
	;; [unrolled: 1-line block ×3, first 2 shown]
	s_wait_alu 0xfffe
	s_cmp_ge_u32 s67, s52
	s_wait_loadcnt 0x0
	s_wait_storecnt 0x0
	s_barrier_signal -1
	s_barrier_wait -1
	global_inv scope:SCOPE_SE
	v_add_f64_e32 v[2:3], v[5:6], v[2:3]
	v_fma_f64 v[13:14], v[15:16], v[25:26], v[13:14]
	v_mul_f64_e32 v[15:16], v[11:12], v[39:40]
	v_mul_f64_e32 v[25:26], v[45:46], v[59:60]
	v_fma_f64 v[27:28], v[41:42], v[69:70], -v[27:28]
	s_delay_alu instid0(VALU_DEP_4) | instskip(NEXT) | instid1(VALU_DEP_4)
	v_add_f64_e32 v[4:5], v[7:8], v[13:14]
	v_fma_f64 v[15:16], v[9:10], v[37:38], -v[15:16]
	v_mul_f64_e32 v[9:10], v[9:10], v[39:40]
	v_fma_f64 v[25:26], v[47:48], v[57:58], v[25:26]
	v_mul_f64_e32 v[39:40], v[79:80], v[107:108]
	s_delay_alu instid0(VALU_DEP_4) | instskip(NEXT) | instid1(VALU_DEP_4)
	v_add_f64_e32 v[2:3], v[2:3], v[15:16]
	v_fma_f64 v[9:10], v[11:12], v[37:38], v[9:10]
	v_mul_f64_e32 v[11:12], v[19:20], v[35:36]
	v_mul_f64_e32 v[37:38], v[53:54], v[63:64]
	v_fma_f64 v[39:40], v[77:78], v[105:106], -v[39:40]
	s_delay_alu instid0(VALU_DEP_4) | instskip(NEXT) | instid1(VALU_DEP_4)
	v_add_f64_e32 v[4:5], v[4:5], v[9:10]
	v_fma_f64 v[11:12], v[17:18], v[33:34], -v[11:12]
	v_mul_f64_e32 v[17:18], v[17:18], v[35:36]
	v_mul_f64_e32 v[35:36], v[55:56], v[63:64]
	v_fma_f64 v[37:38], v[55:56], v[61:62], v[37:38]
	v_mul_f64_e32 v[55:56], v[127:128], v[155:156]
	v_mul_f64_e32 v[63:64], v[131:132], v[91:92]
	v_add_f64_e32 v[2:3], v[2:3], v[11:12]
	v_fma_f64 v[17:18], v[19:20], v[33:34], v[17:18]
	v_mul_f64_e32 v[19:20], v[23:24], v[31:32]
	v_mul_f64_e32 v[33:34], v[49:50], v[67:68]
	v_fma_f64 v[35:36], v[53:54], v[61:62], -v[35:36]
	v_mul_f64_e32 v[53:54], v[101:102], v[119:120]
	v_fma_f64 v[55:56], v[125:126], v[153:154], -v[55:56]
	;; [unrolled: 2-line block ×3, first 2 shown]
	v_add_f64_e32 v[4:5], v[4:5], v[17:18]
	v_fma_f64 v[19:20], v[21:22], v[29:30], -v[19:20]
	v_mul_f64_e32 v[21:22], v[21:22], v[31:32]
	v_mul_f64_e32 v[31:32], v[51:52], v[67:68]
	v_fma_f64 v[33:34], v[51:52], v[65:66], v[33:34]
	v_mul_f64_e32 v[51:52], v[103:104], v[119:120]
	v_fma_f64 v[53:54], v[103:104], v[117:118], v[53:54]
	v_fma_f64 v[61:62], v[123:124], v[93:94], v[61:62]
	v_mul_f64_e32 v[67:68], v[151:152], v[87:88]
	v_add_f64_e32 v[2:3], v[2:3], v[19:20]
	v_fma_f64 v[21:22], v[23:24], v[29:30], v[21:22]
	v_mul_f64_e32 v[23:24], v[47:48], v[59:60]
	v_mul_f64_e32 v[29:30], v[41:42], v[71:72]
	v_fma_f64 v[31:32], v[49:50], v[65:66], -v[31:32]
	v_mul_f64_e32 v[41:42], v[77:78], v[107:108]
	v_mul_f64_e32 v[47:48], v[83:84], v[111:112]
	;; [unrolled: 1-line block ×3, first 2 shown]
	v_fma_f64 v[51:52], v[101:102], v[117:118], -v[51:52]
	v_mul_f64_e32 v[59:60], v[123:124], v[95:96]
	v_mul_f64_e32 v[65:66], v[129:130], v[91:92]
	v_fma_f64 v[67:68], v[149:150], v[85:86], -v[67:68]
	v_add_f64_e32 v[4:5], v[4:5], v[21:22]
	v_fma_f64 v[23:24], v[45:46], v[57:58], -v[23:24]
	v_fma_f64 v[29:30], v[43:44], v[69:70], v[29:30]
	v_mul_f64_e32 v[43:44], v[75:76], v[115:116]
	v_fma_f64 v[41:42], v[79:80], v[105:106], v[41:42]
	v_mul_f64_e32 v[45:46], v[73:74], v[115:116]
	v_fma_f64 v[47:48], v[81:82], v[109:110], -v[47:48]
	v_fma_f64 v[49:50], v[83:84], v[109:110], v[49:50]
	v_mul_f64_e32 v[57:58], v[125:126], v[155:156]
	v_fma_f64 v[59:60], v[121:122], v[93:94], -v[59:60]
	v_fma_f64 v[65:66], v[131:132], v[89:90], v[65:66]
	v_mul_f64_e32 v[69:70], v[149:150], v[87:88]
	v_add_f64_e32 v[4:5], v[4:5], v[25:26]
	v_add_f64_e32 v[2:3], v[2:3], v[23:24]
	v_fma_f64 v[43:44], v[73:74], v[113:114], -v[43:44]
	v_fma_f64 v[45:46], v[75:76], v[113:114], v[45:46]
	v_fma_f64 v[57:58], v[127:128], v[153:154], v[57:58]
	;; [unrolled: 1-line block ×3, first 2 shown]
	v_add_f64_e32 v[4:5], v[4:5], v[29:30]
	v_add_f64_e32 v[2:3], v[2:3], v[27:28]
	s_delay_alu instid0(VALU_DEP_2) | instskip(NEXT) | instid1(VALU_DEP_2)
	v_add_f64_e32 v[4:5], v[4:5], v[33:34]
	v_add_f64_e32 v[2:3], v[2:3], v[31:32]
	s_delay_alu instid0(VALU_DEP_2) | instskip(NEXT) | instid1(VALU_DEP_2)
	;; [unrolled: 3-line block ×10, first 2 shown]
	v_add_f64_e32 v[7:8], v[7:8], v[69:70]
	v_add_f64_e32 v[5:6], v[2:3], v[67:68]
	s_cbranch_scc1 .LBB16_165
; %bb.164:                              ;   in Loop: Header=BB16_113 Depth=2
	s_mov_b32 s73, s22
	s_delay_alu instid0(SALU_CYCLE_1)
	s_cmp_eq_u32 s53, s73
	s_cselect_b32 s74, s68, 0
	s_and_saveexec_b32 s22, s0
	s_cbranch_execnz .LBB16_109
	s_branch .LBB16_113
.LBB16_165:                             ;   in Loop: Header=BB16_4 Depth=1
	ds_store_b128 v203, v[5:8]
	s_wait_loadcnt_dscnt 0x0
	s_barrier_signal -1
	s_barrier_wait -1
	global_inv scope:SCOPE_SE
	s_and_saveexec_b32 s22, s71
	s_cbranch_execz .LBB16_2
; %bb.166:                              ;   in Loop: Header=BB16_4 Depth=1
	ds_load_b128 v[2:5], v180 offset:1072
	ds_load_b128 v[6:9], v180
	s_wait_dscnt 0x0
	v_add_f64_e32 v[10:11], v[2:3], v[6:7]
	v_add_f64_e32 v[12:13], v[4:5], v[8:9]
	ds_load_b128 v[2:5], v180 offset:2144
	ds_load_b128 v[6:9], v180 offset:3216
	s_wait_dscnt 0x1
	v_add_f64_e32 v[2:3], v[10:11], v[2:3]
	v_add_f64_e32 v[4:5], v[12:13], v[4:5]
	s_wait_dscnt 0x0
	s_delay_alu instid0(VALU_DEP_2)
	v_add_f64_e32 v[2:3], v[2:3], v[6:7]
	scratch_load_b64 v[6:7], off, off offset:132 ; 8-byte Folded Reload
	v_add_f64_e32 v[4:5], v[4:5], v[8:9]
	s_wait_loadcnt 0x0
	s_wait_alu 0xfffe
	v_add_co_u32 v6, vcc_lo, s64, v6
	s_wait_alu 0xfffd
	v_add_co_ci_u32_e64 v7, null, s65, v7, vcc_lo
	global_store_b128 v[6:7], v[2:5], off
	s_branch .LBB16_2
.LBB16_167:                             ;   in Loop: Header=BB16_4 Depth=1
	ds_load_b128 v[2:5], v240
	s_mov_b32 s22, exec_lo
	s_wait_dscnt 0x0
	v_xor_b32_e32 v5, 0x80000000, v5
	ds_store_b64 v190, v[2:3]
	s_wait_alu 0xfffe
	s_or_saveexec_b32 s64, s64
	v_mov_b32_e32 v2, v190
	s_wait_alu 0xfffe
	s_xor_b32 exec_lo, exec_lo, s64
	s_cbranch_execz .LBB16_35
.LBB16_168:                             ;   in Loop: Header=BB16_4 Depth=1
	v_mov_b32_e32 v4, 0
	v_dual_mov_b32 v5, 0 :: v_dual_mov_b32 v2, v188
	s_and_not1_b32 s22, s22, exec_lo
	s_and_b32 s65, s9, exec_lo
	s_wait_alu 0xfffe
	s_or_b32 s22, s22, s65
	s_or_b32 exec_lo, exec_lo, s64
	s_wait_alu 0xfffe
	s_and_saveexec_b32 s64, s22
	s_cbranch_execnz .LBB16_36
	s_branch .LBB16_37
.LBB16_169:                             ;   in Loop: Header=BB16_4 Depth=1
	ds_load_b128 v[9:12], v240
	s_mov_b32 s22, exec_lo
	s_wait_dscnt 0x0
	v_xor_b32_e32 v12, 0x80000000, v12
	ds_store_b64 v190, v[9:10]
	s_wait_alu 0xfffe
	s_or_saveexec_b32 s64, s64
	v_mov_b32_e32 v2, v190
	s_wait_alu 0xfffe
	s_xor_b32 exec_lo, exec_lo, s64
	s_cbranch_execz .LBB16_73
.LBB16_170:                             ;   in Loop: Header=BB16_4 Depth=1
	v_dual_mov_b32 v11, 0 :: v_dual_mov_b32 v2, v188
	v_mov_b32_e32 v12, 0
	s_and_not1_b32 s22, s22, exec_lo
	s_and_b32 s65, s9, exec_lo
	s_wait_alu 0xfffe
	s_or_b32 s22, s22, s65
	s_or_b32 exec_lo, exec_lo, s64
	s_wait_alu 0xfffe
	s_and_saveexec_b32 s64, s22
	s_cbranch_execnz .LBB16_74
	s_branch .LBB16_75
.LBB16_171:                             ;   in Loop: Header=BB16_4 Depth=1
	global_load_b128 v[9:12], v[7:8], off
	s_wait_loadcnt 0x0
	ds_store_2addr_b64 v184, v[9:10], v[11:12] offset1:1
	s_or_b32 exec_lo, exec_lo, s22
	s_and_saveexec_b32 s22, s3
	s_wait_alu 0xfffe
	s_xor_b32 s22, exec_lo, s22
	s_cbranch_execz .LBB16_18
.LBB16_172:                             ;   in Loop: Header=BB16_4 Depth=1
	v_dual_mov_b32 v2, v1 :: v_dual_mov_b32 v3, v1
	v_mov_b32_e32 v4, v1
	ds_store_b128 v185, v[1:4]
	s_wait_alu 0xfffe
	s_and_not1_saveexec_b32 s22, s22
	s_cbranch_execz .LBB16_19
.LBB16_173:                             ;   in Loop: Header=BB16_4 Depth=1
	v_add_co_u32 v2, vcc_lo, v7, s50
	s_wait_alu 0xfffd
	v_add_co_ci_u32_e64 v3, null, s51, v8, vcc_lo
	global_load_b128 v[9:12], v[2:3], off
	s_wait_loadcnt 0x0
	ds_store_2addr_b64 v185, v[9:10], v[11:12] offset1:1
	s_wait_alu 0xfffe
	s_or_b32 exec_lo, exec_lo, s22
	s_and_saveexec_b32 s22, s4
	s_wait_alu 0xfffe
	s_xor_b32 s22, exec_lo, s22
	s_cbranch_execz .LBB16_20
.LBB16_174:                             ;   in Loop: Header=BB16_4 Depth=1
	v_dual_mov_b32 v2, v1 :: v_dual_mov_b32 v3, v1
	v_mov_b32_e32 v4, v1
	ds_store_b128 v186, v[1:4]
	s_wait_alu 0xfffe
	s_and_not1_saveexec_b32 s22, s22
	s_cbranch_execz .LBB16_21
.LBB16_175:                             ;   in Loop: Header=BB16_4 Depth=1
	v_add_co_u32 v2, vcc_lo, v7, s54
	s_wait_alu 0xfffd
	v_add_co_ci_u32_e64 v3, null, s55, v8, vcc_lo
	global_load_b128 v[9:12], v[2:3], off
	s_wait_loadcnt 0x0
	ds_store_2addr_b64 v186, v[9:10], v[11:12] offset1:1
	s_wait_alu 0xfffe
	s_or_b32 exec_lo, exec_lo, s22
	s_and_saveexec_b32 s22, s5
	s_wait_alu 0xfffe
	s_xor_b32 s22, exec_lo, s22
	s_cbranch_execz .LBB16_22
.LBB16_176:                             ;   in Loop: Header=BB16_4 Depth=1
	v_dual_mov_b32 v2, v1 :: v_dual_mov_b32 v3, v1
	v_mov_b32_e32 v4, v1
	ds_store_b128 v187, v[1:4]
	s_wait_alu 0xfffe
	s_and_not1_saveexec_b32 s22, s22
	s_cbranch_execnz .LBB16_23
	s_branch .LBB16_24
.LBB16_177:                             ;   in Loop: Header=BB16_4 Depth=1
	global_load_b128 v[17:20], v[11:12], off
	s_wait_loadcnt 0x0
	ds_store_2addr_b64 v184, v[17:18], v[19:20] offset1:1
	s_or_b32 exec_lo, exec_lo, s22
	s_and_saveexec_b32 s22, s17
	s_wait_alu 0xfffe
	s_xor_b32 s22, exec_lo, s22
	s_cbranch_execz .LBB16_56
.LBB16_178:                             ;   in Loop: Header=BB16_4 Depth=1
	v_dual_mov_b32 v2, v1 :: v_dual_mov_b32 v3, v1
	v_mov_b32_e32 v4, v1
	ds_store_b128 v185, v[1:4]
	s_wait_alu 0xfffe
	s_and_not1_saveexec_b32 s22, s22
	s_cbranch_execz .LBB16_57
.LBB16_179:                             ;   in Loop: Header=BB16_4 Depth=1
	v_add_co_u32 v2, vcc_lo, v11, s50
	s_wait_alu 0xfffd
	v_add_co_ci_u32_e64 v3, null, s51, v12, vcc_lo
	global_load_b128 v[17:20], v[2:3], off
	s_wait_loadcnt 0x0
	ds_store_2addr_b64 v185, v[17:18], v[19:20] offset1:1
	s_wait_alu 0xfffe
	s_or_b32 exec_lo, exec_lo, s22
	s_and_saveexec_b32 s22, s18
	s_wait_alu 0xfffe
	s_xor_b32 s22, exec_lo, s22
	s_cbranch_execz .LBB16_58
.LBB16_180:                             ;   in Loop: Header=BB16_4 Depth=1
	v_dual_mov_b32 v2, v1 :: v_dual_mov_b32 v3, v1
	v_mov_b32_e32 v4, v1
	ds_store_b128 v186, v[1:4]
	s_wait_alu 0xfffe
	s_and_not1_saveexec_b32 s22, s22
	s_cbranch_execz .LBB16_59
.LBB16_181:                             ;   in Loop: Header=BB16_4 Depth=1
	v_add_co_u32 v2, vcc_lo, v11, s54
	s_wait_alu 0xfffd
	v_add_co_ci_u32_e64 v3, null, s55, v12, vcc_lo
	global_load_b128 v[17:20], v[2:3], off
	s_wait_loadcnt 0x0
	ds_store_2addr_b64 v186, v[17:18], v[19:20] offset1:1
	s_wait_alu 0xfffe
	s_or_b32 exec_lo, exec_lo, s22
	s_and_saveexec_b32 s22, s19
	s_wait_alu 0xfffe
	s_xor_b32 s22, exec_lo, s22
	s_cbranch_execz .LBB16_60
.LBB16_182:                             ;   in Loop: Header=BB16_4 Depth=1
	v_dual_mov_b32 v2, v1 :: v_dual_mov_b32 v3, v1
	v_mov_b32_e32 v4, v1
	ds_store_b128 v187, v[1:4]
	s_wait_alu 0xfffe
	s_and_not1_saveexec_b32 s22, s22
	s_cbranch_execnz .LBB16_61
	s_branch .LBB16_62
.LBB16_183:                             ;   in Loop: Header=BB16_4 Depth=1
	global_load_b128 v[15:18], v[11:12], off
	s_wait_loadcnt 0x0
	ds_store_2addr_b64 v184, v[15:16], v[17:18] offset1:1
	s_or_b32 exec_lo, exec_lo, s22
	s_and_saveexec_b32 s22, s17
	s_wait_alu 0xfffe
	s_xor_b32 s22, exec_lo, s22
	s_cbranch_execz .LBB16_94
.LBB16_184:                             ;   in Loop: Header=BB16_4 Depth=1
	v_dual_mov_b32 v2, v1 :: v_dual_mov_b32 v3, v1
	v_mov_b32_e32 v4, v1
	ds_store_b128 v185, v[1:4]
	s_wait_alu 0xfffe
	s_and_not1_saveexec_b32 s22, s22
	s_cbranch_execz .LBB16_95
.LBB16_185:                             ;   in Loop: Header=BB16_4 Depth=1
	v_add_co_u32 v2, vcc_lo, v11, s50
	s_wait_alu 0xfffd
	v_add_co_ci_u32_e64 v3, null, s51, v12, vcc_lo
	global_load_b128 v[15:18], v[2:3], off
	s_wait_loadcnt 0x0
	ds_store_2addr_b64 v185, v[15:16], v[17:18] offset1:1
	s_wait_alu 0xfffe
	s_or_b32 exec_lo, exec_lo, s22
	s_and_saveexec_b32 s22, s18
	s_wait_alu 0xfffe
	s_xor_b32 s22, exec_lo, s22
	s_cbranch_execz .LBB16_96
.LBB16_186:                             ;   in Loop: Header=BB16_4 Depth=1
	v_dual_mov_b32 v2, v1 :: v_dual_mov_b32 v3, v1
	v_mov_b32_e32 v4, v1
	ds_store_b128 v186, v[1:4]
	s_wait_alu 0xfffe
	s_and_not1_saveexec_b32 s22, s22
	s_cbranch_execz .LBB16_97
.LBB16_187:                             ;   in Loop: Header=BB16_4 Depth=1
	v_add_co_u32 v2, vcc_lo, v11, s54
	s_wait_alu 0xfffd
	v_add_co_ci_u32_e64 v3, null, s55, v12, vcc_lo
	global_load_b128 v[15:18], v[2:3], off
	s_wait_loadcnt 0x0
	ds_store_2addr_b64 v186, v[15:16], v[17:18] offset1:1
	s_wait_alu 0xfffe
	s_or_b32 exec_lo, exec_lo, s22
	s_and_saveexec_b32 s22, s19
	s_wait_alu 0xfffe
	s_xor_b32 s22, exec_lo, s22
	s_cbranch_execz .LBB16_98
.LBB16_188:                             ;   in Loop: Header=BB16_4 Depth=1
	v_dual_mov_b32 v2, v1 :: v_dual_mov_b32 v3, v1
	v_mov_b32_e32 v4, v1
	ds_store_b128 v187, v[1:4]
	s_wait_alu 0xfffe
	s_and_not1_saveexec_b32 s22, s22
	s_cbranch_execnz .LBB16_99
	s_branch .LBB16_100
.LBB16_189:
	s_nop 0
	s_sendmsg sendmsg(MSG_DEALLOC_VGPRS)
	s_endpgm
	.section	.rodata,"a",@progbits
	.p2align	6, 0x0
	.amdhsa_kernel _ZL26rocblas_hemvn_kernel_upperILb1ELi64ELi4ELi33ELi32ELi16ElPK19rocblas_complex_numIdES3_PS1_EviT6_lT7_lT5_lS6_lS7_lS5_lT8_i
		.amdhsa_group_segment_fixed_size 19200
		.amdhsa_private_segment_fixed_size 144
		.amdhsa_kernarg_size 376
		.amdhsa_user_sgpr_count 2
		.amdhsa_user_sgpr_dispatch_ptr 0
		.amdhsa_user_sgpr_queue_ptr 0
		.amdhsa_user_sgpr_kernarg_segment_ptr 1
		.amdhsa_user_sgpr_dispatch_id 0
		.amdhsa_user_sgpr_private_segment_size 0
		.amdhsa_wavefront_size32 1
		.amdhsa_uses_dynamic_stack 0
		.amdhsa_enable_private_segment 1
		.amdhsa_system_sgpr_workgroup_id_x 1
		.amdhsa_system_sgpr_workgroup_id_y 0
		.amdhsa_system_sgpr_workgroup_id_z 1
		.amdhsa_system_sgpr_workgroup_info 0
		.amdhsa_system_vgpr_workitem_id 1
		.amdhsa_next_free_vgpr 256
		.amdhsa_next_free_sgpr 78
		.amdhsa_reserve_vcc 1
		.amdhsa_float_round_mode_32 0
		.amdhsa_float_round_mode_16_64 0
		.amdhsa_float_denorm_mode_32 3
		.amdhsa_float_denorm_mode_16_64 3
		.amdhsa_fp16_overflow 0
		.amdhsa_workgroup_processor_mode 1
		.amdhsa_memory_ordered 1
		.amdhsa_forward_progress 1
		.amdhsa_inst_pref_size 111
		.amdhsa_round_robin_scheduling 0
		.amdhsa_exception_fp_ieee_invalid_op 0
		.amdhsa_exception_fp_denorm_src 0
		.amdhsa_exception_fp_ieee_div_zero 0
		.amdhsa_exception_fp_ieee_overflow 0
		.amdhsa_exception_fp_ieee_underflow 0
		.amdhsa_exception_fp_ieee_inexact 0
		.amdhsa_exception_int_div_zero 0
	.end_amdhsa_kernel
	.section	.text._ZL26rocblas_hemvn_kernel_upperILb1ELi64ELi4ELi33ELi32ELi16ElPK19rocblas_complex_numIdES3_PS1_EviT6_lT7_lT5_lS6_lS7_lS5_lT8_i,"axG",@progbits,_ZL26rocblas_hemvn_kernel_upperILb1ELi64ELi4ELi33ELi32ELi16ElPK19rocblas_complex_numIdES3_PS1_EviT6_lT7_lT5_lS6_lS7_lS5_lT8_i,comdat
.Lfunc_end16:
	.size	_ZL26rocblas_hemvn_kernel_upperILb1ELi64ELi4ELi33ELi32ELi16ElPK19rocblas_complex_numIdES3_PS1_EviT6_lT7_lT5_lS6_lS7_lS5_lT8_i, .Lfunc_end16-_ZL26rocblas_hemvn_kernel_upperILb1ELi64ELi4ELi33ELi32ELi16ElPK19rocblas_complex_numIdES3_PS1_EviT6_lT7_lT5_lS6_lS7_lS5_lT8_i
                                        ; -- End function
	.set _ZL26rocblas_hemvn_kernel_upperILb1ELi64ELi4ELi33ELi32ELi16ElPK19rocblas_complex_numIdES3_PS1_EviT6_lT7_lT5_lS6_lS7_lS5_lT8_i.num_vgpr, 256
	.set _ZL26rocblas_hemvn_kernel_upperILb1ELi64ELi4ELi33ELi32ELi16ElPK19rocblas_complex_numIdES3_PS1_EviT6_lT7_lT5_lS6_lS7_lS5_lT8_i.num_agpr, 0
	.set _ZL26rocblas_hemvn_kernel_upperILb1ELi64ELi4ELi33ELi32ELi16ElPK19rocblas_complex_numIdES3_PS1_EviT6_lT7_lT5_lS6_lS7_lS5_lT8_i.numbered_sgpr, 78
	.set _ZL26rocblas_hemvn_kernel_upperILb1ELi64ELi4ELi33ELi32ELi16ElPK19rocblas_complex_numIdES3_PS1_EviT6_lT7_lT5_lS6_lS7_lS5_lT8_i.num_named_barrier, 0
	.set _ZL26rocblas_hemvn_kernel_upperILb1ELi64ELi4ELi33ELi32ELi16ElPK19rocblas_complex_numIdES3_PS1_EviT6_lT7_lT5_lS6_lS7_lS5_lT8_i.private_seg_size, 144
	.set _ZL26rocblas_hemvn_kernel_upperILb1ELi64ELi4ELi33ELi32ELi16ElPK19rocblas_complex_numIdES3_PS1_EviT6_lT7_lT5_lS6_lS7_lS5_lT8_i.uses_vcc, 1
	.set _ZL26rocblas_hemvn_kernel_upperILb1ELi64ELi4ELi33ELi32ELi16ElPK19rocblas_complex_numIdES3_PS1_EviT6_lT7_lT5_lS6_lS7_lS5_lT8_i.uses_flat_scratch, 1
	.set _ZL26rocblas_hemvn_kernel_upperILb1ELi64ELi4ELi33ELi32ELi16ElPK19rocblas_complex_numIdES3_PS1_EviT6_lT7_lT5_lS6_lS7_lS5_lT8_i.has_dyn_sized_stack, 0
	.set _ZL26rocblas_hemvn_kernel_upperILb1ELi64ELi4ELi33ELi32ELi16ElPK19rocblas_complex_numIdES3_PS1_EviT6_lT7_lT5_lS6_lS7_lS5_lT8_i.has_recursion, 0
	.set _ZL26rocblas_hemvn_kernel_upperILb1ELi64ELi4ELi33ELi32ELi16ElPK19rocblas_complex_numIdES3_PS1_EviT6_lT7_lT5_lS6_lS7_lS5_lT8_i.has_indirect_call, 0
	.section	.AMDGPU.csdata,"",@progbits
; Kernel info:
; codeLenInByte = 14112
; TotalNumSgprs: 80
; NumVgprs: 256
; ScratchSize: 144
; MemoryBound: 1
; FloatMode: 240
; IeeeMode: 1
; LDSByteSize: 19200 bytes/workgroup (compile time only)
; SGPRBlocks: 0
; VGPRBlocks: 31
; NumSGPRsForWavesPerEU: 80
; NumVGPRsForWavesPerEU: 256
; Occupancy: 5
; WaveLimiterHint : 0
; COMPUTE_PGM_RSRC2:SCRATCH_EN: 1
; COMPUTE_PGM_RSRC2:USER_SGPR: 2
; COMPUTE_PGM_RSRC2:TRAP_HANDLER: 0
; COMPUTE_PGM_RSRC2:TGID_X_EN: 1
; COMPUTE_PGM_RSRC2:TGID_Y_EN: 0
; COMPUTE_PGM_RSRC2:TGID_Z_EN: 1
; COMPUTE_PGM_RSRC2:TIDIG_COMP_CNT: 1
	.section	.text._ZL36rocblas_hemvn_kernel_upper_block_sumILi64ElPK19rocblas_complex_numIdEPS1_S1_EviT1_lS5_lT2_lT0_lPT3_i,"axG",@progbits,_ZL36rocblas_hemvn_kernel_upper_block_sumILi64ElPK19rocblas_complex_numIdEPS1_S1_EviT1_lS5_lT2_lT0_lPT3_i,comdat
	.globl	_ZL36rocblas_hemvn_kernel_upper_block_sumILi64ElPK19rocblas_complex_numIdEPS1_S1_EviT1_lS5_lT2_lT0_lPT3_i ; -- Begin function _ZL36rocblas_hemvn_kernel_upper_block_sumILi64ElPK19rocblas_complex_numIdEPS1_S1_EviT1_lS5_lT2_lT0_lPT3_i
	.p2align	8
	.type	_ZL36rocblas_hemvn_kernel_upper_block_sumILi64ElPK19rocblas_complex_numIdEPS1_S1_EviT1_lS5_lT2_lT0_lPT3_i,@function
_ZL36rocblas_hemvn_kernel_upper_block_sumILi64ElPK19rocblas_complex_numIdEPS1_S1_EviT1_lS5_lT2_lT0_lPT3_i: ; @_ZL36rocblas_hemvn_kernel_upper_block_sumILi64ElPK19rocblas_complex_numIdEPS1_S1_EviT1_lS5_lT2_lT0_lPT3_i
; %bb.0:
	s_load_b32 s30, s[0:1], 0x50
	s_lshr_b32 s2, ttmp7, 16
	s_wait_kmcnt 0x0
	s_cmp_ge_u32 s2, s30
	s_cbranch_scc1 .LBB17_26
; %bb.1:
	s_clause 0x1
	s_load_b256 s[4:11], s[0:1], 0x30
	s_load_b32 s20, s[0:1], 0x0
	v_lshl_or_b32 v0, ttmp9, 6, v0
	s_clause 0x1
	s_load_b64 s[22:23], s[0:1], 0x28
	s_load_b256 s[12:19], s[0:1], 0x8
	s_add_nc_u64 s[24:25], s[0:1], 0x58
	s_mov_b32 s3, 0
	v_ashrrev_i32_e32 v1, 31, v0
	s_delay_alu instid0(VALU_DEP_1)
	v_lshlrev_b64_e32 v[2:3], 4, v[0:1]
	s_wait_kmcnt 0x0
	v_mul_lo_u32 v4, s6, v1
	v_cmp_gt_i32_e64 s0, s20, v0
	v_mul_lo_u32 v5, s7, v0
	v_mad_co_u64_u32 v[0:1], null, s6, v0, 0
	v_add_co_u32 v2, vcc_lo, s10, v2
	s_delay_alu instid0(VALU_DEP_1)
	v_add_co_ci_u32_e64 v3, null, s11, v3, vcc_lo
	s_lshl_b64 s[4:5], s[4:5], 4
	s_ashr_i32 s21, s20, 31
	v_add3_u32 v1, v1, v4, v5
	v_add_co_u32 v4, vcc_lo, v2, 8
	s_wait_alu 0xfffd
	v_add_co_ci_u32_e64 v5, null, 0, v3, vcc_lo
	s_delay_alu instid0(VALU_DEP_3)
	v_lshlrev_b64_e32 v[6:7], 4, v[0:1]
	s_cmp_gt_i32 ttmp9, -1
	s_add_nc_u64 s[10:11], s[22:23], s[4:5]
	s_cselect_b32 s1, -1, 0
	s_add_co_i32 s31, ttmp9, 1
	s_wait_alu 0xfffe
	s_lshl_b64 s[26:27], s[20:21], 4
	s_branch .LBB17_4
.LBB17_2:                               ;   in Loop: Header=BB17_4 Depth=1
	s_wait_alu 0xfffe
	s_or_b32 exec_lo, exec_lo, s4
.LBB17_3:                               ;   in Loop: Header=BB17_4 Depth=1
	s_add_co_i32 s2, s2, 0x10000
	s_wait_alu 0xfffe
	s_cmp_lt_u32 s2, s30
	s_cbranch_scc0 .LBB17_26
.LBB17_4:                               ; =>This Loop Header: Depth=1
                                        ;     Child Loop BB17_17 Depth 2
	s_mul_u64 s[4:5], s[14:15], s[2:3]
	s_wait_alu 0xfffe
	s_lshl_b64 s[4:5], s[4:5], 4
	s_wait_alu 0xfffe
	s_add_nc_u64 s[4:5], s[12:13], s[4:5]
	s_load_b128 s[20:23], s[4:5], 0x0
	s_mul_u64 s[4:5], s[18:19], s[2:3]
	s_wait_alu 0xfffe
	s_lshl_b64 s[4:5], s[4:5], 4
	s_wait_alu 0xfffe
	s_add_nc_u64 s[4:5], s[16:17], s[4:5]
	s_load_b128 s[4:7], s[4:5], 0x0
	s_wait_kmcnt 0x0
	v_cmp_neq_f64_e64 s28, s[20:21], 0
	v_cmp_neq_f64_e64 s29, s[22:23], 0
	s_or_b32 s28, s28, s29
	s_mov_b32 s29, -1
	s_wait_alu 0xfffe
	s_and_b32 vcc_lo, exec_lo, s28
	s_wait_alu 0xfffe
	s_cbranch_vccz .LBB17_6
; %bb.5:                                ;   in Loop: Header=BB17_4 Depth=1
	s_and_not1_b32 vcc_lo, exec_lo, s29
	s_wait_alu 0xfffe
	s_cbranch_vccnz .LBB17_3
	s_branch .LBB17_7
.LBB17_6:                               ;   in Loop: Header=BB17_4 Depth=1
	v_cmp_neq_f64_e64 s29, s[4:5], 1.0
	v_cmp_neq_f64_e64 s33, s[6:7], 0
	s_or_b32 s29, s29, s33
	s_wait_alu 0xfffe
	s_and_not1_b32 vcc_lo, exec_lo, s29
	s_wait_alu 0xfffe
	s_cbranch_vccnz .LBB17_3
.LBB17_7:                               ;   in Loop: Header=BB17_4 Depth=1
	s_xor_b32 s33, s28, -1
	s_mul_u64 s[28:29], s[8:9], s[2:3]
	s_and_not1_b32 vcc_lo, exec_lo, s33
	s_wait_alu 0xfffe
	s_lshl_b64 s[28:29], s[28:29], 4
	s_wait_alu 0xfffe
	s_add_nc_u64 s[28:29], s[10:11], s[28:29]
	s_cbranch_vccnz .LBB17_12
; %bb.8:                                ;   in Loop: Header=BB17_4 Depth=1
	s_mov_b32 s34, 0
	s_mov_b32 s33, 0
                                        ; implicit-def: $vgpr2_vgpr3
	s_and_saveexec_b32 s35, s0
	s_cbranch_execz .LBB17_13
; %bb.9:                                ;   in Loop: Header=BB17_4 Depth=1
	v_cmp_neq_f64_e64 s33, s[4:5], 0
	v_cmp_neq_f64_e64 s36, s[6:7], 0
	v_mov_b32_e32 v2, 0
	v_dual_mov_b32 v3, 0 :: v_dual_mov_b32 v0, 0
	v_mov_b32_e32 v1, 0
	s_or_b32 s33, s33, s36
	s_delay_alu instid0(SALU_CYCLE_1)
	s_and_not1_b32 vcc_lo, exec_lo, s33
	s_wait_alu 0xfffe
	s_cbranch_vccnz .LBB17_11
; %bb.10:                               ;   in Loop: Header=BB17_4 Depth=1
	v_add_co_u32 v0, vcc_lo, s28, v6
	s_wait_alu 0xfffd
	v_add_co_ci_u32_e64 v1, null, s29, v7, vcc_lo
	global_load_b128 v[8:11], v[0:1], off
	s_wait_loadcnt 0x0
	v_mul_f64_e32 v[0:1], s[6:7], v[10:11]
	v_mul_f64_e32 v[2:3], s[4:5], v[10:11]
	s_delay_alu instid0(VALU_DEP_2) | instskip(NEXT) | instid1(VALU_DEP_2)
	v_fma_f64 v[0:1], s[4:5], v[8:9], -v[0:1]
	v_fma_f64 v[2:3], s[6:7], v[8:9], v[2:3]
.LBB17_11:                              ;   in Loop: Header=BB17_4 Depth=1
	s_mov_b32 s33, exec_lo
	s_or_b32 exec_lo, exec_lo, s35
	s_delay_alu instid0(SALU_CYCLE_1)
	s_and_b32 vcc_lo, exec_lo, s34
	s_wait_alu 0xfffe
	s_cbranch_vccnz .LBB17_14
	s_branch .LBB17_24
.LBB17_12:                              ;   in Loop: Header=BB17_4 Depth=1
	s_mov_b32 s33, 0
                                        ; implicit-def: $vgpr2_vgpr3
	s_cbranch_execnz .LBB17_14
	s_branch .LBB17_24
.LBB17_13:                              ;   in Loop: Header=BB17_4 Depth=1
	s_or_b32 exec_lo, exec_lo, s35
	s_delay_alu instid0(SALU_CYCLE_1)
	s_and_b32 vcc_lo, exec_lo, s34
	s_wait_alu 0xfffe
	s_cbranch_vccz .LBB17_24
.LBB17_14:                              ;   in Loop: Header=BB17_4 Depth=1
                                        ; implicit-def: $vgpr2_vgpr3
	s_and_saveexec_b32 s34, s0
	s_cbranch_execz .LBB17_23
; %bb.15:                               ;   in Loop: Header=BB17_4 Depth=1
	v_mov_b32_e32 v0, 0
	v_dual_mov_b32 v1, 0 :: v_dual_mov_b32 v2, 0
	v_mov_b32_e32 v3, 0
	s_and_not1_b32 vcc_lo, exec_lo, s1
	s_wait_alu 0xfffe
	s_cbranch_vccnz .LBB17_18
; %bb.16:                               ;   in Loop: Header=BB17_4 Depth=1
	s_load_b32 s36, s[24:25], 0x0
	s_mov_b32 s37, s3
	v_mov_b32_e32 v2, 0
	s_mov_b32 s35, s31
	v_mov_b32_e32 v3, 0
	s_wait_kmcnt 0x0
	s_wait_alu 0xfffe
	s_mul_u64 s[36:37], s[26:27], s[36:37]
	s_wait_alu 0xfffe
	v_mad_co_u64_u32 v[8:9], null, s36, s2, v[4:5]
	s_delay_alu instid0(VALU_DEP_1) | instskip(NEXT) | instid1(VALU_DEP_1)
	v_mov_b32_e32 v0, v9
	v_mad_co_u64_u32 v[9:10], null, s37, s2, v[0:1]
	v_mov_b32_e32 v0, 0
	v_mov_b32_e32 v1, 0
.LBB17_17:                              ;   Parent Loop BB17_4 Depth=1
                                        ; =>  This Inner Loop Header: Depth=2
	global_load_b128 v[10:13], v[8:9], off offset:-8
	v_add_co_u32 v8, vcc_lo, v8, s26
	s_wait_alu 0xfffd
	v_add_co_ci_u32_e64 v9, null, s27, v9, vcc_lo
	s_add_co_i32 s35, s35, -1
	s_delay_alu instid0(SALU_CYCLE_1)
	s_cmp_eq_u32 s35, 0
	s_wait_loadcnt 0x0
	v_add_f64_e32 v[2:3], v[2:3], v[10:11]
	v_add_f64_e32 v[0:1], v[0:1], v[12:13]
	s_cbranch_scc0 .LBB17_17
.LBB17_18:                              ;   in Loop: Header=BB17_4 Depth=1
	s_delay_alu instid0(VALU_DEP_1) | instskip(SKIP_3) | instid1(VALU_DEP_4)
	v_mul_f64_e32 v[8:9], s[22:23], v[0:1]
	v_mul_f64_e32 v[10:11], s[20:21], v[0:1]
	v_cmp_neq_f64_e64 s35, s[4:5], 0
	v_cmp_neq_f64_e64 s36, s[6:7], 0
	v_fma_f64 v[0:1], s[20:21], v[2:3], -v[8:9]
	s_delay_alu instid0(VALU_DEP_4)
	v_fma_f64 v[2:3], s[22:23], v[2:3], v[10:11]
	s_or_b32 s20, s35, s36
	s_wait_alu 0xfffe
	s_and_not1_b32 vcc_lo, exec_lo, s20
	s_mov_b32 s20, -1
	s_wait_alu 0xfffe
	s_cbranch_vccz .LBB17_20
; %bb.19:                               ;   in Loop: Header=BB17_4 Depth=1
	s_mov_b32 s20, 0
.LBB17_20:                              ;   in Loop: Header=BB17_4 Depth=1
	s_wait_alu 0xfffe
	s_and_not1_b32 vcc_lo, exec_lo, s20
	s_wait_alu 0xfffe
	s_cbranch_vccnz .LBB17_22
; %bb.21:                               ;   in Loop: Header=BB17_4 Depth=1
	v_add_co_u32 v8, vcc_lo, s28, v6
	s_wait_alu 0xfffd
	v_add_co_ci_u32_e64 v9, null, s29, v7, vcc_lo
	global_load_b128 v[8:11], v[8:9], off
	s_wait_loadcnt 0x0
	v_mul_f64_e32 v[12:13], s[6:7], v[10:11]
	v_mul_f64_e32 v[10:11], s[4:5], v[10:11]
	s_delay_alu instid0(VALU_DEP_2) | instskip(NEXT) | instid1(VALU_DEP_2)
	v_fma_f64 v[12:13], s[4:5], v[8:9], -v[12:13]
	v_fma_f64 v[8:9], s[6:7], v[8:9], v[10:11]
	s_delay_alu instid0(VALU_DEP_2) | instskip(NEXT) | instid1(VALU_DEP_2)
	v_add_f64_e32 v[0:1], v[0:1], v[12:13]
	v_add_f64_e32 v[2:3], v[2:3], v[8:9]
.LBB17_22:                              ;   in Loop: Header=BB17_4 Depth=1
	s_or_b32 s33, s33, exec_lo
.LBB17_23:                              ;   in Loop: Header=BB17_4 Depth=1
	s_or_b32 exec_lo, exec_lo, s34
.LBB17_24:                              ;   in Loop: Header=BB17_4 Depth=1
	s_and_saveexec_b32 s4, s33
	s_cbranch_execz .LBB17_2
; %bb.25:                               ;   in Loop: Header=BB17_4 Depth=1
	s_wait_alu 0xfffe
	v_add_co_u32 v8, vcc_lo, s28, v6
	s_wait_alu 0xfffd
	v_add_co_ci_u32_e64 v9, null, s29, v7, vcc_lo
	global_store_b128 v[8:9], v[0:3], off
	s_branch .LBB17_2
.LBB17_26:
	s_endpgm
	.section	.rodata,"a",@progbits
	.p2align	6, 0x0
	.amdhsa_kernel _ZL36rocblas_hemvn_kernel_upper_block_sumILi64ElPK19rocblas_complex_numIdEPS1_S1_EviT1_lS5_lT2_lT0_lPT3_i
		.amdhsa_group_segment_fixed_size 0
		.amdhsa_private_segment_fixed_size 0
		.amdhsa_kernarg_size 344
		.amdhsa_user_sgpr_count 2
		.amdhsa_user_sgpr_dispatch_ptr 0
		.amdhsa_user_sgpr_queue_ptr 0
		.amdhsa_user_sgpr_kernarg_segment_ptr 1
		.amdhsa_user_sgpr_dispatch_id 0
		.amdhsa_user_sgpr_private_segment_size 0
		.amdhsa_wavefront_size32 1
		.amdhsa_uses_dynamic_stack 0
		.amdhsa_enable_private_segment 0
		.amdhsa_system_sgpr_workgroup_id_x 1
		.amdhsa_system_sgpr_workgroup_id_y 0
		.amdhsa_system_sgpr_workgroup_id_z 1
		.amdhsa_system_sgpr_workgroup_info 0
		.amdhsa_system_vgpr_workitem_id 0
		.amdhsa_next_free_vgpr 14
		.amdhsa_next_free_sgpr 38
		.amdhsa_reserve_vcc 1
		.amdhsa_float_round_mode_32 0
		.amdhsa_float_round_mode_16_64 0
		.amdhsa_float_denorm_mode_32 3
		.amdhsa_float_denorm_mode_16_64 3
		.amdhsa_fp16_overflow 0
		.amdhsa_workgroup_processor_mode 1
		.amdhsa_memory_ordered 1
		.amdhsa_forward_progress 1
		.amdhsa_inst_pref_size 8
		.amdhsa_round_robin_scheduling 0
		.amdhsa_exception_fp_ieee_invalid_op 0
		.amdhsa_exception_fp_denorm_src 0
		.amdhsa_exception_fp_ieee_div_zero 0
		.amdhsa_exception_fp_ieee_overflow 0
		.amdhsa_exception_fp_ieee_underflow 0
		.amdhsa_exception_fp_ieee_inexact 0
		.amdhsa_exception_int_div_zero 0
	.end_amdhsa_kernel
	.section	.text._ZL36rocblas_hemvn_kernel_upper_block_sumILi64ElPK19rocblas_complex_numIdEPS1_S1_EviT1_lS5_lT2_lT0_lPT3_i,"axG",@progbits,_ZL36rocblas_hemvn_kernel_upper_block_sumILi64ElPK19rocblas_complex_numIdEPS1_S1_EviT1_lS5_lT2_lT0_lPT3_i,comdat
.Lfunc_end17:
	.size	_ZL36rocblas_hemvn_kernel_upper_block_sumILi64ElPK19rocblas_complex_numIdEPS1_S1_EviT1_lS5_lT2_lT0_lPT3_i, .Lfunc_end17-_ZL36rocblas_hemvn_kernel_upper_block_sumILi64ElPK19rocblas_complex_numIdEPS1_S1_EviT1_lS5_lT2_lT0_lPT3_i
                                        ; -- End function
	.set _ZL36rocblas_hemvn_kernel_upper_block_sumILi64ElPK19rocblas_complex_numIdEPS1_S1_EviT1_lS5_lT2_lT0_lPT3_i.num_vgpr, 14
	.set _ZL36rocblas_hemvn_kernel_upper_block_sumILi64ElPK19rocblas_complex_numIdEPS1_S1_EviT1_lS5_lT2_lT0_lPT3_i.num_agpr, 0
	.set _ZL36rocblas_hemvn_kernel_upper_block_sumILi64ElPK19rocblas_complex_numIdEPS1_S1_EviT1_lS5_lT2_lT0_lPT3_i.numbered_sgpr, 38
	.set _ZL36rocblas_hemvn_kernel_upper_block_sumILi64ElPK19rocblas_complex_numIdEPS1_S1_EviT1_lS5_lT2_lT0_lPT3_i.num_named_barrier, 0
	.set _ZL36rocblas_hemvn_kernel_upper_block_sumILi64ElPK19rocblas_complex_numIdEPS1_S1_EviT1_lS5_lT2_lT0_lPT3_i.private_seg_size, 0
	.set _ZL36rocblas_hemvn_kernel_upper_block_sumILi64ElPK19rocblas_complex_numIdEPS1_S1_EviT1_lS5_lT2_lT0_lPT3_i.uses_vcc, 1
	.set _ZL36rocblas_hemvn_kernel_upper_block_sumILi64ElPK19rocblas_complex_numIdEPS1_S1_EviT1_lS5_lT2_lT0_lPT3_i.uses_flat_scratch, 0
	.set _ZL36rocblas_hemvn_kernel_upper_block_sumILi64ElPK19rocblas_complex_numIdEPS1_S1_EviT1_lS5_lT2_lT0_lPT3_i.has_dyn_sized_stack, 0
	.set _ZL36rocblas_hemvn_kernel_upper_block_sumILi64ElPK19rocblas_complex_numIdEPS1_S1_EviT1_lS5_lT2_lT0_lPT3_i.has_recursion, 0
	.set _ZL36rocblas_hemvn_kernel_upper_block_sumILi64ElPK19rocblas_complex_numIdEPS1_S1_EviT1_lS5_lT2_lT0_lPT3_i.has_indirect_call, 0
	.section	.AMDGPU.csdata,"",@progbits
; Kernel info:
; codeLenInByte = 1024
; TotalNumSgprs: 40
; NumVgprs: 14
; ScratchSize: 0
; MemoryBound: 0
; FloatMode: 240
; IeeeMode: 1
; LDSByteSize: 0 bytes/workgroup (compile time only)
; SGPRBlocks: 0
; VGPRBlocks: 1
; NumSGPRsForWavesPerEU: 40
; NumVGPRsForWavesPerEU: 14
; Occupancy: 16
; WaveLimiterHint : 0
; COMPUTE_PGM_RSRC2:SCRATCH_EN: 0
; COMPUTE_PGM_RSRC2:USER_SGPR: 2
; COMPUTE_PGM_RSRC2:TRAP_HANDLER: 0
; COMPUTE_PGM_RSRC2:TGID_X_EN: 1
; COMPUTE_PGM_RSRC2:TGID_Y_EN: 0
; COMPUTE_PGM_RSRC2:TGID_Z_EN: 1
; COMPUTE_PGM_RSRC2:TIDIG_COMP_CNT: 0
	.section	.text._ZL26rocblas_hemvn_kernel_upperILb1ELi64ELi4ELi33ELi32ELi16EiPK19rocblas_complex_numIdES3_PS1_EviT6_lT7_lT5_lS6_lS7_lS5_lT8_i,"axG",@progbits,_ZL26rocblas_hemvn_kernel_upperILb1ELi64ELi4ELi33ELi32ELi16EiPK19rocblas_complex_numIdES3_PS1_EviT6_lT7_lT5_lS6_lS7_lS5_lT8_i,comdat
	.globl	_ZL26rocblas_hemvn_kernel_upperILb1ELi64ELi4ELi33ELi32ELi16EiPK19rocblas_complex_numIdES3_PS1_EviT6_lT7_lT5_lS6_lS7_lS5_lT8_i ; -- Begin function _ZL26rocblas_hemvn_kernel_upperILb1ELi64ELi4ELi33ELi32ELi16EiPK19rocblas_complex_numIdES3_PS1_EviT6_lT7_lT5_lS6_lS7_lS5_lT8_i
	.p2align	8
	.type	_ZL26rocblas_hemvn_kernel_upperILb1ELi64ELi4ELi33ELi32ELi16EiPK19rocblas_complex_numIdES3_PS1_EviT6_lT7_lT5_lS6_lS7_lS5_lT8_i,@function
_ZL26rocblas_hemvn_kernel_upperILb1ELi64ELi4ELi33ELi32ELi16EiPK19rocblas_complex_numIdES3_PS1_EviT6_lT7_lT5_lS6_lS7_lS5_lT8_i: ; @_ZL26rocblas_hemvn_kernel_upperILb1ELi64ELi4ELi33ELi32ELi16EiPK19rocblas_complex_numIdES3_PS1_EviT6_lT7_lT5_lS6_lS7_lS5_lT8_i
; %bb.0:
	s_clause 0x1
	s_load_b64 s[2:3], s[0:1], 0x84
	s_load_b32 s23, s[0:1], 0x70
	s_lshr_b32 s34, ttmp7, 16
	s_wait_kmcnt 0x0
	s_lshr_b32 s4, s2, 16
	s_and_b32 s2, s2, 0xffff
	s_and_b32 s3, s3, 0xffff
	s_mul_i32 s2, s4, s2
	s_delay_alu instid0(SALU_CYCLE_1) | instskip(NEXT) | instid1(SALU_CYCLE_1)
	s_mul_i32 s2, s2, s3
	s_cmp_lg_u32 s2, 0x100
	s_cselect_b32 s2, -1, 0
	s_cmp_ge_u32 s34, s23
	s_cselect_b32 s3, -1, 0
	s_delay_alu instid0(SALU_CYCLE_1) | instskip(NEXT) | instid1(SALU_CYCLE_1)
	s_or_b32 s2, s2, s3
	s_and_b32 vcc_lo, exec_lo, s2
	s_cbranch_vccnz .LBB18_189
; %bb.1:
	s_clause 0x2
	s_load_b32 s2, s[0:1], 0x0
	s_load_b96 s[20:22], s[0:1], 0x40
	s_load_b32 s58, s[0:1], 0x28
	v_and_b32_e32 v173, 0x3ff, v0
	s_lshl_b32 s52, ttmp9, 6
	s_load_b128 s[44:47], s[0:1], 0x30
	s_add_nc_u64 s[6:7], s[0:1], 0x78
	s_load_b256 s[24:31], s[0:1], 0x8
	s_load_b32 s48, s[6:7], 0x0
	v_add_nc_u32_e32 v2, s52, v173
	v_bfe_u32 v3, v0, 10, 10
	s_load_b256 s[36:43], s[0:1], 0x50
	v_and_b32_e32 v4, 31, v0
	v_lshlrev_b32_e32 v22, 4, v173
	s_mov_b32 s35, 0
	v_lshlrev_b32_e32 v11, 6, v3
	v_lshlrev_b32_e32 v200, 2, v3
	s_mov_b32 s4, ttmp9
	v_mad_u32_u24 v203, 0x10c0, v3, v22
	s_mov_b32 s49, s35
	v_add_nc_u32_e32 v12, v11, v173
	s_wait_kmcnt 0x0
	s_ashr_i32 s3, s2, 31
	v_mul_lo_u32 v5, s22, v2
	s_lshl_b64 s[0:1], s[20:21], 4
	s_lshr_b32 s5, s3, 26
	v_lshrrev_b32_e32 v9, 5, v12
	s_add_nc_u64 s[0:1], s[46:47], s[0:1]
	s_add_co_i32 s5, s2, s5
	s_add_co_i32 s8, s48, -1
	s_and_not1_b32 s5, s5, 63
	v_ashrrev_i32_e32 v6, 31, v5
	s_ashr_i32 s59, s58, 31
	s_lshl_b64 s[6:7], s[30:31], 4
	s_sub_co_i32 s33, s2, s5
	s_cmp_eq_u32 ttmp9, s8
	v_lshlrev_b64_e32 v[5:6], 4, v[5:6]
	s_cselect_b32 s30, s33, 0
	v_lshlrev_b32_e32 v16, 2, v9
	s_cmp_lg_u32 s30, 0
	s_add_nc_u64 s[6:7], s[28:29], s[6:7]
	s_cselect_b32 s68, -1, 0
	v_add_co_u32 v1, vcc_lo, s0, v5
	v_cmp_eq_u32_e64 s0, 0, v3
	v_mad_u32_u24 v3, 0x430, v3, v22
	s_cmp_eq_u32 s30, 0
	scratch_store_b32 off, v1, off offset:8 ; 4-byte Folded Spill
	v_add_co_ci_u32_e64 v1, null, s1, v6, vcc_lo
	v_mad_co_u64_u32 v[5:6], null, s58, v9, v[4:5]
	s_cselect_b32 s1, -1, 0
	s_ashr_i32 s5, ttmp9, 31
	s_ashr_i32 s53, s52, 31
	s_mul_u64 s[4:5], s[2:3], s[4:5]
	s_mul_u64 s[28:29], s[48:49], s[2:3]
	s_wait_alu 0xfffe
	s_lshl_b64 s[2:3], s[52:53], 4
	v_ashrrev_i32_e32 v6, 31, v5
	s_add_nc_u64 s[2:3], s[6:7], s[2:3]
	v_cmp_le_u32_e64 s6, v16, v4
	v_cmp_eq_u32_e64 s7, v16, v4
	v_or_b32_e32 v19, 1, v16
	v_or_b32_e32 v20, 2, v16
	v_cmp_ge_u32_e64 s8, v16, v4
	v_or_b32_e32 v16, 3, v16
	v_lshlrev_b64_e32 v[5:6], 4, v[5:6]
	v_cmp_gt_i32_e32 vcc_lo, s30, v173
	s_lshl_b64 s[4:5], s[4:5], 4
	v_lshlrev_b32_e32 v13, 4, v4
	v_add_nc_u32_e32 v14, 16, v9
	v_cmp_le_u32_e64 s12, v16, v4
	v_cmp_eq_u32_e64 s13, v16, v4
	v_or_b32_e32 v16, 32, v4
	s_add_nc_u64 s[42:43], s[42:43], s[4:5]
	s_mul_i32 s4, s58, s52
	scratch_store_b32 off, v1, off offset:12 ; 4-byte Folded Spill
	s_or_b32 s54, s1, vcc_lo
	s_ashr_i32 s5, s4, 31
	v_add_co_u32 v1, vcc_lo, s2, v5
	s_sub_co_i32 s19, s30, 32
	s_wait_alu 0xfffd
	v_add_co_ci_u32_e64 v7, null, s3, v6, vcc_lo
	s_lshl_b64 s[2:3], s[4:5], 4
	v_add_nc_u32_e32 v10, 8, v9
	v_add_nc_u32_e32 v15, 24, v9
	v_cmp_le_i32_e64 s4, s30, v14
	v_lshl_or_b32 v17, v4, 9, v13
	v_lshlrev_b32_e32 v18, 6, v9
	v_cmp_gt_i32_e64 s15, s30, v16
	v_cmp_le_i32_e64 s18, s19, v14
	v_lshrrev_b32_e32 v14, 4, v12
	v_and_b32_e32 v16, 48, v0
	s_wait_alu 0xfffe
	v_add_co_u32 v1, vcc_lo, v1, s2
	v_cmp_le_i32_e64 s5, s30, v15
	v_add_nc_u32_e32 v194, v17, v18
	v_add_nc_u32_e32 v198, 0x4700, v18
	v_cmp_le_i32_e64 s16, s19, v9
	v_cmp_le_i32_e64 s17, s19, v10
	;; [unrolled: 1-line block ×3, first 2 shown]
	v_and_b32_e32 v15, 15, v0
	v_lshlrev_b32_e32 v18, 6, v14
	v_add_nc_u32_e32 v0, 0x4300, v11
	v_lshlrev_b32_e32 v11, 4, v16
	v_or_b32_e32 v16, 0xf0, v22
	v_mad_u32_u24 v207, 0x210, v9, v13
	v_mad_u32_u24 v204, 0x430, v15, v18
	v_mul_u32_u24_e32 v17, 0x840, v9
	v_mad_u32_u24 v205, 0x430, v15, v11
	v_mad_u32_u24 v206, 0x430, v15, v16
	v_add_nc_u32_e32 v15, 64, v2
	scratch_store_b32 off, v1, off offset:16 ; 4-byte Folded Spill
	s_wait_alu 0xfffd
	v_add_co_ci_u32_e64 v1, null, s3, v7, vcc_lo
	v_sub_co_u32 v7, s2, 0, v4
	s_wait_alu 0xf1ff
	v_sub_co_ci_u32_e64 v8, null, 0, 0, s2
	v_cmp_le_i32_e64 s2, s30, v9
	v_cmp_le_i32_e64 s3, s30, v10
	v_cmp_le_u32_e64 s10, v20, v4
	v_cmp_eq_u32_e64 s11, v20, v4
	v_lshlrev_b32_e32 v20, 4, v9
	v_cmp_eq_u32_e64 s20, 1, v9
	v_mul_i32_i24_e32 v201, 0xffffffd0, v9
	v_mad_co_u64_u32 v[9:10], null, s58, v200, v[173:174]
	s_lshl_b32 s56, s58, 5
	v_cmp_gt_u32_e64 s14, 32, v12
	s_ashr_i32 s57, s56, 31
	v_cmp_gt_u32_e64 s21, 64, v12
	s_lshl_b32 s46, s58, 3
	s_lshl_b32 s60, s58, 4
	v_ashrrev_i32_e32 v10, 31, v9
	v_add_co_u32 v11, vcc_lo, s56, v9
	s_mul_i32 s50, s58, 24
	s_mul_i32 s52, s22, s52
	s_wait_alu 0xfffd
	v_add_co_ci_u32_e64 v12, null, s57, v10, vcc_lo
	s_add_co_i32 s73, ttmp9, 1
	v_lshlrev_b64_e32 v[9:10], 4, v[9:10]
	s_xor_b32 s69, s54, -1
	s_ashr_i32 s31, s30, 31
	s_ashr_i32 s47, s46, 31
	;; [unrolled: 1-line block ×4, first 2 shown]
	s_wait_alu 0xfffe
	s_ashr_i32 s53, s52, 31
	s_cmp_lt_u32 s73, s48
	v_lshlrev_b64_e32 v[11:12], 4, v[11:12]
	s_cselect_b32 s49, -1, 0
	v_sub_co_u32 v210, vcc_lo, 0, v5
	s_lshl_b64 s[56:57], s[56:57], 4
	s_wait_alu 0xfffd
	v_sub_co_ci_u32_e64 v211, null, 0, v6, vcc_lo
	s_wait_alu 0xfffe
	v_add_co_u32 v5, vcc_lo, s56, v9
	scratch_store_b32 off, v15, off offset:28 ; 4-byte Folded Spill
	v_mad_co_i64_i32 v[15:16], null, s60, 48, v[11:12]
	s_mul_i32 s66, s58, 3
	v_or_b32_e32 v5, 8, v5
	s_ashr_i32 s67, s66, 31
	scratch_store_b32 off, v3, off offset:24 ; 4-byte Folded Spill
	s_lshl_b64 s[66:67], s[66:67], 4
	s_wait_alu 0xfffd
	v_add_co_ci_u32_e64 v6, null, s57, v10, vcc_lo
	scratch_store_b32 off, v5, off offset:44 ; 4-byte Folded Spill
	v_add_co_u32 v5, vcc_lo, v15, s66
	s_clause 0x1
	scratch_store_b32 off, v1, off offset:20
	scratch_store_b32 off, v6, off offset:40
	s_lshl_b32 s64, s58, 1
	scratch_store_b32 off, v5, off offset:48 ; 4-byte Folded Spill
	s_wait_alu 0xfffd
	v_add_co_ci_u32_e64 v5, null, s67, v16, vcc_lo
	s_and_b32 s72, s0, s54
	s_lshl_b64 s[54:55], s[58:59], 7
	s_lshl_b64 s[74:75], s[58:59], 4
	;; [unrolled: 1-line block ×3, first 2 shown]
	scratch_store_b32 off, v5, off offset:52 ; 4-byte Folded Spill
	s_wait_alu 0xfffe
	s_add_nc_u64 s[78:79], s[58:59], s[56:57]
	s_mul_u64 s[76:77], s[60:61], 48
	v_add_co_u32 v5, vcc_lo, s78, v9
	s_add_nc_u64 s[58:59], s[76:77], s[58:59]
	s_add_nc_u64 s[76:77], s[74:75], s[56:57]
	s_ashr_i32 s65, s64, 31
	scratch_store_b32 off, v5, off offset:56 ; 4-byte Folded Spill
	s_wait_alu 0xfffd
	v_add_co_ci_u32_e64 v5, null, s79, v10, vcc_lo
	s_lshl_b64 s[64:65], s[64:65], 4
	s_lshl_b32 s71, s22, 6
	s_mul_i32 s73, s22, s73
	scratch_store_b32 off, v5, off offset:60 ; 4-byte Folded Spill
	s_wait_alu 0xfffe
	v_add_co_u32 v5, vcc_lo, s58, v11
	s_wait_alu 0xfffd
	v_add_co_ci_u32_e64 v6, null, s59, v12, vcc_lo
	s_add_nc_u64 s[58:59], s[56:57], s[64:65]
	v_or_b32_e32 v5, 8, v5
	v_mov_b32_e32 v1, 0
	scratch_store_b32 off, v6, off offset:64 ; 4-byte Folded Spill
	v_add_co_u32 v6, vcc_lo, s76, v9
	scratch_store_b32 off, v5, off offset:68 ; 4-byte Folded Spill
	s_wait_alu 0xfffd
	v_add_co_ci_u32_e64 v5, null, s77, v10, vcc_lo
	v_ashrrev_i32_e32 v3, 31, v2
	s_lshl_b64 s[82:83], s[60:61], 5
	v_mul_u32_u24_e32 v21, 0x210, v19
	scratch_store_b32 off, v5, off offset:72 ; 4-byte Folded Spill
	v_or_b32_e32 v5, 8, v6
	v_add_co_u32 v6, s22, v15, s64
	v_lshlrev_b64_e32 v[2:3], 4, v[2:3]
	s_add_nc_u64 s[84:85], s[82:83], s[56:57]
	scratch_store_b32 off, v5, off offset:76 ; 4-byte Folded Spill
	s_wait_alu 0xfffe
	v_add_co_u32 v5, vcc_lo, s58, v9
	s_add_nc_u64 s[86:87], s[84:85], s[66:67]
	v_cmp_eq_u32_e64 s9, v19, v4
	v_mul_u32_u24_e32 v19, 33, v4
	v_or_b32_e32 v5, 8, v5
	scratch_store_b32 off, v6, off offset:80 ; 4-byte Folded Spill
	v_add_co_ci_u32_e64 v6, null, s65, v16, s22
	v_lshlrev_b32_e32 v196, 4, v19
	scratch_store_b32 off, v5, off offset:92 ; 4-byte Folded Spill
	v_mul_i32_i24_e32 v14, 0xffffffd0, v14
	scratch_store_b32 off, v6, off offset:84 ; 4-byte Folded Spill
	s_wait_alu 0xfffd
	v_add_co_ci_u32_e64 v6, null, s59, v10, vcc_lo
	s_add_nc_u64 s[58:59], s[56:57], s[66:67]
	v_add_nc_u32_e32 v185, 0x4700, v22
	s_wait_alu 0xfffe
	v_add_co_u32 v5, vcc_lo, s58, v9
	scratch_store_b32 off, v6, off offset:88 ; 4-byte Folded Spill
	v_add_co_u32 v6, s22, v15, s74
	s_clause 0x1
	scratch_store_b32 off, v6, off offset:96
	scratch_store_b64 off, v[15:16], off offset:32
	s_wait_alu 0xf1ff
	v_add_co_ci_u32_e64 v6, null, s75, v16, s22
	v_or_b32_e32 v5, 8, v5
	v_cmp_gt_i32_e64 s1, s30, v4
	v_mad_u32_u24 v197, 0x210, v4, v13
	s_clause 0x2
	scratch_store_b32 off, v6, off offset:100
	scratch_store_b64 off, v[2:3], off offset:192
	scratch_store_b32 off, v5, off offset:108
	s_wait_alu 0xfffd
	v_add_co_ci_u32_e64 v6, null, s59, v10, vcc_lo
	s_lshl_b64 s[58:59], s[60:61], 4
	v_add_nc_u32_e32 v199, v196, v20
	s_wait_alu 0xfffe
	s_add_nc_u64 s[80:81], s[56:57], s[58:59]
	s_add_nc_u64 s[76:77], s[76:77], s[58:59]
	v_add_co_u32 v5, vcc_lo, s80, v9
	v_add_nc_u32_e32 v202, 0x4300, v22
	v_add_nc_u32_e32 v208, 0x4700, v20
	;; [unrolled: 1-line block ×3, first 2 shown]
	s_delay_alu instid0(VALU_DEP_4)
	v_or_b32_e32 v5, 8, v5
	scratch_store_b32 off, v6, off offset:104 ; 4-byte Folded Spill
	s_wait_alu 0xfffd
	v_add_co_ci_u32_e64 v6, null, s81, v10, vcc_lo
	v_lshlrev_b32_e32 v251, 4, v4
	scratch_store_b32 off, v5, off offset:116 ; 4-byte Folded Spill
	s_wait_alu 0xfffe
	v_add_co_u32 v5, vcc_lo, s76, v9
	v_add_nc_u32_e32 v252, v13, v17
	v_add_nc_u32_e32 v253, v13, v21
	s_sub_nc_u64 s[62:63], 0, s[52:53]
	s_delay_alu instid0(VALU_DEP_3)
	v_or_b32_e32 v5, 8, v5
	scratch_store_b32 off, v6, off offset:112 ; 4-byte Folded Spill
	v_add_co_u32 v6, s22, s86, v9
	s_add_co_i32 s70, s48, -2
	scratch_store_b32 off, v5, off offset:132 ; 4-byte Folded Spill
	s_sub_nc_u64 s[52:53], 0, s[30:31]
	scratch_store_b32 off, v6, off offset:120 ; 4-byte Folded Spill
	v_add_co_ci_u32_e64 v6, null, s87, v10, s22
	s_lshl_b32 s73, s73, 6
	s_lshl_b64 s[60:61], s[60:61], 6
	s_lshl_b64 s[62:63], s[62:63], 4
	scratch_store_b32 off, v6, off offset:124 ; 4-byte Folded Spill
	s_wait_alu 0xfffd
	v_add_co_ci_u32_e64 v6, null, s77, v10, vcc_lo
	s_add_nc_u64 s[76:77], s[78:79], s[82:83]
	s_add_nc_u64 s[82:83], s[80:81], s[64:65]
	s_wait_alu 0xfffe
	v_add_co_u32 v5, vcc_lo, s76, v9
	s_add_nc_u64 s[64:65], s[84:85], s[64:65]
	s_wait_alu 0xfffd
	v_add_co_ci_u32_e64 v11, null, s77, v10, vcc_lo
	v_or_b32_e32 v5, 8, v5
	scratch_store_b32 off, v6, off offset:128 ; 4-byte Folded Spill
	v_add_co_u32 v6, s22, s82, v9
	scratch_store_b32 off, v5, off offset:140 ; 4-byte Folded Spill
	s_wait_alu 0xf1ff
	v_add_co_ci_u32_e64 v5, null, s83, v10, s22
	scratch_store_b32 off, v5, off offset:144 ; 4-byte Folded Spill
	v_or_b32_e32 v5, 8, v6
	v_add_co_u32 v6, s22, s84, v9
	scratch_store_b32 off, v5, off offset:148 ; 4-byte Folded Spill
	s_wait_alu 0xfffe
	v_add_co_u32 v5, vcc_lo, s64, v9
	scratch_store_b32 off, v5, off offset:152 ; 4-byte Folded Spill
	s_wait_alu 0xfffd
	v_add_co_ci_u32_e64 v5, null, s65, v10, vcc_lo
	s_add_nc_u64 s[64:65], s[78:79], s[58:59]
	scratch_store_b32 off, v5, off offset:156 ; 4-byte Folded Spill
	s_wait_alu 0xfffe
	v_add_co_u32 v5, vcc_lo, s64, v9
	scratch_store_b32 off, v5, off offset:160 ; 4-byte Folded Spill
	s_wait_alu 0xfffd
	v_add_co_ci_u32_e64 v5, null, s65, v10, vcc_lo
	s_add_nc_u64 s[64:65], s[84:85], s[74:75]
	;; [unrolled: 7-line block ×3, first 2 shown]
	scratch_store_b32 off, v5, off offset:172 ; 4-byte Folded Spill
	s_wait_alu 0xfffe
	v_add_co_u32 v5, vcc_lo, s64, v9
	s_wait_alu 0xfffd
	v_add_co_ci_u32_e64 v9, null, s65, v10, vcc_lo
	s_delay_alu instid0(VALU_DEP_2)
	v_or_b32_e32 v5, 8, v5
	s_clause 0x1
	scratch_store_b32 off, v9, off offset:176
	scratch_store_b32 off, v5, off offset:180
	v_add_co_ci_u32_e64 v5, null, s85, v10, s22
	scratch_store_b32 off, v5, off offset:184 ; 4-byte Folded Spill
	v_or_b32_e32 v5, 8, v6
	scratch_store_b32 off, v5, off offset:188 ; 4-byte Folded Spill
	v_lshlrev_b64_e32 v[5:6], 4, v[7:8]
	s_clause 0x1
	scratch_store_b32 off, v11, off offset:136
	scratch_store_b64 off, v[5:6], off
	s_branch .LBB18_4
.LBB18_2:                               ;   in Loop: Header=BB18_4 Depth=1
	s_wait_alu 0xfffe
	s_or_b32 exec_lo, exec_lo, s22
.LBB18_3:                               ;   in Loop: Header=BB18_4 Depth=1
	s_add_co_i32 s34, s34, 0x10000
	s_delay_alu instid0(SALU_CYCLE_1)
	s_cmp_lt_u32 s34, s23
	s_cbranch_scc0 .LBB18_189
.LBB18_4:                               ; =>This Loop Header: Depth=1
                                        ;     Child Loop BB18_113 Depth 2
	s_mul_u64 s[64:65], s[26:27], s[34:35]
	s_wait_alu 0xfffe
	s_lshl_b64 s[64:65], s[64:65], 4
	s_wait_alu 0xfffe
	s_add_nc_u64 s[64:65], s[24:25], s[64:65]
	global_load_b128 v[2:5], v1, s[64:65]
	s_wait_loadcnt 0x0
	v_cmp_neq_f64_e32 vcc_lo, 0, v[2:3]
	v_cmp_neq_f64_e64 s22, 0, v[4:5]
	s_or_b32 s64, vcc_lo, s22
	s_mov_b32 s22, -1
	s_wait_alu 0xfffe
	s_and_b32 vcc_lo, exec_lo, s64
	s_wait_alu 0xfffe
	s_cbranch_vccnz .LBB18_6
; %bb.5:                                ;   in Loop: Header=BB18_4 Depth=1
	s_mul_u64 s[66:67], s[40:41], s[34:35]
	s_wait_alu 0xfffe
	s_lshl_b64 s[66:67], s[66:67], 4
	s_wait_alu 0xfffe
	s_add_nc_u64 s[66:67], s[38:39], s[66:67]
	global_load_b128 v[2:5], v1, s[66:67]
	s_wait_loadcnt 0x0
	v_cmp_neq_f64_e32 vcc_lo, 1.0, v[2:3]
	v_cmp_neq_f64_e64 s22, 0, v[4:5]
	s_or_b32 s22, vcc_lo, s22
.LBB18_6:                               ;   in Loop: Header=BB18_4 Depth=1
	s_wait_alu 0xfffe
	s_and_not1_b32 vcc_lo, exec_lo, s22
	s_wait_alu 0xfffe
	s_cbranch_vccnz .LBB18_3
; %bb.7:                                ;   in Loop: Header=BB18_4 Depth=1
	s_and_not1_b32 vcc_lo, exec_lo, s64
	s_wait_alu 0xfffe
	s_cbranch_vccnz .LBB18_3
; %bb.8:                                ;   in Loop: Header=BB18_4 Depth=1
	scratch_load_b32 v2, off, off offset:8  ; 4-byte Folded Reload
	s_mul_u64 s[64:65], s[36:37], s[34:35]
	s_wait_alu 0xfffe
	s_lshl_b64 s[64:65], s[64:65], 4
	s_wait_loadcnt 0x0
	s_wait_alu 0xfffe
	v_add_co_u32 v41, vcc_lo, v2, s64
	scratch_load_b32 v2, off, off offset:12 ; 4-byte Folded Reload
	s_wait_loadcnt 0x0
	s_wait_alu 0xfffd
	v_add_co_ci_u32_e64 v42, null, s65, v2, vcc_lo
	s_and_saveexec_b32 s22, s0
	s_cbranch_execz .LBB18_13
; %bb.9:                                ;   in Loop: Header=BB18_4 Depth=1
	s_and_saveexec_b32 s64, s69
	s_wait_alu 0xfffe
	s_xor_b32 s64, exec_lo, s64
; %bb.10:                               ;   in Loop: Header=BB18_4 Depth=1
	v_dual_mov_b32 v2, v1 :: v_dual_mov_b32 v3, v1
	v_mov_b32_e32 v4, v1
	ds_store_b128 v185, v[1:4]
; %bb.11:                               ;   in Loop: Header=BB18_4 Depth=1
	s_wait_alu 0xfffe
	s_and_not1_saveexec_b32 s64, s64
	s_cbranch_execz .LBB18_13
; %bb.12:                               ;   in Loop: Header=BB18_4 Depth=1
	global_load_b128 v[2:5], v[41:42], off
	s_wait_loadcnt 0x0
	ds_store_2addr_b64 v185, v[2:3], v[4:5] offset1:1
.LBB18_13:                              ;   in Loop: Header=BB18_4 Depth=1
	s_wait_alu 0xfffe
	s_or_b32 exec_lo, exec_lo, s22
	scratch_load_b32 v2, off, off offset:16 ; 4-byte Folded Reload
	s_mul_u64 s[64:65], s[44:45], s[34:35]
	s_mov_b32 s22, -1
	s_wait_alu 0xfffe
	s_lshl_b64 s[64:65], s[64:65], 4
                                        ; implicit-def: $vgpr9_vgpr10
	s_wait_loadcnt 0x0
	s_wait_alu 0xfffe
	v_add_co_u32 v5, vcc_lo, v2, s64
	scratch_load_b32 v2, off, off offset:20 ; 4-byte Folded Reload
	s_wait_loadcnt 0x0
	s_wait_alu 0xfffd
	v_add_co_ci_u32_e64 v6, null, s65, v2, vcc_lo
	s_and_b32 vcc_lo, exec_lo, s68
	s_wait_alu 0xfffe
	s_cbranch_vccz .LBB18_25
; %bb.14:                               ;   in Loop: Header=BB18_4 Depth=1
	s_and_saveexec_b32 s22, s2
	s_wait_alu 0xfffe
	s_xor_b32 s22, exec_lo, s22
; %bb.15:                               ;   in Loop: Header=BB18_4 Depth=1
	v_dual_mov_b32 v2, v1 :: v_dual_mov_b32 v3, v1
	v_mov_b32_e32 v4, v1
	ds_store_b128 v207, v[1:4]
; %bb.16:                               ;   in Loop: Header=BB18_4 Depth=1
	s_wait_alu 0xfffe
	s_or_saveexec_b32 s22, s22
	scratch_load_b64 v[2:3], off, off       ; 8-byte Folded Reload
	s_lshl_b64 s[64:65], s[30:31], 4
	s_wait_loadcnt 0x0
	v_add_co_u32 v2, vcc_lo, v5, v2
	s_wait_alu 0xfffd
	v_add_co_ci_u32_e64 v3, null, v6, v3, vcc_lo
	s_wait_alu 0xfffe
	s_delay_alu instid0(VALU_DEP_2) | instskip(SKIP_1) | instid1(VALU_DEP_2)
	v_add_co_u32 v2, vcc_lo, v2, s64
	s_wait_alu 0xfffd
	v_add_co_ci_u32_e64 v3, null, s65, v3, vcc_lo
	s_delay_alu instid0(VALU_DEP_2) | instskip(SKIP_1) | instid1(VALU_DEP_2)
	v_add_co_u32 v2, vcc_lo, v2, -16
	s_wait_alu 0xfffd
	v_add_co_ci_u32_e64 v3, null, -1, v3, vcc_lo
	s_delay_alu instid0(VALU_DEP_2) | instskip(NEXT) | instid1(VALU_DEP_2)
	v_cndmask_b32_e64 v7, v2, v5, s1
	v_cndmask_b32_e64 v8, v3, v6, s1
	s_xor_b32 exec_lo, exec_lo, s22
	s_cbranch_execnz .LBB18_171
; %bb.17:                               ;   in Loop: Header=BB18_4 Depth=1
	s_or_b32 exec_lo, exec_lo, s22
	s_and_saveexec_b32 s22, s3
	s_wait_alu 0xfffe
	s_xor_b32 s22, exec_lo, s22
	s_cbranch_execnz .LBB18_172
.LBB18_18:                              ;   in Loop: Header=BB18_4 Depth=1
	s_wait_alu 0xfffe
	s_and_not1_saveexec_b32 s22, s22
	s_cbranch_execnz .LBB18_173
.LBB18_19:                              ;   in Loop: Header=BB18_4 Depth=1
	s_wait_alu 0xfffe
	s_or_b32 exec_lo, exec_lo, s22
	s_and_saveexec_b32 s22, s4
	s_wait_alu 0xfffe
	s_xor_b32 s22, exec_lo, s22
	s_cbranch_execnz .LBB18_174
.LBB18_20:                              ;   in Loop: Header=BB18_4 Depth=1
	s_wait_alu 0xfffe
	s_and_not1_saveexec_b32 s22, s22
	s_cbranch_execnz .LBB18_175
.LBB18_21:                              ;   in Loop: Header=BB18_4 Depth=1
	s_wait_alu 0xfffe
	s_or_b32 exec_lo, exec_lo, s22
	s_and_saveexec_b32 s22, s5
	s_wait_alu 0xfffe
	s_xor_b32 s22, exec_lo, s22
	s_cbranch_execnz .LBB18_176
.LBB18_22:                              ;   in Loop: Header=BB18_4 Depth=1
	s_wait_alu 0xfffe
	s_and_not1_saveexec_b32 s22, s22
	s_cbranch_execz .LBB18_24
.LBB18_23:                              ;   in Loop: Header=BB18_4 Depth=1
	s_lshl_b64 s[64:65], s[50:51], 4
	s_wait_alu 0xfffe
	v_add_co_u32 v2, vcc_lo, v7, s64
	s_wait_alu 0xfffd
	v_add_co_ci_u32_e64 v3, null, s65, v8, vcc_lo
	global_load_b128 v[9:12], v[2:3], off
	v_add_nc_u32_e32 v2, 0x3180, v207
	s_wait_loadcnt 0x0
	ds_store_2addr_b64 v2, v[9:10], v[11:12] offset1:1
.LBB18_24:                              ;   in Loop: Header=BB18_4 Depth=1
	s_wait_alu 0xfffe
	s_or_b32 exec_lo, exec_lo, s22
	v_add_co_u32 v2, vcc_lo, v7, v251
	s_wait_alu 0xfffd
	v_add_co_ci_u32_e64 v3, null, 0, v8, vcc_lo
	s_lshl_b64 s[64:65], s[52:53], 4
	s_mov_b32 s22, 0
	s_wait_alu 0xfffe
	v_add_co_u32 v2, vcc_lo, v2, s64
	s_wait_alu 0xfffd
	v_add_co_ci_u32_e64 v3, null, s65, v3, vcc_lo
	s_delay_alu instid0(VALU_DEP_2) | instskip(SKIP_1) | instid1(VALU_DEP_2)
	v_add_co_u32 v2, vcc_lo, v2, 16
	s_wait_alu 0xfffd
	v_add_co_ci_u32_e64 v3, null, 0, v3, vcc_lo
	s_delay_alu instid0(VALU_DEP_2) | instskip(NEXT) | instid1(VALU_DEP_2)
	v_cndmask_b32_e64 v9, v2, v5, s1
	v_cndmask_b32_e64 v10, v3, v6, s1
.LBB18_25:                              ;   in Loop: Header=BB18_4 Depth=1
	s_and_b32 vcc_lo, exec_lo, s22
	s_wait_alu 0xfffe
	s_cbranch_vccz .LBB18_27
; %bb.26:                               ;   in Loop: Header=BB18_4 Depth=1
	s_lshl_b64 s[64:65], s[46:47], 4
	s_wait_alu 0xfffe
	v_add_co_u32 v2, vcc_lo, v5, s64
	s_wait_alu 0xfffd
	v_add_co_ci_u32_e64 v3, null, s65, v6, vcc_lo
	s_delay_alu instid0(VALU_DEP_2) | instskip(SKIP_1) | instid1(VALU_DEP_2)
	v_add_co_u32 v7, vcc_lo, v2, s54
	s_wait_alu 0xfffd
	v_add_co_ci_u32_e64 v8, null, s55, v3, vcc_lo
	s_delay_alu instid0(VALU_DEP_2) | instskip(SKIP_1) | instid1(VALU_DEP_2)
	v_add_co_u32 v9, vcc_lo, v7, s54
	s_wait_alu 0xfffd
	v_add_co_ci_u32_e64 v10, null, s55, v8, vcc_lo
	s_clause 0x3
	global_load_b128 v[11:14], v[5:6], off
	global_load_b128 v[15:18], v[2:3], off
	global_load_b128 v[19:22], v[7:8], off
	global_load_b128 v[23:26], v[9:10], off
	v_add_nc_u32_e32 v2, 0x1080, v207
	v_dual_mov_b32 v10, v6 :: v_dual_mov_b32 v9, v5
	s_wait_loadcnt 0x3
	ds_store_2addr_b64 v207, v[11:12], v[13:14] offset1:1
	s_wait_loadcnt 0x2
	ds_store_2addr_b64 v2, v[15:16], v[17:18] offset1:1
	v_add_nc_u32_e32 v2, 0x2100, v207
	s_wait_loadcnt 0x1
	ds_store_2addr_b64 v2, v[19:20], v[21:22] offset1:1
	v_add_nc_u32_e32 v2, 0x3180, v207
	s_wait_loadcnt 0x0
	ds_store_2addr_b64 v2, v[23:24], v[25:26] offset1:1
.LBB18_27:                              ;   in Loop: Header=BB18_4 Depth=1
	s_mov_b32 s22, 0
	s_wait_storecnt_dscnt 0x0
	s_barrier_signal -1
	s_barrier_wait -1
	global_inv scope:SCOPE_SE
	s_and_saveexec_b32 s64, s6
	s_wait_alu 0xfffe
	s_xor_b32 s64, exec_lo, s64
; %bb.28:                               ;   in Loop: Header=BB18_4 Depth=1
	s_and_b32 s22, s7, exec_lo
; %bb.29:                               ;   in Loop: Header=BB18_4 Depth=1
	s_wait_alu 0xfffe
	s_or_saveexec_b32 s64, s64
	v_mov_b32_e32 v4, 0
	v_dual_mov_b32 v5, 0 :: v_dual_mov_b32 v6, v197
	s_wait_alu 0xfffe
	s_xor_b32 exec_lo, exec_lo, s64
	s_cbranch_execz .LBB18_31
; %bb.30:                               ;   in Loop: Header=BB18_4 Depth=1
	ds_load_b128 v[2:5], v252
	v_mov_b32_e32 v6, v194
	s_or_b32 s22, s22, exec_lo
	s_wait_dscnt 0x0
	v_xor_b32_e32 v5, 0x80000000, v5
	ds_store_b64 v194, v[2:3]
.LBB18_31:                              ;   in Loop: Header=BB18_4 Depth=1
	s_or_b32 exec_lo, exec_lo, s64
	s_wait_alu 0xfffe
	s_and_saveexec_b32 s64, s22
; %bb.32:                               ;   in Loop: Header=BB18_4 Depth=1
	ds_store_b64 v6, v[4:5] offset:8
; %bb.33:                               ;   in Loop: Header=BB18_4 Depth=1
	s_wait_alu 0xfffe
	s_or_b32 exec_lo, exec_lo, s64
	s_mov_b32 s22, 0
                                        ; implicit-def: $vgpr4_vgpr5
	s_and_saveexec_b32 s64, s8
	s_wait_alu 0xfffe
	s_xor_b32 s64, exec_lo, s64
	s_cbranch_execnz .LBB18_167
; %bb.34:                               ;   in Loop: Header=BB18_4 Depth=1
	s_wait_alu 0xfffe
	s_or_saveexec_b32 s64, s64
	v_add_nc_u32_e32 v2, 16, v194
	s_wait_alu 0xfffe
	s_xor_b32 exec_lo, exec_lo, s64
	s_cbranch_execnz .LBB18_168
.LBB18_35:                              ;   in Loop: Header=BB18_4 Depth=1
	s_or_b32 exec_lo, exec_lo, s64
	s_and_saveexec_b32 s64, s22
.LBB18_36:                              ;   in Loop: Header=BB18_4 Depth=1
	ds_store_b64 v2, v[4:5] offset:8
.LBB18_37:                              ;   in Loop: Header=BB18_4 Depth=1
	s_wait_alu 0xfffe
	s_or_b32 exec_lo, exec_lo, s64
	s_mov_b32 s22, 0
	s_and_saveexec_b32 s64, s10
	s_wait_alu 0xfffe
	s_xor_b32 s64, exec_lo, s64
; %bb.38:                               ;   in Loop: Header=BB18_4 Depth=1
	s_and_b32 s22, s11, exec_lo
; %bb.39:                               ;   in Loop: Header=BB18_4 Depth=1
	s_wait_alu 0xfffe
	s_or_saveexec_b32 s64, s64
	v_mov_b32_e32 v4, 0
	v_dual_mov_b32 v5, 0 :: v_dual_mov_b32 v6, v197
	s_wait_alu 0xfffe
	s_xor_b32 exec_lo, exec_lo, s64
	s_cbranch_execz .LBB18_41
; %bb.40:                               ;   in Loop: Header=BB18_4 Depth=1
	ds_load_b128 v[2:5], v253 offset:528
	v_add_nc_u32_e32 v7, 32, v194
	s_or_b32 s22, s22, exec_lo
	s_delay_alu instid0(VALU_DEP_1)
	v_mov_b32_e32 v6, v7
	s_wait_dscnt 0x0
	v_xor_b32_e32 v5, 0x80000000, v5
	ds_store_b64 v7, v[2:3]
.LBB18_41:                              ;   in Loop: Header=BB18_4 Depth=1
	s_or_b32 exec_lo, exec_lo, s64
	s_wait_alu 0xfffe
	s_and_saveexec_b32 s64, s22
; %bb.42:                               ;   in Loop: Header=BB18_4 Depth=1
	ds_store_b64 v6, v[4:5] offset:8
; %bb.43:                               ;   in Loop: Header=BB18_4 Depth=1
	s_wait_alu 0xfffe
	s_or_b32 exec_lo, exec_lo, s64
	s_mov_b32 s22, 0
	s_and_saveexec_b32 s64, s12
	s_wait_alu 0xfffe
	s_xor_b32 s64, exec_lo, s64
; %bb.44:                               ;   in Loop: Header=BB18_4 Depth=1
	s_and_b32 s22, s13, exec_lo
; %bb.45:                               ;   in Loop: Header=BB18_4 Depth=1
	s_wait_alu 0xfffe
	s_or_saveexec_b32 s64, s64
	v_mov_b32_e32 v4, 0
	v_dual_mov_b32 v5, 0 :: v_dual_mov_b32 v6, v197
	s_wait_alu 0xfffe
	s_xor_b32 exec_lo, exec_lo, s64
	s_cbranch_execz .LBB18_47
; %bb.46:                               ;   in Loop: Header=BB18_4 Depth=1
	ds_load_b128 v[2:5], v253 offset:1056
	v_add_nc_u32_e32 v7, 48, v194
	s_or_b32 s22, s22, exec_lo
	s_delay_alu instid0(VALU_DEP_1)
	v_mov_b32_e32 v6, v7
	s_wait_dscnt 0x0
	v_xor_b32_e32 v5, 0x80000000, v5
	ds_store_b64 v7, v[2:3]
.LBB18_47:                              ;   in Loop: Header=BB18_4 Depth=1
	s_or_b32 exec_lo, exec_lo, s64
	s_wait_alu 0xfffe
	s_and_saveexec_b32 s64, s22
; %bb.48:                               ;   in Loop: Header=BB18_4 Depth=1
	ds_store_b64 v6, v[4:5] offset:8
; %bb.49:                               ;   in Loop: Header=BB18_4 Depth=1
	s_wait_alu 0xfffe
	s_or_b32 exec_lo, exec_lo, s64
	s_wait_loadcnt_dscnt 0x0
	s_barrier_signal -1
	s_barrier_wait -1
	global_inv scope:SCOPE_SE
	ds_load_b128 v[2:5], v252
	ds_load_b128 v[11:14], v198
	ds_load_b128 v[15:18], v198 offset:16
	ds_load_b128 v[19:22], v253 offset:1056
	s_wait_dscnt 0x2
	v_mul_f64_e32 v[27:28], v[13:14], v[4:5]
	v_mul_f64_e32 v[29:30], v[11:12], v[4:5]
	ds_load_b128 v[4:7], v253
	ds_load_b128 v[23:26], v253 offset:528
	s_wait_dscnt 0x1
	v_mul_f64_e32 v[31:32], v[17:18], v[6:7]
	v_mul_f64_e32 v[6:7], v[15:16], v[6:7]
	v_fma_f64 v[33:34], v[11:12], v[2:3], -v[27:28]
	v_fma_f64 v[2:3], v[13:14], v[2:3], v[29:30]
	ds_load_b128 v[11:14], v198 offset:32
	ds_load_b128 v[27:30], v198 offset:48
	s_wait_loadcnt_dscnt 0x0
	s_barrier_signal -1
	s_barrier_wait -1
	global_inv scope:SCOPE_SE
	v_mul_f64_e32 v[35:36], v[13:14], v[25:26]
	v_mul_f64_e32 v[25:26], v[11:12], v[25:26]
	v_fma_f64 v[15:16], v[15:16], v[4:5], -v[31:32]
	v_fma_f64 v[4:5], v[17:18], v[4:5], v[6:7]
	v_mul_f64_e32 v[17:18], v[29:30], v[21:22]
	v_mul_f64_e32 v[21:22], v[27:28], v[21:22]
	v_add_f64_e32 v[6:7], 0, v[33:34]
	v_add_f64_e32 v[2:3], 0, v[2:3]
	v_fma_f64 v[11:12], v[11:12], v[23:24], -v[35:36]
	v_fma_f64 v[13:14], v[13:14], v[23:24], v[25:26]
	s_delay_alu instid0(VALU_DEP_4) | instskip(NEXT) | instid1(VALU_DEP_4)
	v_add_f64_e32 v[6:7], v[6:7], v[15:16]
	v_add_f64_e32 v[2:3], v[2:3], v[4:5]
	v_fma_f64 v[4:5], v[27:28], v[19:20], -v[17:18]
	v_fma_f64 v[15:16], v[29:30], v[19:20], v[21:22]
	s_delay_alu instid0(VALU_DEP_4) | instskip(NEXT) | instid1(VALU_DEP_4)
	v_add_f64_e32 v[6:7], v[6:7], v[11:12]
	v_add_f64_e32 v[2:3], v[2:3], v[13:14]
	s_delay_alu instid0(VALU_DEP_2) | instskip(NEXT) | instid1(VALU_DEP_2)
	v_add_f64_e32 v[11:12], v[6:7], v[4:5]
	v_add_f64_e32 v[13:14], v[2:3], v[15:16]
	v_mov_b32_e32 v5, 0
	v_dual_mov_b32 v6, 0 :: v_dual_mov_b32 v7, 0
	v_mov_b32_e32 v8, 0
	ds_store_b128 v199, v[11:14]
	s_wait_loadcnt_dscnt 0x0
	s_barrier_signal -1
	s_barrier_wait -1
	global_inv scope:SCOPE_SE
	s_and_saveexec_b32 s22, s14
	s_cbranch_execz .LBB18_51
; %bb.50:                               ;   in Loop: Header=BB18_4 Depth=1
	ds_load_b128 v[2:5], v196
	ds_load_b128 v[11:14], v196 offset:16
	s_wait_dscnt 0x0
	v_add_f64_e32 v[6:7], v[11:12], v[2:3]
	v_add_f64_e32 v[15:16], v[13:14], v[4:5]
	ds_load_b128 v[2:5], v196 offset:32
	ds_load_b128 v[11:14], v196 offset:48
	s_wait_dscnt 0x1
	v_add_f64_e32 v[2:3], v[6:7], v[2:3]
	v_add_f64_e32 v[4:5], v[15:16], v[4:5]
	s_wait_dscnt 0x0
	s_delay_alu instid0(VALU_DEP_2) | instskip(NEXT) | instid1(VALU_DEP_2)
	v_add_f64_e32 v[6:7], v[2:3], v[11:12]
	v_add_f64_e32 v[15:16], v[4:5], v[13:14]
	ds_load_b128 v[2:5], v196 offset:64
	ds_load_b128 v[11:14], v196 offset:80
	s_wait_dscnt 0x1
	v_add_f64_e32 v[2:3], v[6:7], v[2:3]
	v_add_f64_e32 v[4:5], v[15:16], v[4:5]
	s_wait_dscnt 0x0
	s_delay_alu instid0(VALU_DEP_2) | instskip(NEXT) | instid1(VALU_DEP_2)
	;; [unrolled: 9-line block ×3, first 2 shown]
	v_add_f64_e32 v[5:6], v[2:3], v[11:12]
	v_add_f64_e32 v[7:8], v[7:8], v[13:14]
.LBB18_51:                              ;   in Loop: Header=BB18_4 Depth=1
	s_wait_alu 0xfffe
	s_or_b32 exec_lo, exec_lo, s22
	v_add_co_u32 v15, vcc_lo, v9, s56
	s_wait_alu 0xfffd
	v_add_co_ci_u32_e64 v16, null, s57, v10, vcc_lo
	s_mov_b32 s22, -1
	v_add_co_u32 v9, vcc_lo, 0x200, v15
	s_wait_alu 0xfffd
	v_add_co_ci_u32_e64 v10, null, 0, v16, vcc_lo
	s_and_b32 vcc_lo, exec_lo, s68
	s_wait_loadcnt 0x0
	s_barrier_signal -1
	s_barrier_wait -1
	global_inv scope:SCOPE_SE
                                        ; implicit-def: $vgpr13_vgpr14
	s_wait_alu 0xfffe
	s_cbranch_vccz .LBB18_63
; %bb.52:                               ;   in Loop: Header=BB18_4 Depth=1
	s_and_saveexec_b32 s22, s16
	s_wait_alu 0xfffe
	s_xor_b32 s22, exec_lo, s22
; %bb.53:                               ;   in Loop: Header=BB18_4 Depth=1
	v_dual_mov_b32 v2, v1 :: v_dual_mov_b32 v3, v1
	v_mov_b32_e32 v4, v1
	ds_store_b128 v207, v[1:4]
; %bb.54:                               ;   in Loop: Header=BB18_4 Depth=1
	s_wait_alu 0xfffe
	s_or_saveexec_b32 s22, s22
	scratch_load_b64 v[2:3], off, off       ; 8-byte Folded Reload
	s_lshl_b64 s[64:65], s[30:31], 4
	s_wait_loadcnt 0x0
	v_add_co_u32 v2, vcc_lo, v15, v2
	s_wait_alu 0xfffd
	v_add_co_ci_u32_e64 v3, null, v16, v3, vcc_lo
	s_wait_alu 0xfffe
	s_delay_alu instid0(VALU_DEP_2) | instskip(SKIP_1) | instid1(VALU_DEP_2)
	v_add_co_u32 v2, vcc_lo, v2, s64
	s_wait_alu 0xfffd
	v_add_co_ci_u32_e64 v3, null, s65, v3, vcc_lo
	s_delay_alu instid0(VALU_DEP_2) | instskip(SKIP_1) | instid1(VALU_DEP_2)
	v_add_co_u32 v2, vcc_lo, v2, -16
	s_wait_alu 0xfffd
	v_add_co_ci_u32_e64 v3, null, -1, v3, vcc_lo
	s_delay_alu instid0(VALU_DEP_2) | instskip(NEXT) | instid1(VALU_DEP_2)
	v_cndmask_b32_e64 v11, v2, v9, s15
	v_cndmask_b32_e64 v12, v3, v10, s15
	s_xor_b32 exec_lo, exec_lo, s22
	s_cbranch_execnz .LBB18_177
; %bb.55:                               ;   in Loop: Header=BB18_4 Depth=1
	s_or_b32 exec_lo, exec_lo, s22
	s_and_saveexec_b32 s22, s17
	s_wait_alu 0xfffe
	s_xor_b32 s22, exec_lo, s22
	s_cbranch_execnz .LBB18_178
.LBB18_56:                              ;   in Loop: Header=BB18_4 Depth=1
	s_wait_alu 0xfffe
	s_and_not1_saveexec_b32 s22, s22
	s_cbranch_execnz .LBB18_179
.LBB18_57:                              ;   in Loop: Header=BB18_4 Depth=1
	s_wait_alu 0xfffe
	s_or_b32 exec_lo, exec_lo, s22
	s_and_saveexec_b32 s22, s18
	s_wait_alu 0xfffe
	s_xor_b32 s22, exec_lo, s22
	s_cbranch_execnz .LBB18_180
.LBB18_58:                              ;   in Loop: Header=BB18_4 Depth=1
	s_wait_alu 0xfffe
	s_and_not1_saveexec_b32 s22, s22
	s_cbranch_execnz .LBB18_181
.LBB18_59:                              ;   in Loop: Header=BB18_4 Depth=1
	s_wait_alu 0xfffe
	s_or_b32 exec_lo, exec_lo, s22
	s_and_saveexec_b32 s22, s19
	s_wait_alu 0xfffe
	s_xor_b32 s22, exec_lo, s22
	s_cbranch_execnz .LBB18_182
.LBB18_60:                              ;   in Loop: Header=BB18_4 Depth=1
	s_wait_alu 0xfffe
	s_and_not1_saveexec_b32 s22, s22
	s_cbranch_execz .LBB18_62
.LBB18_61:                              ;   in Loop: Header=BB18_4 Depth=1
	s_lshl_b64 s[64:65], s[50:51], 4
	s_wait_alu 0xfffe
	v_add_co_u32 v2, vcc_lo, v11, s64
	s_wait_alu 0xfffd
	v_add_co_ci_u32_e64 v3, null, s65, v12, vcc_lo
	global_load_b128 v[17:20], v[2:3], off
	v_add_nc_u32_e32 v2, 0x3180, v207
	s_wait_loadcnt 0x0
	ds_store_2addr_b64 v2, v[17:18], v[19:20] offset1:1
.LBB18_62:                              ;   in Loop: Header=BB18_4 Depth=1
	s_wait_alu 0xfffe
	s_or_b32 exec_lo, exec_lo, s22
	v_add_co_u32 v2, vcc_lo, v11, v251
	s_wait_alu 0xfffd
	v_add_co_ci_u32_e64 v3, null, 0, v12, vcc_lo
	s_lshl_b64 s[64:65], s[52:53], 4
	s_mov_b32 s22, 0
	s_wait_alu 0xfffe
	v_add_co_u32 v2, vcc_lo, v2, s64
	s_wait_alu 0xfffd
	v_add_co_ci_u32_e64 v3, null, s65, v3, vcc_lo
	s_delay_alu instid0(VALU_DEP_2) | instskip(SKIP_1) | instid1(VALU_DEP_2)
	v_add_co_u32 v2, vcc_lo, 0x210, v2
	s_wait_alu 0xfffd
	v_add_co_ci_u32_e64 v3, null, 0, v3, vcc_lo
	s_delay_alu instid0(VALU_DEP_2) | instskip(NEXT) | instid1(VALU_DEP_2)
	v_cndmask_b32_e64 v13, v2, v9, s15
	v_cndmask_b32_e64 v14, v3, v10, s15
.LBB18_63:                              ;   in Loop: Header=BB18_4 Depth=1
	s_and_b32 vcc_lo, exec_lo, s22
	s_wait_alu 0xfffe
	s_cbranch_vccz .LBB18_65
; %bb.64:                               ;   in Loop: Header=BB18_4 Depth=1
	s_lshl_b64 s[64:65], s[46:47], 4
	s_wait_alu 0xfffe
	v_add_co_u32 v2, vcc_lo, v15, s64
	s_wait_alu 0xfffd
	v_add_co_ci_u32_e64 v3, null, s65, v16, vcc_lo
	s_delay_alu instid0(VALU_DEP_2) | instskip(SKIP_1) | instid1(VALU_DEP_2)
	v_add_co_u32 v11, vcc_lo, v2, s54
	s_wait_alu 0xfffd
	v_add_co_ci_u32_e64 v12, null, s55, v3, vcc_lo
	s_delay_alu instid0(VALU_DEP_2) | instskip(SKIP_1) | instid1(VALU_DEP_2)
	v_add_co_u32 v13, vcc_lo, v11, s54
	s_wait_alu 0xfffd
	v_add_co_ci_u32_e64 v14, null, s55, v12, vcc_lo
	s_clause 0x3
	global_load_b128 v[15:18], v[9:10], off
	global_load_b128 v[19:22], v[2:3], off offset:512
	global_load_b128 v[23:26], v[11:12], off offset:512
	;; [unrolled: 1-line block ×3, first 2 shown]
	v_add_nc_u32_e32 v2, 0x1080, v207
	v_dual_mov_b32 v14, v10 :: v_dual_mov_b32 v13, v9
	s_wait_loadcnt 0x3
	ds_store_2addr_b64 v207, v[15:16], v[17:18] offset1:1
	s_wait_loadcnt 0x2
	ds_store_2addr_b64 v2, v[19:20], v[21:22] offset1:1
	v_add_nc_u32_e32 v2, 0x2100, v207
	s_wait_loadcnt 0x1
	ds_store_2addr_b64 v2, v[23:24], v[25:26] offset1:1
	v_add_nc_u32_e32 v2, 0x3180, v207
	s_wait_loadcnt 0x0
	ds_store_2addr_b64 v2, v[27:28], v[29:30] offset1:1
.LBB18_65:                              ;   in Loop: Header=BB18_4 Depth=1
	s_mov_b32 s22, 0
	s_wait_loadcnt_dscnt 0x0
	s_barrier_signal -1
	s_barrier_wait -1
	global_inv scope:SCOPE_SE
	s_and_saveexec_b32 s64, s6
	s_wait_alu 0xfffe
	s_xor_b32 s64, exec_lo, s64
; %bb.66:                               ;   in Loop: Header=BB18_4 Depth=1
	s_and_b32 s22, s7, exec_lo
; %bb.67:                               ;   in Loop: Header=BB18_4 Depth=1
	s_wait_alu 0xfffe
	s_or_saveexec_b32 s64, s64
	v_dual_mov_b32 v11, 0 :: v_dual_mov_b32 v2, v197
	v_mov_b32_e32 v12, 0
	s_wait_alu 0xfffe
	s_xor_b32 exec_lo, exec_lo, s64
	s_cbranch_execz .LBB18_69
; %bb.68:                               ;   in Loop: Header=BB18_4 Depth=1
	ds_load_b128 v[9:12], v252
	v_mov_b32_e32 v2, v194
	s_or_b32 s22, s22, exec_lo
	s_wait_dscnt 0x0
	v_xor_b32_e32 v12, 0x80000000, v12
	ds_store_b64 v194, v[9:10]
.LBB18_69:                              ;   in Loop: Header=BB18_4 Depth=1
	s_or_b32 exec_lo, exec_lo, s64
	s_wait_alu 0xfffe
	s_and_saveexec_b32 s64, s22
; %bb.70:                               ;   in Loop: Header=BB18_4 Depth=1
	ds_store_b64 v2, v[11:12] offset:8
; %bb.71:                               ;   in Loop: Header=BB18_4 Depth=1
	s_wait_alu 0xfffe
	s_or_b32 exec_lo, exec_lo, s64
	s_mov_b32 s22, 0
                                        ; implicit-def: $vgpr11_vgpr12
	s_and_saveexec_b32 s64, s8
	s_wait_alu 0xfffe
	s_xor_b32 s64, exec_lo, s64
	s_cbranch_execnz .LBB18_169
; %bb.72:                               ;   in Loop: Header=BB18_4 Depth=1
	s_wait_alu 0xfffe
	s_or_saveexec_b32 s64, s64
	v_add_nc_u32_e32 v2, 16, v194
	s_wait_alu 0xfffe
	s_xor_b32 exec_lo, exec_lo, s64
	s_cbranch_execnz .LBB18_170
.LBB18_73:                              ;   in Loop: Header=BB18_4 Depth=1
	s_or_b32 exec_lo, exec_lo, s64
	s_and_saveexec_b32 s64, s22
.LBB18_74:                              ;   in Loop: Header=BB18_4 Depth=1
	ds_store_b64 v2, v[11:12] offset:8
.LBB18_75:                              ;   in Loop: Header=BB18_4 Depth=1
	s_wait_alu 0xfffe
	s_or_b32 exec_lo, exec_lo, s64
	s_mov_b32 s22, 0
	s_and_saveexec_b32 s64, s10
	s_wait_alu 0xfffe
	s_xor_b32 s64, exec_lo, s64
; %bb.76:                               ;   in Loop: Header=BB18_4 Depth=1
	s_and_b32 s22, s11, exec_lo
; %bb.77:                               ;   in Loop: Header=BB18_4 Depth=1
	s_wait_alu 0xfffe
	s_or_saveexec_b32 s64, s64
	v_dual_mov_b32 v11, 0 :: v_dual_mov_b32 v2, v197
	v_mov_b32_e32 v12, 0
	s_wait_alu 0xfffe
	s_xor_b32 exec_lo, exec_lo, s64
	s_cbranch_execz .LBB18_79
; %bb.78:                               ;   in Loop: Header=BB18_4 Depth=1
	ds_load_b128 v[9:12], v253 offset:528
	v_add_nc_u32_e32 v3, 32, v194
	s_or_b32 s22, s22, exec_lo
	s_delay_alu instid0(VALU_DEP_1)
	v_mov_b32_e32 v2, v3
	s_wait_dscnt 0x0
	v_xor_b32_e32 v12, 0x80000000, v12
	ds_store_b64 v3, v[9:10]
.LBB18_79:                              ;   in Loop: Header=BB18_4 Depth=1
	s_or_b32 exec_lo, exec_lo, s64
	s_wait_alu 0xfffe
	s_and_saveexec_b32 s64, s22
; %bb.80:                               ;   in Loop: Header=BB18_4 Depth=1
	ds_store_b64 v2, v[11:12] offset:8
; %bb.81:                               ;   in Loop: Header=BB18_4 Depth=1
	s_wait_alu 0xfffe
	s_or_b32 exec_lo, exec_lo, s64
	s_mov_b32 s22, 0
	s_and_saveexec_b32 s64, s12
	s_wait_alu 0xfffe
	s_xor_b32 s64, exec_lo, s64
; %bb.82:                               ;   in Loop: Header=BB18_4 Depth=1
	s_and_b32 s22, s13, exec_lo
; %bb.83:                               ;   in Loop: Header=BB18_4 Depth=1
	s_wait_alu 0xfffe
	s_or_saveexec_b32 s64, s64
	v_dual_mov_b32 v11, 0 :: v_dual_mov_b32 v2, v197
	v_mov_b32_e32 v12, 0
	s_wait_alu 0xfffe
	s_xor_b32 exec_lo, exec_lo, s64
	s_cbranch_execz .LBB18_85
; %bb.84:                               ;   in Loop: Header=BB18_4 Depth=1
	ds_load_b128 v[9:12], v253 offset:1056
	v_add_nc_u32_e32 v3, 48, v194
	s_or_b32 s22, s22, exec_lo
	s_delay_alu instid0(VALU_DEP_1)
	v_mov_b32_e32 v2, v3
	s_wait_dscnt 0x0
	v_xor_b32_e32 v12, 0x80000000, v12
	ds_store_b64 v3, v[9:10]
.LBB18_85:                              ;   in Loop: Header=BB18_4 Depth=1
	s_or_b32 exec_lo, exec_lo, s64
	s_wait_alu 0xfffe
	s_and_saveexec_b32 s64, s22
; %bb.86:                               ;   in Loop: Header=BB18_4 Depth=1
	ds_store_b64 v2, v[11:12] offset:8
; %bb.87:                               ;   in Loop: Header=BB18_4 Depth=1
	s_wait_alu 0xfffe
	s_or_b32 exec_lo, exec_lo, s64
	s_wait_loadcnt_dscnt 0x0
	s_barrier_signal -1
	s_barrier_wait -1
	global_inv scope:SCOPE_SE
	ds_load_b128 v[9:12], v252
	ds_load_b128 v[15:18], v198 offset:512
	ds_load_b128 v[19:22], v198 offset:528
	;; [unrolled: 1-line block ×3, first 2 shown]
	ds_load_b128 v[27:30], v253
	ds_load_b128 v[31:34], v253 offset:528
	s_wait_dscnt 0x4
	v_mul_f64_e32 v[2:3], v[17:18], v[11:12]
	v_mul_f64_e32 v[11:12], v[15:16], v[11:12]
	s_wait_dscnt 0x1
	v_mul_f64_e32 v[35:36], v[21:22], v[29:30]
	v_mul_f64_e32 v[29:30], v[19:20], v[29:30]
	s_delay_alu instid0(VALU_DEP_4) | instskip(NEXT) | instid1(VALU_DEP_4)
	v_fma_f64 v[2:3], v[15:16], v[9:10], -v[2:3]
	v_fma_f64 v[37:38], v[17:18], v[9:10], v[11:12]
	ds_load_b128 v[9:12], v198 offset:544
	ds_load_b128 v[15:18], v198 offset:560
	v_fma_f64 v[19:20], v[19:20], v[27:28], -v[35:36]
	v_fma_f64 v[21:22], v[21:22], v[27:28], v[29:30]
	s_wait_loadcnt_dscnt 0x0
	s_barrier_signal -1
	s_barrier_wait -1
	global_inv scope:SCOPE_SE
	v_mul_f64_e32 v[39:40], v[11:12], v[33:34]
	v_mul_f64_e32 v[33:34], v[9:10], v[33:34]
	;; [unrolled: 1-line block ×4, first 2 shown]
	v_add_f64_e32 v[2:3], 0, v[2:3]
	v_add_f64_e32 v[27:28], 0, v[37:38]
	v_fma_f64 v[9:10], v[9:10], v[31:32], -v[39:40]
	v_fma_f64 v[11:12], v[11:12], v[31:32], v[33:34]
	v_fma_f64 v[15:16], v[15:16], v[23:24], -v[29:30]
	v_fma_f64 v[17:18], v[17:18], v[23:24], v[25:26]
	v_add_f64_e32 v[2:3], v[2:3], v[19:20]
	v_add_f64_e32 v[19:20], v[27:28], v[21:22]
	s_delay_alu instid0(VALU_DEP_2) | instskip(NEXT) | instid1(VALU_DEP_2)
	v_add_f64_e32 v[2:3], v[2:3], v[9:10]
	v_add_f64_e32 v[11:12], v[19:20], v[11:12]
	s_delay_alu instid0(VALU_DEP_2) | instskip(NEXT) | instid1(VALU_DEP_2)
	v_add_f64_e32 v[9:10], v[2:3], v[15:16]
	v_add_f64_e32 v[11:12], v[11:12], v[17:18]
	ds_store_b128 v199, v[9:12]
	s_wait_loadcnt_dscnt 0x0
	s_barrier_signal -1
	s_barrier_wait -1
	global_inv scope:SCOPE_SE
	s_and_saveexec_b32 s22, s20
	s_cbranch_execz .LBB18_89
; %bb.88:                               ;   in Loop: Header=BB18_4 Depth=1
	ds_load_b128 v[2:5], v196
	ds_load_b128 v[6:9], v196 offset:16
	s_wait_dscnt 0x0
	v_add_f64_e32 v[10:11], v[6:7], v[2:3]
	v_add_f64_e32 v[15:16], v[8:9], v[4:5]
	ds_load_b128 v[2:5], v196 offset:32
	ds_load_b128 v[6:9], v196 offset:48
	s_wait_dscnt 0x1
	v_add_f64_e32 v[2:3], v[10:11], v[2:3]
	v_add_f64_e32 v[4:5], v[15:16], v[4:5]
	s_wait_dscnt 0x0
	s_delay_alu instid0(VALU_DEP_2) | instskip(NEXT) | instid1(VALU_DEP_2)
	v_add_f64_e32 v[10:11], v[2:3], v[6:7]
	v_add_f64_e32 v[15:16], v[4:5], v[8:9]
	ds_load_b128 v[2:5], v196 offset:64
	ds_load_b128 v[6:9], v196 offset:80
	s_wait_dscnt 0x1
	v_add_f64_e32 v[2:3], v[10:11], v[2:3]
	v_add_f64_e32 v[4:5], v[15:16], v[4:5]
	s_wait_dscnt 0x0
	s_delay_alu instid0(VALU_DEP_2) | instskip(NEXT) | instid1(VALU_DEP_2)
	;; [unrolled: 9-line block ×3, first 2 shown]
	v_add_f64_e32 v[5:6], v[2:3], v[6:7]
	v_add_f64_e32 v[7:8], v[10:11], v[8:9]
.LBB18_89:                              ;   in Loop: Header=BB18_4 Depth=1
	s_wait_alu 0xfffe
	s_or_b32 exec_lo, exec_lo, s22
	v_add_co_u32 v9, vcc_lo, 0xfffffe00, v13
	s_wait_alu 0xfffd
	v_add_co_ci_u32_e64 v10, null, -1, v14, vcc_lo
	s_and_b32 vcc_lo, exec_lo, s68
	s_mov_b32 s22, -1
	s_wait_loadcnt 0x0
	s_barrier_signal -1
	s_barrier_wait -1
	global_inv scope:SCOPE_SE
                                        ; implicit-def: $vgpr2_vgpr3
	s_wait_alu 0xfffe
	s_cbranch_vccz .LBB18_101
; %bb.90:                               ;   in Loop: Header=BB18_4 Depth=1
	s_and_saveexec_b32 s22, s16
	s_wait_alu 0xfffe
	s_xor_b32 s22, exec_lo, s22
; %bb.91:                               ;   in Loop: Header=BB18_4 Depth=1
	v_dual_mov_b32 v2, v1 :: v_dual_mov_b32 v3, v1
	v_mov_b32_e32 v4, v1
	ds_store_b128 v207, v[1:4]
; %bb.92:                               ;   in Loop: Header=BB18_4 Depth=1
	s_wait_alu 0xfffe
	s_or_saveexec_b32 s22, s22
	scratch_load_b64 v[2:3], off, off       ; 8-byte Folded Reload
	s_lshl_b64 s[64:65], s[30:31], 4
	s_wait_loadcnt 0x0
	v_add_co_u32 v2, vcc_lo, v13, v2
	s_wait_alu 0xfffd
	v_add_co_ci_u32_e64 v3, null, v14, v3, vcc_lo
	s_wait_alu 0xfffe
	s_delay_alu instid0(VALU_DEP_2) | instskip(SKIP_1) | instid1(VALU_DEP_2)
	v_add_co_u32 v2, vcc_lo, v2, s64
	s_wait_alu 0xfffd
	v_add_co_ci_u32_e64 v3, null, s65, v3, vcc_lo
	s_delay_alu instid0(VALU_DEP_2) | instskip(SKIP_1) | instid1(VALU_DEP_2)
	v_add_co_u32 v2, vcc_lo, 0xfffffdf0, v2
	s_wait_alu 0xfffd
	v_add_co_ci_u32_e64 v3, null, -1, v3, vcc_lo
	s_delay_alu instid0(VALU_DEP_2) | instskip(NEXT) | instid1(VALU_DEP_2)
	v_cndmask_b32_e64 v11, v2, v9, s1
	v_cndmask_b32_e64 v12, v3, v10, s1
	s_xor_b32 exec_lo, exec_lo, s22
	s_cbranch_execnz .LBB18_183
; %bb.93:                               ;   in Loop: Header=BB18_4 Depth=1
	s_or_b32 exec_lo, exec_lo, s22
	s_and_saveexec_b32 s22, s17
	s_wait_alu 0xfffe
	s_xor_b32 s22, exec_lo, s22
	s_cbranch_execnz .LBB18_184
.LBB18_94:                              ;   in Loop: Header=BB18_4 Depth=1
	s_wait_alu 0xfffe
	s_and_not1_saveexec_b32 s22, s22
	s_cbranch_execnz .LBB18_185
.LBB18_95:                              ;   in Loop: Header=BB18_4 Depth=1
	s_wait_alu 0xfffe
	s_or_b32 exec_lo, exec_lo, s22
	s_and_saveexec_b32 s22, s18
	s_wait_alu 0xfffe
	s_xor_b32 s22, exec_lo, s22
	s_cbranch_execnz .LBB18_186
.LBB18_96:                              ;   in Loop: Header=BB18_4 Depth=1
	s_wait_alu 0xfffe
	s_and_not1_saveexec_b32 s22, s22
	s_cbranch_execnz .LBB18_187
.LBB18_97:                              ;   in Loop: Header=BB18_4 Depth=1
	s_wait_alu 0xfffe
	s_or_b32 exec_lo, exec_lo, s22
	s_and_saveexec_b32 s22, s19
	s_wait_alu 0xfffe
	s_xor_b32 s22, exec_lo, s22
	s_cbranch_execnz .LBB18_188
.LBB18_98:                              ;   in Loop: Header=BB18_4 Depth=1
	s_wait_alu 0xfffe
	s_and_not1_saveexec_b32 s22, s22
	s_cbranch_execz .LBB18_100
.LBB18_99:                              ;   in Loop: Header=BB18_4 Depth=1
	s_lshl_b64 s[64:65], s[50:51], 4
	s_wait_alu 0xfffe
	v_add_co_u32 v2, vcc_lo, v11, s64
	s_wait_alu 0xfffd
	v_add_co_ci_u32_e64 v3, null, s65, v12, vcc_lo
	global_load_b128 v[15:18], v[2:3], off
	v_add_nc_u32_e32 v2, 0x3180, v207
	s_wait_loadcnt 0x0
	ds_store_2addr_b64 v2, v[15:16], v[17:18] offset1:1
.LBB18_100:                             ;   in Loop: Header=BB18_4 Depth=1
	s_wait_alu 0xfffe
	s_or_b32 exec_lo, exec_lo, s22
	v_add_co_u32 v2, vcc_lo, v11, v251
	s_wait_alu 0xfffd
	v_add_co_ci_u32_e64 v3, null, 0, v12, vcc_lo
	s_lshl_b64 s[64:65], s[52:53], 4
	s_mov_b32 s22, 0
	s_wait_alu 0xfffe
	v_add_co_u32 v2, vcc_lo, v2, s64
	s_wait_alu 0xfffd
	v_add_co_ci_u32_e64 v3, null, s65, v3, vcc_lo
	s_delay_alu instid0(VALU_DEP_2) | instskip(SKIP_1) | instid1(VALU_DEP_2)
	v_add_co_u32 v2, vcc_lo, v2, 16
	s_wait_alu 0xfffd
	v_add_co_ci_u32_e64 v3, null, 0, v3, vcc_lo
	s_delay_alu instid0(VALU_DEP_2) | instskip(NEXT) | instid1(VALU_DEP_2)
	v_cndmask_b32_e64 v2, v2, v9, s1
	v_cndmask_b32_e64 v3, v3, v10, s1
.LBB18_101:                             ;   in Loop: Header=BB18_4 Depth=1
	s_and_b32 vcc_lo, exec_lo, s22
	s_wait_alu 0xfffe
	s_cbranch_vccz .LBB18_103
; %bb.102:                              ;   in Loop: Header=BB18_4 Depth=1
	s_lshl_b64 s[64:65], s[46:47], 4
	v_add_nc_u32_e32 v4, 0x1080, v207
	s_wait_alu 0xfffe
	v_add_co_u32 v2, vcc_lo, v13, s64
	s_wait_alu 0xfffd
	v_add_co_ci_u32_e64 v3, null, s65, v14, vcc_lo
	s_delay_alu instid0(VALU_DEP_2) | instskip(SKIP_1) | instid1(VALU_DEP_2)
	v_add_co_u32 v19, vcc_lo, v2, s54
	s_wait_alu 0xfffd
	v_add_co_ci_u32_e64 v20, null, s55, v3, vcc_lo
	s_delay_alu instid0(VALU_DEP_2) | instskip(SKIP_1) | instid1(VALU_DEP_2)
	v_add_co_u32 v23, vcc_lo, v19, s54
	s_wait_alu 0xfffd
	v_add_co_ci_u32_e64 v24, null, s55, v20, vcc_lo
	s_clause 0x3
	global_load_b128 v[11:14], v[9:10], off
	global_load_b128 v[15:18], v[2:3], off offset:-512
	global_load_b128 v[19:22], v[19:20], off offset:-512
	;; [unrolled: 1-line block ×3, first 2 shown]
	v_dual_mov_b32 v2, v9 :: v_dual_mov_b32 v3, v10
	s_wait_loadcnt 0x3
	ds_store_2addr_b64 v207, v[11:12], v[13:14] offset1:1
	s_wait_loadcnt 0x2
	ds_store_2addr_b64 v4, v[15:16], v[17:18] offset1:1
	v_add_nc_u32_e32 v4, 0x2100, v207
	s_wait_loadcnt 0x1
	ds_store_2addr_b64 v4, v[19:20], v[21:22] offset1:1
	v_add_nc_u32_e32 v4, 0x3180, v207
	s_wait_loadcnt 0x0
	ds_store_2addr_b64 v4, v[23:24], v[25:26] offset1:1
.LBB18_103:                             ;   in Loop: Header=BB18_4 Depth=1
	v_add_nc_u32_e32 v4, v194, v201
	v_add_nc_u32_e32 v13, v198, v201
	s_wait_loadcnt_dscnt 0x0
	s_barrier_signal -1
	s_barrier_wait -1
	global_inv scope:SCOPE_SE
	ds_load_b128 v[9:12], v4
	ds_load_b128 v[13:16], v13
	ds_load_b128 v[17:20], v208 offset:128
	ds_load_b128 v[21:24], v199 offset:128
	;; [unrolled: 1-line block ×4, first 2 shown]
	s_wait_dscnt 0x2
	v_mul_f64_e32 v[35:36], v[23:24], v[19:20]
	v_mul_f64_e32 v[33:34], v[11:12], v[15:16]
	v_mul_f64_e32 v[11:12], v[11:12], v[13:14]
	v_mul_f64_e32 v[23:24], v[23:24], v[17:18]
	s_delay_alu instid0(VALU_DEP_4) | instskip(NEXT) | instid1(VALU_DEP_4)
	v_fma_f64 v[17:18], v[21:22], v[17:18], v[35:36]
	v_fma_f64 v[33:34], v[9:10], v[13:14], v[33:34]
	s_delay_alu instid0(VALU_DEP_4)
	v_fma_f64 v[37:38], v[9:10], v[15:16], -v[11:12]
	ds_load_b128 v[9:12], v208 offset:256
	ds_load_b128 v[13:16], v208 offset:384
	v_fma_f64 v[19:20], v[21:22], v[19:20], -v[23:24]
	s_wait_dscnt 0x1
	v_mul_f64_e32 v[39:40], v[27:28], v[11:12]
	v_mul_f64_e32 v[27:28], v[27:28], v[9:10]
	v_add_f64_e32 v[21:22], 0, v[33:34]
	v_add_f64_e32 v[23:24], 0, v[37:38]
	s_wait_dscnt 0x0
	v_mul_f64_e32 v[33:34], v[31:32], v[15:16]
	v_mul_f64_e32 v[31:32], v[31:32], v[13:14]
	v_fma_f64 v[9:10], v[25:26], v[9:10], v[39:40]
	v_fma_f64 v[11:12], v[25:26], v[11:12], -v[27:28]
	v_add_f64_e32 v[17:18], v[21:22], v[17:18]
	v_add_f64_e32 v[19:20], v[23:24], v[19:20]
	v_fma_f64 v[13:14], v[29:30], v[13:14], v[33:34]
	v_fma_f64 v[15:16], v[29:30], v[15:16], -v[31:32]
	s_delay_alu instid0(VALU_DEP_4) | instskip(NEXT) | instid1(VALU_DEP_4)
	v_add_f64_e32 v[9:10], v[17:18], v[9:10]
	v_add_f64_e32 v[11:12], v[19:20], v[11:12]
	s_delay_alu instid0(VALU_DEP_2) | instskip(NEXT) | instid1(VALU_DEP_2)
	v_add_f64_e32 v[43:44], v[9:10], v[13:14]
	v_add_f64_e32 v[45:46], v[11:12], v[15:16]
	ds_load_b128 v[33:36], v198 offset:512
	ds_load_b128 v[25:28], v198 offset:528
	;; [unrolled: 1-line block ×4, first 2 shown]
	ds_load_b128 v[29:32], v253
	ds_load_b128 v[21:24], v253 offset:528
	ds_load_b128 v[37:40], v252
	ds_load_b128 v[17:20], v253 offset:1056
	s_wait_loadcnt_dscnt 0x0
	s_barrier_signal -1
	s_barrier_wait -1
	global_inv scope:SCOPE_SE
	ds_store_b128 v199, v[43:46]
	s_wait_loadcnt_dscnt 0x0
	s_barrier_signal -1
	s_barrier_wait -1
	global_inv scope:SCOPE_SE
	s_and_saveexec_b32 s22, s20
	s_cbranch_execz .LBB18_105
; %bb.104:                              ;   in Loop: Header=BB18_4 Depth=1
	ds_load_b128 v[43:46], v196
	ds_load_b128 v[47:50], v196 offset:16
	s_wait_dscnt 0x1
	v_add_f64_e32 v[4:5], v[5:6], v[43:44]
	v_add_f64_e32 v[6:7], v[7:8], v[45:46]
	s_wait_dscnt 0x0
	s_delay_alu instid0(VALU_DEP_2) | instskip(NEXT) | instid1(VALU_DEP_2)
	v_add_f64_e32 v[47:48], v[4:5], v[47:48]
	v_add_f64_e32 v[49:50], v[6:7], v[49:50]
	ds_load_b128 v[4:7], v196 offset:32
	ds_load_b128 v[43:46], v196 offset:48
	s_wait_dscnt 0x1
	v_add_f64_e32 v[4:5], v[47:48], v[4:5]
	v_add_f64_e32 v[6:7], v[49:50], v[6:7]
	s_wait_dscnt 0x0
	s_delay_alu instid0(VALU_DEP_2) | instskip(NEXT) | instid1(VALU_DEP_2)
	v_add_f64_e32 v[47:48], v[4:5], v[43:44]
	v_add_f64_e32 v[49:50], v[6:7], v[45:46]
	ds_load_b128 v[4:7], v196 offset:64
	;; [unrolled: 9-line block ×3, first 2 shown]
	ds_load_b128 v[43:46], v196 offset:112
	s_wait_dscnt 0x1
	v_add_f64_e32 v[4:5], v[47:48], v[4:5]
	v_add_f64_e32 v[7:8], v[49:50], v[6:7]
	s_wait_dscnt 0x0
	s_delay_alu instid0(VALU_DEP_2) | instskip(NEXT) | instid1(VALU_DEP_2)
	v_add_f64_e32 v[5:6], v[4:5], v[43:44]
	v_add_f64_e32 v[7:8], v[7:8], v[45:46]
.LBB18_105:                             ;   in Loop: Header=BB18_4 Depth=1
	s_wait_alu 0xfffe
	s_or_b32 exec_lo, exec_lo, s22
	v_mul_f64_e32 v[43:44], v[35:36], v[39:40]
	v_mul_f64_e32 v[39:40], v[33:34], v[39:40]
	;; [unrolled: 1-line block ×4, first 2 shown]
	s_wait_loadcnt 0x0
	s_barrier_signal -1
	s_barrier_wait -1
	global_inv scope:SCOPE_SE
	v_fma_f64 v[33:34], v[33:34], v[37:38], -v[43:44]
	v_fma_f64 v[35:36], v[35:36], v[37:38], v[39:40]
	v_mul_f64_e32 v[37:38], v[15:16], v[23:24]
	v_mul_f64_e32 v[23:24], v[13:14], v[23:24]
	v_fma_f64 v[25:26], v[25:26], v[29:30], -v[45:46]
	v_fma_f64 v[27:28], v[27:28], v[29:30], v[31:32]
	v_add_f64_e32 v[29:30], 0, v[33:34]
	v_add_f64_e32 v[31:32], 0, v[35:36]
	v_mul_f64_e32 v[33:34], v[11:12], v[19:20]
	v_mul_f64_e32 v[19:20], v[9:10], v[19:20]
	v_fma_f64 v[13:14], v[13:14], v[21:22], -v[37:38]
	v_fma_f64 v[15:16], v[15:16], v[21:22], v[23:24]
	v_add_f64_e32 v[21:22], v[29:30], v[25:26]
	v_add_f64_e32 v[23:24], v[31:32], v[27:28]
	v_fma_f64 v[9:10], v[9:10], v[17:18], -v[33:34]
	v_fma_f64 v[11:12], v[11:12], v[17:18], v[19:20]
	s_delay_alu instid0(VALU_DEP_4) | instskip(NEXT) | instid1(VALU_DEP_4)
	v_add_f64_e32 v[13:14], v[21:22], v[13:14]
	v_add_f64_e32 v[15:16], v[23:24], v[15:16]
	s_delay_alu instid0(VALU_DEP_2) | instskip(NEXT) | instid1(VALU_DEP_2)
	v_add_f64_e32 v[9:10], v[13:14], v[9:10]
	v_add_f64_e32 v[11:12], v[15:16], v[11:12]
	ds_store_b128 v199, v[9:12]
	s_wait_loadcnt_dscnt 0x0
	s_barrier_signal -1
	s_barrier_wait -1
	global_inv scope:SCOPE_SE
	s_and_saveexec_b32 s22, s14
	s_cbranch_execz .LBB18_107
; %bb.106:                              ;   in Loop: Header=BB18_4 Depth=1
	ds_load_b128 v[9:12], v196
	ds_load_b128 v[13:16], v196 offset:16
	s_wait_dscnt 0x1
	v_add_f64_e32 v[4:5], v[5:6], v[9:10]
	v_add_f64_e32 v[6:7], v[7:8], v[11:12]
	s_wait_dscnt 0x0
	s_delay_alu instid0(VALU_DEP_2) | instskip(NEXT) | instid1(VALU_DEP_2)
	v_add_f64_e32 v[12:13], v[4:5], v[13:14]
	v_add_f64_e32 v[14:15], v[6:7], v[15:16]
	ds_load_b128 v[4:7], v196 offset:32
	ds_load_b128 v[8:11], v196 offset:48
	s_wait_dscnt 0x1
	v_add_f64_e32 v[4:5], v[12:13], v[4:5]
	v_add_f64_e32 v[6:7], v[14:15], v[6:7]
	s_wait_dscnt 0x0
	s_delay_alu instid0(VALU_DEP_2) | instskip(NEXT) | instid1(VALU_DEP_2)
	v_add_f64_e32 v[12:13], v[4:5], v[8:9]
	v_add_f64_e32 v[14:15], v[6:7], v[10:11]
	ds_load_b128 v[4:7], v196 offset:64
	;; [unrolled: 9-line block ×3, first 2 shown]
	ds_load_b128 v[8:11], v196 offset:112
	s_wait_dscnt 0x1
	v_add_f64_e32 v[4:5], v[12:13], v[4:5]
	v_add_f64_e32 v[12:13], v[14:15], v[6:7]
	s_wait_dscnt 0x0
	s_delay_alu instid0(VALU_DEP_2) | instskip(NEXT) | instid1(VALU_DEP_2)
	v_add_f64_e32 v[5:6], v[4:5], v[8:9]
	v_add_f64_e32 v[7:8], v[12:13], v[10:11]
.LBB18_107:                             ;   in Loop: Header=BB18_4 Depth=1
	s_wait_alu 0xfffe
	s_or_b32 exec_lo, exec_lo, s22
	s_mul_u64 s[64:65], s[28:29], s[34:35]
	s_and_not1_b32 vcc_lo, exec_lo, s49
	s_wait_alu 0xfffe
	s_lshl_b64 s[64:65], s[64:65], 4
	s_wait_loadcnt 0x0
	s_wait_alu 0xfffe
	s_add_nc_u64 s[64:65], s[42:43], s[64:65]
	s_barrier_signal -1
	s_barrier_wait -1
	global_inv scope:SCOPE_SE
	s_cbranch_vccnz .LBB18_165
; %bb.108:                              ;   in Loop: Header=BB18_4 Depth=1
	scratch_load_b32 v4, off, off offset:44 ; 4-byte Folded Reload
	v_add_co_u32 v254, vcc_lo, v41, s62
	s_wait_alu 0xfffd
	v_add_co_ci_u32_e64 v255, null, s63, v42, vcc_lo
	s_mov_b32 s74, ttmp9
	s_mov_b32 s66, s73
	s_clause 0x1
	scratch_load_b64 v[9:10], off, off offset:32
	scratch_load_b32 v180, off, off offset:28
	s_wait_loadcnt 0x2
	v_add_co_u32 v209, vcc_lo, v2, v4
	scratch_load_b32 v4, off, off offset:40 ; 4-byte Folded Reload
	s_wait_loadcnt 0x0
	s_wait_alu 0xfffd
	v_add_co_ci_u32_e64 v212, null, v3, v4, vcc_lo
	scratch_load_b32 v4, off, off offset:48 ; 4-byte Folded Reload
	s_wait_loadcnt 0x0
	v_add_co_u32 v213, vcc_lo, v2, v4
	scratch_load_b32 v4, off, off offset:52 ; 4-byte Folded Reload
	s_wait_loadcnt 0x0
	s_wait_alu 0xfffd
	v_add_co_ci_u32_e64 v214, null, v3, v4, vcc_lo
	scratch_load_b32 v4, off, off offset:56 ; 4-byte Folded Reload
	s_wait_loadcnt 0x0
	v_add_co_u32 v215, vcc_lo, v2, v4
	scratch_load_b32 v4, off, off offset:60 ; 4-byte Folded Reload
	s_wait_loadcnt 0x0
	s_wait_alu 0xfffd
	v_add_co_ci_u32_e64 v216, null, v3, v4, vcc_lo
	scratch_load_b32 v4, off, off offset:68 ; 4-byte Folded Reload
	s_wait_loadcnt 0x0
	v_add_co_u32 v217, vcc_lo, v2, v4
	scratch_load_b32 v4, off, off offset:64 ; 4-byte Folded Reload
	s_wait_loadcnt 0x0
	s_wait_alu 0xfffd
	v_add_co_ci_u32_e64 v218, null, v3, v4, vcc_lo
	scratch_load_b32 v4, off, off offset:76 ; 4-byte Folded Reload
	s_wait_loadcnt 0x0
	v_add_co_u32 v219, vcc_lo, v2, v4
	scratch_load_b32 v4, off, off offset:72 ; 4-byte Folded Reload
	s_wait_loadcnt 0x0
	s_wait_alu 0xfffd
	v_add_co_ci_u32_e64 v220, null, v3, v4, vcc_lo
	scratch_load_b32 v4, off, off offset:80 ; 4-byte Folded Reload
	s_wait_loadcnt 0x0
	v_add_co_u32 v221, vcc_lo, v2, v4
	scratch_load_b32 v4, off, off offset:84 ; 4-byte Folded Reload
	s_wait_loadcnt 0x0
	s_wait_alu 0xfffd
	v_add_co_ci_u32_e64 v222, null, v3, v4, vcc_lo
	scratch_load_b32 v4, off, off offset:92 ; 4-byte Folded Reload
	s_wait_loadcnt 0x0
	v_add_co_u32 v223, vcc_lo, v2, v4
	scratch_load_b32 v4, off, off offset:88 ; 4-byte Folded Reload
	s_wait_loadcnt 0x0
	s_wait_alu 0xfffd
	v_add_co_ci_u32_e64 v224, null, v3, v4, vcc_lo
	scratch_load_b32 v4, off, off offset:96 ; 4-byte Folded Reload
	s_wait_loadcnt 0x0
	v_add_co_u32 v225, vcc_lo, v2, v4
	scratch_load_b32 v4, off, off offset:100 ; 4-byte Folded Reload
	s_wait_loadcnt 0x0
	s_wait_alu 0xfffd
	v_add_co_ci_u32_e64 v226, null, v3, v4, vcc_lo
	scratch_load_b32 v4, off, off offset:108 ; 4-byte Folded Reload
	s_wait_loadcnt 0x0
	v_add_co_u32 v227, vcc_lo, v2, v4
	scratch_load_b32 v4, off, off offset:104 ; 4-byte Folded Reload
	s_wait_loadcnt 0x0
	s_wait_alu 0xfffd
	v_add_co_ci_u32_e64 v228, null, v3, v4, vcc_lo
	scratch_load_b32 v4, off, off offset:116 ; 4-byte Folded Reload
	v_add_co_u32 v229, vcc_lo, v2, v9
	s_wait_alu 0xfffd
	v_add_co_ci_u32_e64 v230, null, v3, v10, vcc_lo
	s_wait_loadcnt 0x0
	v_add_co_u32 v231, vcc_lo, v2, v4
	scratch_load_b32 v4, off, off offset:112 ; 4-byte Folded Reload
	s_wait_loadcnt 0x0
	s_wait_alu 0xfffd
	v_add_co_ci_u32_e64 v232, null, v3, v4, vcc_lo
	scratch_load_b32 v4, off, off offset:120 ; 4-byte Folded Reload
	s_wait_loadcnt 0x0
	v_add_co_u32 v233, vcc_lo, v2, v4
	scratch_load_b32 v4, off, off offset:124 ; 4-byte Folded Reload
	s_wait_loadcnt 0x0
	s_wait_alu 0xfffd
	v_add_co_ci_u32_e64 v234, null, v3, v4, vcc_lo
	scratch_load_b32 v4, off, off offset:132 ; 4-byte Folded Reload
	;; [unrolled: 7-line block ×9, first 2 shown]
	s_wait_loadcnt 0x0
	v_add_co_u32 v249, vcc_lo, v2, v4
	scratch_load_b32 v2, off, off offset:184 ; 4-byte Folded Reload
	s_wait_loadcnt 0x0
	s_wait_alu 0xfffd
	v_add_co_ci_u32_e64 v195, null, v3, v2, vcc_lo
	s_wait_alu 0xfffe
	s_cmp_eq_u32 s70, s74
	s_cselect_b32 s75, s33, 0
	s_and_saveexec_b32 s22, s0
	s_cbranch_execz .LBB18_113
.LBB18_109:                             ;   in Loop: Header=BB18_4 Depth=1
	s_wait_alu 0xfffe
	v_cmp_le_i32_e32 vcc_lo, s75, v173
	s_cmp_lg_u32 s75, 0
	s_cselect_b32 s67, -1, 0
	s_wait_alu 0xfffe
	s_and_b32 s67, s67, vcc_lo
	s_wait_alu 0xfffe
	s_and_saveexec_b32 s76, s67
	s_wait_alu 0xfffe
	s_xor_b32 s67, exec_lo, s76
; %bb.110:                              ;   in Loop: Header=BB18_4 Depth=1
	v_dual_mov_b32 v2, v1 :: v_dual_mov_b32 v3, v1
	v_mov_b32_e32 v4, v1
	ds_store_b128 v202, v[1:4]
; %bb.111:                              ;   in Loop: Header=BB18_4 Depth=1
	s_wait_alu 0xfffe
	s_and_not1_saveexec_b32 s67, s67
	s_cbranch_execz .LBB18_113
; %bb.112:                              ;   in Loop: Header=BB18_4 Depth=1
	s_ashr_i32 s67, s66, 31
	s_wait_alu 0xfffe
	s_lshl_b64 s[76:77], s[66:67], 4
	s_wait_alu 0xfffe
	v_add_co_u32 v2, vcc_lo, v254, s76
	s_wait_alu 0xfffd
	v_add_co_ci_u32_e64 v3, null, s77, v255, vcc_lo
	global_load_b128 v[9:12], v[2:3], off
	s_wait_loadcnt 0x0
	ds_store_2addr_b64 v202, v[9:10], v[11:12] offset1:1
.LBB18_113:                             ;   Parent Loop BB18_4 Depth=1
                                        ; =>  This Inner Loop Header: Depth=2
	s_wait_alu 0xfffe
	s_or_b32 exec_lo, exec_lo, s22
	s_cmp_eq_u32 s75, 0
	v_add_co_u32 v2, vcc_lo, v209, v210
	s_cselect_b32 s67, -1, 0
	s_cmp_lg_u32 s75, 0
	s_wait_alu 0xfffd
	v_add_co_ci_u32_e64 v3, null, v212, v211, vcc_lo
	s_cselect_b32 s22, -1, 0
	s_wait_dscnt 0x0
	s_wait_alu 0xfffe
	s_and_b32 vcc_lo, exec_lo, s22
	s_barrier_signal -1
	s_barrier_wait -1
	global_inv scope:SCOPE_SE
	s_wait_alu 0xfffe
	s_cbranch_vccz .LBB18_121
; %bb.114:                              ;   in Loop: Header=BB18_113 Depth=2
	v_mov_b32_e32 v9, 0
	v_dual_mov_b32 v10, 0 :: v_dual_mov_b32 v13, 0
	v_dual_mov_b32 v15, 0 :: v_dual_mov_b32 v14, 0
	v_mov_b32_e32 v16, 0
	s_mov_b32 s76, exec_lo
	v_cmpx_gt_i32_e64 s75, v200
	s_cbranch_execz .LBB18_116
; %bb.115:                              ;   in Loop: Header=BB18_113 Depth=2
	global_load_b128 v[13:16], v[2:3], off offset:-8
.LBB18_116:                             ;   in Loop: Header=BB18_113 Depth=2
	s_wait_alu 0xfffe
	s_or_b32 exec_lo, exec_lo, s76
	v_mov_b32_e32 v11, 0
	v_or_b32_e32 v4, 1, v200
	v_mov_b32_e32 v12, 0
	s_mov_b32 s76, exec_lo
	s_delay_alu instid0(VALU_DEP_2)
	v_cmpx_gt_i32_e64 s75, v4
	s_cbranch_execz .LBB18_118
; %bb.117:                              ;   in Loop: Header=BB18_113 Depth=2
	v_add_co_u32 v9, vcc_lo, v219, v210
	s_wait_alu 0xfffd
	v_add_co_ci_u32_e64 v10, null, v220, v211, vcc_lo
	global_load_b128 v[9:12], v[9:10], off offset:-8
.LBB18_118:                             ;   in Loop: Header=BB18_113 Depth=2
	s_wait_alu 0xfffe
	s_or_b32 exec_lo, exec_lo, s76
	v_mov_b32_e32 v17, 0
	v_dual_mov_b32 v18, 0 :: v_dual_mov_b32 v19, 0
	v_or_b32_e32 v4, 2, v200
	v_mov_b32_e32 v20, 0
	s_mov_b32 s76, exec_lo
	s_delay_alu instid0(VALU_DEP_2)
	v_cmpx_gt_i32_e64 s75, v4
	s_cbranch_execz .LBB18_120
; %bb.119:                              ;   in Loop: Header=BB18_113 Depth=2
	v_add_co_u32 v17, vcc_lo, v223, v210
	s_wait_alu 0xfffd
	v_add_co_ci_u32_e64 v18, null, v224, v211, vcc_lo
	global_load_b128 v[17:20], v[17:18], off offset:-8
.LBB18_120:                             ;   in Loop: Header=BB18_113 Depth=2
	s_wait_alu 0xfffe
	s_or_b32 exec_lo, exec_lo, s76
	v_or_b32_e32 v4, 3, v200
	s_delay_alu instid0(VALU_DEP_1)
	v_cmp_gt_i32_e64 s76, s75, v4
	s_branch .LBB18_123
.LBB18_121:                             ;   in Loop: Header=BB18_113 Depth=2
	s_mov_b32 s76, 0
                                        ; implicit-def: $vgpr19_vgpr20
                                        ; implicit-def: $vgpr11_vgpr12
                                        ; implicit-def: $vgpr15_vgpr16
	s_cbranch_execz .LBB18_123
; %bb.122:                              ;   in Loop: Header=BB18_113 Depth=2
	s_wait_loadcnt 0x0
	v_add_co_u32 v9, vcc_lo, v219, v210
	s_wait_alu 0xfffd
	v_add_co_ci_u32_e64 v10, null, v220, v211, vcc_lo
	v_add_co_u32 v17, vcc_lo, v215, v210
	s_wait_alu 0xfffd
	v_add_co_ci_u32_e64 v18, null, v216, v211, vcc_lo
	global_load_b128 v[13:16], v[2:3], off offset:-8
	global_load_b128 v[9:12], v[9:10], off offset:-8
	global_load_b128 v[17:20], v[17:18], off
	s_wait_alu 0xfffe
	s_or_b32 s76, s76, exec_lo
.LBB18_123:                             ;   in Loop: Header=BB18_113 Depth=2
	v_mov_b32_e32 v21, 0
	v_dual_mov_b32 v22, 0 :: v_dual_mov_b32 v23, 0
	v_mov_b32_e32 v24, 0
	s_wait_alu 0xfffe
	s_and_saveexec_b32 s77, s76
	s_cbranch_execz .LBB18_125
; %bb.124:                              ;   in Loop: Header=BB18_113 Depth=2
	v_add_co_u32 v2, vcc_lo, v227, v210
	s_wait_alu 0xfffd
	v_add_co_ci_u32_e64 v3, null, v228, v211, vcc_lo
	global_load_b128 v[21:24], v[2:3], off offset:-8
.LBB18_125:                             ;   in Loop: Header=BB18_113 Depth=2
	s_wait_alu 0xfffe
	s_or_b32 exec_lo, exec_lo, s77
	ds_load_b128 v[29:32], v185
	ds_load_b128 v[25:28], v0
	v_cndmask_b32_e64 v4, 0, 1, s22
	s_wait_loadcnt_dscnt 0x1
	v_mul_f64_e32 v[2:3], v[15:16], v[31:32]
	v_mul_f64_e32 v[33:34], v[15:16], v[29:30]
	;; [unrolled: 1-line block ×8, first 2 shown]
	v_fma_f64 v[41:42], v[13:14], v[29:30], v[2:3]
	v_fma_f64 v[43:44], v[13:14], v[31:32], -v[33:34]
	v_fma_f64 v[45:46], v[9:10], v[29:30], v[35:36]
	v_fma_f64 v[47:48], v[9:10], v[31:32], -v[37:38]
	;; [unrolled: 2-line block ×4, first 2 shown]
	ds_load_b128 v[37:40], v0 offset:16
	ds_load_b128 v[33:36], v0 offset:32
	;; [unrolled: 1-line block ×3, first 2 shown]
	v_add_co_u32 v2, vcc_lo, v231, v210
	s_wait_alu 0xfffd
	v_add_co_ci_u32_e64 v3, null, v232, v211, vcc_lo
	s_and_not1_b32 vcc_lo, exec_lo, s22
	ds_store_b128 v203, v[41:44]
	ds_store_b128 v203, v[45:48] offset:1072
	ds_store_b128 v203, v[49:52] offset:2144
	;; [unrolled: 1-line block ×3, first 2 shown]
	s_wait_dscnt 0x0
	s_barrier_signal -1
	s_barrier_wait -1
	global_inv scope:SCOPE_SE
	ds_load_b128 v[97:100], v204
	ds_load_b128 v[93:96], v204 offset:16
	ds_load_b128 v[89:92], v204 offset:32
	;; [unrolled: 1-line block ×3, first 2 shown]
	s_wait_loadcnt_dscnt 0x0
	s_barrier_signal -1
	s_barrier_wait -1
	global_inv scope:SCOPE_SE
	s_wait_alu 0xfffe
	s_cbranch_vccnz .LBB18_133
; %bb.126:                              ;   in Loop: Header=BB18_113 Depth=2
	v_mov_b32_e32 v41, 0
	v_mov_b32_e32 v45, 0
	;; [unrolled: 1-line block ×3, first 2 shown]
	v_dual_mov_b32 v42, 0 :: v_dual_add_nc_u32 v43, 16, v200
	v_mov_b32_e32 v46, 0
	v_mov_b32_e32 v48, 0
	s_mov_b32 s22, exec_lo
	s_delay_alu instid0(VALU_DEP_3)
	v_cmpx_gt_i32_e64 s75, v43
	s_cbranch_execz .LBB18_128
; %bb.127:                              ;   in Loop: Header=BB18_113 Depth=2
	global_load_b128 v[45:48], v[2:3], off offset:-8
.LBB18_128:                             ;   in Loop: Header=BB18_113 Depth=2
	s_wait_alu 0xfffe
	s_or_b32 exec_lo, exec_lo, s22
	v_mov_b32_e32 v43, 0
	v_dual_mov_b32 v44, 0 :: v_dual_add_nc_u32 v49, 17, v200
	s_mov_b32 s22, exec_lo
	s_delay_alu instid0(VALU_DEP_1)
	v_cmpx_gt_i32_e64 s75, v49
	s_cbranch_execz .LBB18_130
; %bb.129:                              ;   in Loop: Header=BB18_113 Depth=2
	v_add_co_u32 v41, vcc_lo, v235, v210
	s_wait_alu 0xfffd
	v_add_co_ci_u32_e64 v42, null, v236, v211, vcc_lo
	global_load_b128 v[41:44], v[41:42], off offset:-8
.LBB18_130:                             ;   in Loop: Header=BB18_113 Depth=2
	s_wait_alu 0xfffe
	s_or_b32 exec_lo, exec_lo, s22
	v_mov_b32_e32 v49, 0
	v_mov_b32_e32 v51, 0
	v_dual_mov_b32 v50, 0 :: v_dual_add_nc_u32 v53, 18, v200
	v_mov_b32_e32 v52, 0
	s_mov_b32 s22, exec_lo
	s_delay_alu instid0(VALU_DEP_2)
	v_cmpx_gt_i32_e64 s75, v53
	s_cbranch_execz .LBB18_132
; %bb.131:                              ;   in Loop: Header=BB18_113 Depth=2
	v_add_co_u32 v49, vcc_lo, v239, v210
	s_wait_alu 0xfffd
	v_add_co_ci_u32_e64 v50, null, v240, v211, vcc_lo
	global_load_b128 v[49:52], v[49:50], off offset:-8
.LBB18_132:                             ;   in Loop: Header=BB18_113 Depth=2
	s_wait_alu 0xfffe
	s_or_b32 exec_lo, exec_lo, s22
	v_add_nc_u32_e32 v53, 19, v200
	s_delay_alu instid0(VALU_DEP_1)
	v_cmp_gt_i32_e64 s22, s75, v53
	s_branch .LBB18_135
.LBB18_133:                             ;   in Loop: Header=BB18_113 Depth=2
	s_mov_b32 s22, 0
                                        ; implicit-def: $vgpr51_vgpr52
                                        ; implicit-def: $vgpr43_vgpr44
                                        ; implicit-def: $vgpr47_vgpr48
	s_cbranch_execz .LBB18_135
; %bb.134:                              ;   in Loop: Header=BB18_113 Depth=2
	s_wait_loadcnt 0x0
	v_add_co_u32 v41, vcc_lo, v235, v210
	s_wait_alu 0xfffd
	v_add_co_ci_u32_e64 v42, null, v236, v211, vcc_lo
	v_add_co_u32 v49, vcc_lo, v243, v210
	s_wait_alu 0xfffd
	v_add_co_ci_u32_e64 v50, null, v244, v211, vcc_lo
	global_load_b128 v[45:48], v[2:3], off offset:-8
	global_load_b128 v[41:44], v[41:42], off offset:-8
	global_load_b128 v[49:52], v[49:50], off
	s_wait_alu 0xfffe
	s_or_b32 s22, s22, exec_lo
.LBB18_135:                             ;   in Loop: Header=BB18_113 Depth=2
	v_mov_b32_e32 v53, 0
	v_dual_mov_b32 v54, 0 :: v_dual_mov_b32 v55, 0
	v_mov_b32_e32 v56, 0
	s_wait_alu 0xfffe
	s_and_saveexec_b32 s76, s22
	s_cbranch_execz .LBB18_137
; %bb.136:                              ;   in Loop: Header=BB18_113 Depth=2
	v_add_co_u32 v2, vcc_lo, v247, v210
	s_wait_alu 0xfffd
	v_add_co_ci_u32_e64 v3, null, v248, v211, vcc_lo
	global_load_b128 v[53:56], v[2:3], off offset:-8
.LBB18_137:                             ;   in Loop: Header=BB18_113 Depth=2
	s_wait_alu 0xfffe
	s_or_b32 exec_lo, exec_lo, s76
	ds_load_b128 v[61:64], v185
	ds_load_b128 v[57:60], v0 offset:256
	v_cmp_ne_u32_e32 vcc_lo, 1, v4
	s_and_b32 vcc_lo, exec_lo, vcc_lo
	s_wait_loadcnt_dscnt 0x1
	v_mul_f64_e32 v[2:3], v[47:48], v[63:64]
	v_mul_f64_e32 v[65:66], v[47:48], v[61:62]
	;; [unrolled: 1-line block ×8, first 2 shown]
	v_fma_f64 v[73:74], v[45:46], v[61:62], v[2:3]
	v_fma_f64 v[75:76], v[45:46], v[63:64], -v[65:66]
	v_fma_f64 v[77:78], v[41:42], v[61:62], v[67:68]
	v_fma_f64 v[79:80], v[41:42], v[63:64], -v[69:70]
	;; [unrolled: 2-line block ×4, first 2 shown]
	ds_load_b128 v[69:72], v0 offset:272
	ds_load_b128 v[65:68], v0 offset:288
	;; [unrolled: 1-line block ×3, first 2 shown]
	v_add_co_u32 v2, s22, v249, v210
	s_wait_alu 0xf1ff
	v_add_co_ci_u32_e64 v3, null, v195, v211, s22
	ds_store_b128 v203, v[73:76]
	ds_store_b128 v203, v[77:80] offset:1072
	ds_store_b128 v203, v[81:84] offset:2144
	;; [unrolled: 1-line block ×3, first 2 shown]
	s_wait_dscnt 0x0
	s_barrier_signal -1
	s_barrier_wait -1
	global_inv scope:SCOPE_SE
	ds_load_b128 v[145:148], v204
	ds_load_b128 v[141:144], v204 offset:16
	ds_load_b128 v[137:140], v204 offset:32
	;; [unrolled: 1-line block ×3, first 2 shown]
	s_wait_loadcnt_dscnt 0x0
	s_barrier_signal -1
	s_barrier_wait -1
	global_inv scope:SCOPE_SE
	s_wait_alu 0xfffe
	s_cbranch_vccnz .LBB18_145
; %bb.138:                              ;   in Loop: Header=BB18_113 Depth=2
	v_mov_b32_e32 v73, 0
	v_mov_b32_e32 v77, 0
	;; [unrolled: 1-line block ×3, first 2 shown]
	v_dual_mov_b32 v74, 0 :: v_dual_add_nc_u32 v75, 32, v200
	v_mov_b32_e32 v78, 0
	v_mov_b32_e32 v80, 0
	s_mov_b32 s22, exec_lo
	s_delay_alu instid0(VALU_DEP_3)
	v_cmpx_gt_i32_e64 s75, v75
	s_cbranch_execz .LBB18_140
; %bb.139:                              ;   in Loop: Header=BB18_113 Depth=2
	global_load_b128 v[77:80], v[2:3], off offset:-8
.LBB18_140:                             ;   in Loop: Header=BB18_113 Depth=2
	s_wait_alu 0xfffe
	s_or_b32 exec_lo, exec_lo, s22
	v_mov_b32_e32 v75, 0
	v_dual_mov_b32 v76, 0 :: v_dual_add_nc_u32 v81, 33, v200
	s_mov_b32 s22, exec_lo
	s_delay_alu instid0(VALU_DEP_1)
	v_cmpx_gt_i32_e64 s75, v81
	s_cbranch_execz .LBB18_142
; %bb.141:                              ;   in Loop: Header=BB18_113 Depth=2
	v_add_co_u32 v73, vcc_lo, v245, v210
	s_wait_alu 0xfffd
	v_add_co_ci_u32_e64 v74, null, v246, v211, vcc_lo
	global_load_b128 v[73:76], v[73:74], off
.LBB18_142:                             ;   in Loop: Header=BB18_113 Depth=2
	s_wait_alu 0xfffe
	s_or_b32 exec_lo, exec_lo, s22
	v_mov_b32_e32 v81, 0
	v_mov_b32_e32 v83, 0
	v_dual_mov_b32 v82, 0 :: v_dual_add_nc_u32 v101, 34, v200
	v_mov_b32_e32 v84, 0
	s_mov_b32 s22, exec_lo
	s_delay_alu instid0(VALU_DEP_2)
	v_cmpx_gt_i32_e64 s75, v101
	s_cbranch_execz .LBB18_144
; %bb.143:                              ;   in Loop: Header=BB18_113 Depth=2
	v_add_co_u32 v81, vcc_lo, v241, v210
	s_wait_alu 0xfffd
	v_add_co_ci_u32_e64 v82, null, v242, v211, vcc_lo
	global_load_b128 v[81:84], v[81:82], off
.LBB18_144:                             ;   in Loop: Header=BB18_113 Depth=2
	s_wait_alu 0xfffe
	s_or_b32 exec_lo, exec_lo, s22
	v_add_nc_u32_e32 v101, 35, v200
	s_delay_alu instid0(VALU_DEP_1)
	v_cmp_gt_i32_e64 s22, s75, v101
	s_branch .LBB18_147
.LBB18_145:                             ;   in Loop: Header=BB18_113 Depth=2
	s_mov_b32 s22, 0
                                        ; implicit-def: $vgpr83_vgpr84
                                        ; implicit-def: $vgpr75_vgpr76
                                        ; implicit-def: $vgpr79_vgpr80
	s_cbranch_execz .LBB18_147
; %bb.146:                              ;   in Loop: Header=BB18_113 Depth=2
	s_wait_loadcnt 0x0
	v_add_co_u32 v73, vcc_lo, v245, v210
	s_wait_alu 0xfffd
	v_add_co_ci_u32_e64 v74, null, v246, v211, vcc_lo
	v_add_co_u32 v81, vcc_lo, v237, v210
	s_wait_alu 0xfffd
	v_add_co_ci_u32_e64 v82, null, v238, v211, vcc_lo
	global_load_b128 v[77:80], v[2:3], off offset:-8
	global_load_b128 v[73:76], v[73:74], off
	global_load_b128 v[81:84], v[81:82], off offset:-8
	s_wait_alu 0xfffe
	s_or_b32 s22, s22, exec_lo
.LBB18_147:                             ;   in Loop: Header=BB18_113 Depth=2
	v_mov_b32_e32 v101, 0
	v_dual_mov_b32 v102, 0 :: v_dual_mov_b32 v103, 0
	v_mov_b32_e32 v104, 0
	s_wait_alu 0xfffe
	s_and_saveexec_b32 s76, s22
	s_cbranch_execz .LBB18_149
; %bb.148:                              ;   in Loop: Header=BB18_113 Depth=2
	v_add_co_u32 v2, vcc_lo, v233, v210
	s_wait_alu 0xfffd
	v_add_co_ci_u32_e64 v3, null, v234, v211, vcc_lo
	global_load_b128 v[101:104], v[2:3], off
.LBB18_149:                             ;   in Loop: Header=BB18_113 Depth=2
	s_wait_alu 0xfffe
	s_or_b32 exec_lo, exec_lo, s76
	ds_load_b128 v[109:112], v185
	ds_load_b128 v[105:108], v0 offset:512
	v_cmp_ne_u32_e32 vcc_lo, 1, v4
	s_and_b32 vcc_lo, exec_lo, vcc_lo
	s_wait_loadcnt_dscnt 0x1
	v_mul_f64_e32 v[2:3], v[79:80], v[111:112]
	v_mul_f64_e32 v[121:122], v[83:84], v[109:110]
	;; [unrolled: 1-line block ×5, first 2 shown]
	v_fma_f64 v[113:114], v[77:78], v[109:110], v[2:3]
	v_mul_f64_e32 v[2:3], v[83:84], v[111:112]
	v_fma_f64 v[127:128], v[81:82], v[111:112], -v[121:122]
	v_mul_f64_e32 v[121:122], v[103:104], v[109:110]
	v_fma_f64 v[115:116], v[77:78], v[111:112], -v[115:116]
	v_fma_f64 v[117:118], v[73:74], v[109:110], v[117:118]
	v_fma_f64 v[119:120], v[73:74], v[111:112], -v[119:120]
	ds_store_b128 v203, v[113:116]
	ds_store_b128 v203, v[117:120] offset:1072
	v_fma_f64 v[125:126], v[81:82], v[109:110], v[2:3]
	v_mul_f64_e32 v[2:3], v[103:104], v[111:112]
	v_fma_f64 v[131:132], v[101:102], v[111:112], -v[121:122]
	ds_load_b128 v[121:124], v0 offset:528
	ds_load_b128 v[113:116], v0 offset:544
	v_fma_f64 v[129:130], v[101:102], v[109:110], v[2:3]
	ds_store_b128 v203, v[125:128] offset:2144
	ds_load_b128 v[109:112], v0 offset:560
	v_add_co_u32 v2, s22, v229, v210
	s_wait_alu 0xf1ff
	v_add_co_ci_u32_e64 v3, null, v230, v211, s22
	ds_store_b128 v203, v[129:132] offset:3216
	s_wait_dscnt 0x0
	s_barrier_signal -1
	s_barrier_wait -1
	global_inv scope:SCOPE_SE
	ds_load_b128 v[169:172], v204
	ds_load_b128 v[165:168], v204 offset:16
	ds_load_b128 v[161:164], v204 offset:32
	;; [unrolled: 1-line block ×3, first 2 shown]
	s_wait_loadcnt_dscnt 0x0
	s_barrier_signal -1
	s_barrier_wait -1
	global_inv scope:SCOPE_SE
	s_wait_alu 0xfffe
	s_cbranch_vccnz .LBB18_157
; %bb.150:                              ;   in Loop: Header=BB18_113 Depth=2
	v_dual_mov_b32 v117, 0 :: v_dual_add_nc_u32 v4, 48, v200
	v_dual_mov_b32 v118, 0 :: v_dual_mov_b32 v125, 0
	v_dual_mov_b32 v126, 0 :: v_dual_mov_b32 v127, 0
	v_mov_b32_e32 v128, 0
	s_mov_b32 s22, exec_lo
	v_cmpx_gt_i32_e64 s75, v4
	s_cbranch_execz .LBB18_152
; %bb.151:                              ;   in Loop: Header=BB18_113 Depth=2
	global_load_b128 v[125:128], v[2:3], off
.LBB18_152:                             ;   in Loop: Header=BB18_113 Depth=2
	s_wait_alu 0xfffe
	s_or_b32 exec_lo, exec_lo, s22
	v_dual_mov_b32 v119, 0 :: v_dual_add_nc_u32 v4, 49, v200
	v_mov_b32_e32 v120, 0
	s_mov_b32 s22, exec_lo
	s_delay_alu instid0(VALU_DEP_2)
	v_cmpx_gt_i32_e64 s75, v4
	s_cbranch_execz .LBB18_154
; %bb.153:                              ;   in Loop: Header=BB18_113 Depth=2
	v_add_co_u32 v117, vcc_lo, v225, v210
	s_wait_alu 0xfffd
	v_add_co_ci_u32_e64 v118, null, v226, v211, vcc_lo
	global_load_b128 v[117:120], v[117:118], off
.LBB18_154:                             ;   in Loop: Header=BB18_113 Depth=2
	s_wait_alu 0xfffe
	s_or_b32 exec_lo, exec_lo, s22
	v_dual_mov_b32 v129, 0 :: v_dual_add_nc_u32 v4, 50, v200
	v_dual_mov_b32 v130, 0 :: v_dual_mov_b32 v131, 0
	v_mov_b32_e32 v132, 0
	s_mov_b32 s22, exec_lo
	s_delay_alu instid0(VALU_DEP_3)
	v_cmpx_gt_i32_e64 s75, v4
	s_cbranch_execz .LBB18_156
; %bb.155:                              ;   in Loop: Header=BB18_113 Depth=2
	v_add_co_u32 v129, vcc_lo, v221, v210
	s_wait_alu 0xfffd
	v_add_co_ci_u32_e64 v130, null, v222, v211, vcc_lo
	global_load_b128 v[129:132], v[129:130], off
.LBB18_156:                             ;   in Loop: Header=BB18_113 Depth=2
	s_wait_alu 0xfffe
	s_or_b32 exec_lo, exec_lo, s22
	v_add_nc_u32_e32 v4, 51, v200
	s_delay_alu instid0(VALU_DEP_1)
	v_cmp_gt_i32_e64 s22, s75, v4
	s_branch .LBB18_159
.LBB18_157:                             ;   in Loop: Header=BB18_113 Depth=2
	s_mov_b32 s22, 0
                                        ; implicit-def: $vgpr131_vgpr132
                                        ; implicit-def: $vgpr119_vgpr120
                                        ; implicit-def: $vgpr127_vgpr128
	s_cbranch_execz .LBB18_159
; %bb.158:                              ;   in Loop: Header=BB18_113 Depth=2
	s_wait_loadcnt 0x0
	v_add_co_u32 v117, vcc_lo, v225, v210
	s_wait_alu 0xfffd
	v_add_co_ci_u32_e64 v118, null, v226, v211, vcc_lo
	v_add_co_u32 v129, vcc_lo, v217, v210
	s_wait_alu 0xfffd
	v_add_co_ci_u32_e64 v130, null, v218, v211, vcc_lo
	global_load_b128 v[125:128], v[2:3], off
	global_load_b128 v[117:120], v[117:118], off
	global_load_b128 v[129:132], v[129:130], off offset:-8
	s_wait_alu 0xfffe
	s_or_b32 s22, s22, exec_lo
.LBB18_159:                             ;   in Loop: Header=BB18_113 Depth=2
	v_mov_b32_e32 v149, 0
	v_dual_mov_b32 v150, 0 :: v_dual_mov_b32 v151, 0
	v_mov_b32_e32 v152, 0
	s_wait_alu 0xfffe
	s_and_saveexec_b32 s76, s22
	s_cbranch_execz .LBB18_161
; %bb.160:                              ;   in Loop: Header=BB18_113 Depth=2
	v_add_co_u32 v2, vcc_lo, v213, v210
	s_wait_alu 0xfffd
	v_add_co_ci_u32_e64 v3, null, v214, v211, vcc_lo
	global_load_b128 v[149:152], v[2:3], off
.LBB18_161:                             ;   in Loop: Header=BB18_113 Depth=2
	s_wait_alu 0xfffe
	s_or_b32 exec_lo, exec_lo, s76
	ds_load_b128 v[181:184], v185
	ds_load_b128 v[153:156], v0 offset:768
	v_cmp_gt_i32_e32 vcc_lo, s75, v173
	s_or_b32 s22, s67, vcc_lo
	s_wait_alu 0xfffe
	s_and_b32 s67, s21, s22
	s_wait_loadcnt_dscnt 0x1
	v_mul_f64_e32 v[2:3], v[127:128], v[183:184]
	v_mul_f64_e32 v[176:177], v[127:128], v[181:182]
	;; [unrolled: 1-line block ×5, first 2 shown]
	v_fma_f64 v[174:175], v[125:126], v[181:182], v[2:3]
	v_mul_f64_e32 v[2:3], v[119:120], v[183:184]
	v_fma_f64 v[176:177], v[125:126], v[183:184], -v[176:177]
	v_fma_f64 v[188:189], v[117:118], v[183:184], -v[188:189]
	;; [unrolled: 1-line block ×3, first 2 shown]
	s_delay_alu instid0(VALU_DEP_4) | instskip(SKIP_1) | instid1(VALU_DEP_1)
	v_fma_f64 v[186:187], v[117:118], v[181:182], v[2:3]
	v_mul_f64_e32 v[2:3], v[131:132], v[183:184]
	v_fma_f64 v[190:191], v[129:130], v[181:182], v[2:3]
	v_mul_f64_e32 v[2:3], v[151:152], v[183:184]
	v_fma_f64 v[183:184], v[149:150], v[183:184], -v[178:179]
	s_delay_alu instid0(VALU_DEP_2)
	v_fma_f64 v[181:182], v[149:150], v[181:182], v[2:3]
	v_add_f64_e32 v[2:3], 0, v[169:170]
	v_add_f64_e32 v[169:170], 0, v[171:172]
	ds_store_b128 v203, v[174:177]
	ds_store_b128 v203, v[186:189] offset:1072
	ds_store_b128 v203, v[190:193] offset:2144
	;; [unrolled: 1-line block ×3, first 2 shown]
	v_add_f64_e32 v[2:3], v[2:3], v[165:166]
	v_add_f64_e32 v[165:166], v[169:170], v[167:168]
	s_delay_alu instid0(VALU_DEP_2) | instskip(NEXT) | instid1(VALU_DEP_2)
	v_add_f64_e32 v[2:3], v[2:3], v[161:162]
	v_add_f64_e32 v[161:162], v[165:166], v[163:164]
	s_delay_alu instid0(VALU_DEP_2) | instskip(SKIP_2) | instid1(VALU_DEP_4)
	v_add_f64_e32 v[157:158], v[2:3], v[157:158]
	v_add_f64_e32 v[2:3], 0, v[97:98]
	;; [unrolled: 1-line block ×4, first 2 shown]
	s_delay_alu instid0(VALU_DEP_3) | instskip(NEXT) | instid1(VALU_DEP_3)
	v_add_f64_e32 v[2:3], v[2:3], v[93:94]
	v_add_f64_e32 v[93:94], v[97:98], v[95:96]
	s_delay_alu instid0(VALU_DEP_2) | instskip(NEXT) | instid1(VALU_DEP_2)
	v_add_f64_e32 v[2:3], v[2:3], v[89:90]
	v_add_f64_e32 v[89:90], v[93:94], v[91:92]
	s_delay_alu instid0(VALU_DEP_2) | instskip(SKIP_2) | instid1(VALU_DEP_4)
	v_add_f64_e32 v[97:98], v[2:3], v[85:86]
	v_add_f64_e32 v[85:86], 0, v[147:148]
	;; [unrolled: 1-line block ×4, first 2 shown]
	s_delay_alu instid0(VALU_DEP_3) | instskip(NEXT) | instid1(VALU_DEP_3)
	v_add_f64_e32 v[85:86], v[85:86], v[143:144]
	v_add_f64_e32 v[2:3], v[2:3], v[141:142]
	s_delay_alu instid0(VALU_DEP_2) | instskip(NEXT) | instid1(VALU_DEP_2)
	v_add_f64_e32 v[85:86], v[85:86], v[139:140]
	v_add_f64_e32 v[2:3], v[2:3], v[137:138]
	s_delay_alu instid0(VALU_DEP_2)
	v_add_f64_e32 v[135:136], v[85:86], v[135:136]
	ds_load_b128 v[93:96], v0 offset:784
	ds_load_b128 v[89:92], v0 offset:800
	;; [unrolled: 1-line block ×3, first 2 shown]
	s_wait_dscnt 0x0
	s_barrier_signal -1
	s_barrier_wait -1
	global_inv scope:SCOPE_SE
	ds_load_b128 v[137:140], v204
	ds_load_b128 v[141:144], v204 offset:16
	v_add_f64_e32 v[133:134], v[2:3], v[133:134]
	s_wait_dscnt 0x1
	v_add_f64_e32 v[2:3], 0, v[137:138]
	v_add_f64_e32 v[137:138], 0, v[139:140]
	s_wait_dscnt 0x0
	s_delay_alu instid0(VALU_DEP_2) | instskip(NEXT) | instid1(VALU_DEP_2)
	v_add_f64_e32 v[2:3], v[2:3], v[141:142]
	v_add_f64_e32 v[145:146], v[137:138], v[143:144]
	ds_load_b128 v[137:140], v204 offset:32
	ds_load_b128 v[141:144], v204 offset:48
	s_wait_loadcnt_dscnt 0x0
	s_barrier_signal -1
	s_barrier_wait -1
	global_inv scope:SCOPE_SE
	ds_store_b128 v250, v[97:100]
	ds_store_b128 v250, v[133:136] offset:256
	ds_store_b128 v250, v[157:160] offset:512
	v_add_f64_e32 v[2:3], v[2:3], v[137:138]
	v_add_f64_e32 v[139:140], v[145:146], v[139:140]
	s_delay_alu instid0(VALU_DEP_2) | instskip(NEXT) | instid1(VALU_DEP_2)
	v_add_f64_e32 v[137:138], v[2:3], v[141:142]
	v_add_f64_e32 v[139:140], v[139:140], v[143:144]
	ds_store_b128 v250, v[137:140] offset:768
	s_wait_loadcnt_dscnt 0x0
	s_barrier_signal -1
	s_barrier_wait -1
	global_inv scope:SCOPE_SE
	s_wait_alu 0xfffe
	s_and_saveexec_b32 s22, s67
	s_cbranch_execz .LBB18_163
; %bb.162:                              ;   in Loop: Header=BB18_113 Depth=2
	ds_load_b128 v[97:100], v205
	ds_load_b128 v[133:136], v205 offset:16
	v_ashrrev_i32_e32 v181, 31, v180
	s_wait_dscnt 0x0
	v_add_f64_e32 v[2:3], v[133:134], v[97:98]
	v_add_f64_e32 v[137:138], v[135:136], v[99:100]
	ds_load_b128 v[97:100], v205 offset:32
	ds_load_b128 v[133:136], v205 offset:48
	s_wait_dscnt 0x1
	v_add_f64_e32 v[2:3], v[2:3], v[97:98]
	v_add_f64_e32 v[97:98], v[137:138], v[99:100]
	s_wait_dscnt 0x0
	s_delay_alu instid0(VALU_DEP_2) | instskip(NEXT) | instid1(VALU_DEP_2)
	v_add_f64_e32 v[2:3], v[2:3], v[133:134]
	v_add_f64_e32 v[137:138], v[97:98], v[135:136]
	ds_load_b128 v[97:100], v205 offset:64
	ds_load_b128 v[133:136], v205 offset:80
	s_wait_dscnt 0x1
	v_add_f64_e32 v[2:3], v[2:3], v[97:98]
	v_add_f64_e32 v[97:98], v[137:138], v[99:100]
	s_wait_dscnt 0x0
	s_delay_alu instid0(VALU_DEP_2) | instskip(NEXT) | instid1(VALU_DEP_2)
	;; [unrolled: 9-line block ×6, first 2 shown]
	v_add_f64_e32 v[2:3], v[2:3], v[133:134]
	v_add_f64_e32 v[137:138], v[97:98], v[135:136]
	ds_load_b128 v[97:100], v205 offset:224
	ds_load_b128 v[133:136], v206
	s_wait_dscnt 0x1
	v_add_f64_e32 v[2:3], v[2:3], v[97:98]
	v_add_f64_e32 v[99:100], v[137:138], v[99:100]
	s_wait_dscnt 0x0
	s_delay_alu instid0(VALU_DEP_2) | instskip(NEXT) | instid1(VALU_DEP_2)
	v_add_f64_e32 v[97:98], v[2:3], v[133:134]
	v_add_f64_e32 v[99:100], v[99:100], v[135:136]
	v_lshlrev_b64_e32 v[2:3], 4, v[180:181]
	s_delay_alu instid0(VALU_DEP_1) | instskip(SKIP_1) | instid1(VALU_DEP_2)
	v_add_co_u32 v2, vcc_lo, s64, v2
	s_wait_alu 0xfffd
	v_add_co_ci_u32_e64 v3, null, s65, v3, vcc_lo
	global_store_b128 v[2:3], v[97:100], off
.LBB18_163:                             ;   in Loop: Header=BB18_113 Depth=2
	s_wait_alu 0xfffe
	s_or_b32 exec_lo, exec_lo, s22
	v_mul_f64_e32 v[2:3], v[15:16], v[27:28]
	v_add_co_u32 v209, vcc_lo, v209, s60
	s_wait_alu 0xfffd
	v_add_co_ci_u32_e64 v212, null, s61, v212, vcc_lo
	v_add_co_u32 v213, vcc_lo, v213, s60
	s_wait_alu 0xfffd
	v_add_co_ci_u32_e64 v214, null, s61, v214, vcc_lo
	;; [unrolled: 3-line block ×9, first 2 shown]
	v_add_co_u32 v229, vcc_lo, v229, s60
	v_fma_f64 v[2:3], v[13:14], v[25:26], -v[2:3]
	v_mul_f64_e32 v[13:14], v[13:14], v[27:28]
	v_mul_f64_e32 v[27:28], v[43:44], v[71:72]
	s_wait_alu 0xfffd
	v_add_co_ci_u32_e64 v230, null, s61, v230, vcc_lo
	v_add_co_u32 v231, vcc_lo, v231, s60
	s_wait_alu 0xfffd
	v_add_co_ci_u32_e64 v232, null, s61, v232, vcc_lo
	v_add_co_u32 v233, vcc_lo, v233, s60
	s_wait_alu 0xfffd
	v_add_co_ci_u32_e64 v234, null, s61, v234, vcc_lo
	v_add_co_u32 v235, vcc_lo, v235, s60
	s_wait_alu 0xfffd
	v_add_co_ci_u32_e64 v236, null, s61, v236, vcc_lo
	v_add_co_u32 v237, vcc_lo, v237, s60
	s_wait_alu 0xfffd
	v_add_co_ci_u32_e64 v238, null, s61, v238, vcc_lo
	v_add_co_u32 v239, vcc_lo, v239, s60
	s_wait_alu 0xfffd
	v_add_co_ci_u32_e64 v240, null, s61, v240, vcc_lo
	v_add_co_u32 v241, vcc_lo, v241, s60
	s_wait_alu 0xfffd
	v_add_co_ci_u32_e64 v242, null, s61, v242, vcc_lo
	v_add_co_u32 v243, vcc_lo, v243, s60
	s_wait_alu 0xfffd
	v_add_co_ci_u32_e64 v244, null, s61, v244, vcc_lo
	v_add_co_u32 v245, vcc_lo, v245, s60
	s_wait_alu 0xfffd
	v_add_co_ci_u32_e64 v246, null, s61, v246, vcc_lo
	v_add_co_u32 v247, vcc_lo, v247, s60
	v_fma_f64 v[13:14], v[15:16], v[25:26], v[13:14]
	v_mul_f64_e32 v[15:16], v[11:12], v[39:40]
	v_add_f64_e32 v[2:3], v[5:6], v[2:3]
	v_mul_f64_e32 v[25:26], v[45:46], v[59:60]
	v_fma_f64 v[27:28], v[41:42], v[69:70], -v[27:28]
	s_wait_alu 0xfffd
	v_add_co_ci_u32_e64 v248, null, s61, v248, vcc_lo
	v_add_co_u32 v249, vcc_lo, v249, s60
	v_add_nc_u32_e32 v180, 64, v180
	s_wait_alu 0xfffd
	v_add_co_ci_u32_e64 v195, null, s61, v195, vcc_lo
	s_add_co_i32 s67, s74, 2
	s_add_co_i32 s22, s74, 1
	;; [unrolled: 1-line block ×3, first 2 shown]
	s_wait_alu 0xfffe
	s_cmp_ge_u32 s67, s48
	s_wait_loadcnt 0x0
	s_wait_storecnt 0x0
	s_barrier_signal -1
	s_barrier_wait -1
	global_inv scope:SCOPE_SE
	v_add_f64_e32 v[4:5], v[7:8], v[13:14]
	v_fma_f64 v[15:16], v[9:10], v[37:38], -v[15:16]
	v_mul_f64_e32 v[9:10], v[9:10], v[39:40]
	v_fma_f64 v[25:26], v[47:48], v[57:58], v[25:26]
	v_mul_f64_e32 v[39:40], v[79:80], v[107:108]
	s_delay_alu instid0(VALU_DEP_4) | instskip(NEXT) | instid1(VALU_DEP_4)
	v_add_f64_e32 v[2:3], v[2:3], v[15:16]
	v_fma_f64 v[9:10], v[11:12], v[37:38], v[9:10]
	v_mul_f64_e32 v[11:12], v[19:20], v[35:36]
	v_mul_f64_e32 v[37:38], v[53:54], v[63:64]
	v_fma_f64 v[39:40], v[77:78], v[105:106], -v[39:40]
	s_delay_alu instid0(VALU_DEP_4) | instskip(NEXT) | instid1(VALU_DEP_4)
	v_add_f64_e32 v[4:5], v[4:5], v[9:10]
	v_fma_f64 v[11:12], v[17:18], v[33:34], -v[11:12]
	v_mul_f64_e32 v[17:18], v[17:18], v[35:36]
	v_mul_f64_e32 v[35:36], v[55:56], v[63:64]
	v_fma_f64 v[37:38], v[55:56], v[61:62], v[37:38]
	v_mul_f64_e32 v[55:56], v[127:128], v[155:156]
	v_mul_f64_e32 v[63:64], v[131:132], v[91:92]
	v_add_f64_e32 v[2:3], v[2:3], v[11:12]
	v_fma_f64 v[17:18], v[19:20], v[33:34], v[17:18]
	v_mul_f64_e32 v[19:20], v[23:24], v[31:32]
	v_mul_f64_e32 v[33:34], v[49:50], v[67:68]
	v_fma_f64 v[35:36], v[53:54], v[61:62], -v[35:36]
	v_mul_f64_e32 v[53:54], v[101:102], v[111:112]
	v_fma_f64 v[55:56], v[125:126], v[153:154], -v[55:56]
	;; [unrolled: 2-line block ×3, first 2 shown]
	v_add_f64_e32 v[4:5], v[4:5], v[17:18]
	v_fma_f64 v[19:20], v[21:22], v[29:30], -v[19:20]
	v_mul_f64_e32 v[21:22], v[21:22], v[31:32]
	v_mul_f64_e32 v[31:32], v[51:52], v[67:68]
	v_fma_f64 v[33:34], v[51:52], v[65:66], v[33:34]
	v_mul_f64_e32 v[51:52], v[103:104], v[111:112]
	v_fma_f64 v[53:54], v[103:104], v[109:110], v[53:54]
	v_fma_f64 v[61:62], v[119:120], v[93:94], v[61:62]
	v_mul_f64_e32 v[67:68], v[151:152], v[87:88]
	v_add_f64_e32 v[2:3], v[2:3], v[19:20]
	v_fma_f64 v[21:22], v[23:24], v[29:30], v[21:22]
	v_mul_f64_e32 v[23:24], v[47:48], v[59:60]
	v_mul_f64_e32 v[29:30], v[41:42], v[71:72]
	v_fma_f64 v[31:32], v[49:50], v[65:66], -v[31:32]
	v_mul_f64_e32 v[41:42], v[77:78], v[107:108]
	v_mul_f64_e32 v[47:48], v[83:84], v[115:116]
	;; [unrolled: 1-line block ×3, first 2 shown]
	v_fma_f64 v[51:52], v[101:102], v[109:110], -v[51:52]
	v_mul_f64_e32 v[59:60], v[119:120], v[95:96]
	v_mul_f64_e32 v[65:66], v[129:130], v[91:92]
	v_fma_f64 v[67:68], v[149:150], v[85:86], -v[67:68]
	v_add_f64_e32 v[4:5], v[4:5], v[21:22]
	v_fma_f64 v[23:24], v[45:46], v[57:58], -v[23:24]
	v_fma_f64 v[29:30], v[43:44], v[69:70], v[29:30]
	v_mul_f64_e32 v[43:44], v[75:76], v[123:124]
	v_fma_f64 v[41:42], v[79:80], v[105:106], v[41:42]
	v_mul_f64_e32 v[45:46], v[73:74], v[123:124]
	v_fma_f64 v[47:48], v[81:82], v[113:114], -v[47:48]
	v_fma_f64 v[49:50], v[83:84], v[113:114], v[49:50]
	v_mul_f64_e32 v[57:58], v[125:126], v[155:156]
	v_fma_f64 v[59:60], v[117:118], v[93:94], -v[59:60]
	v_fma_f64 v[65:66], v[131:132], v[89:90], v[65:66]
	v_mul_f64_e32 v[69:70], v[149:150], v[87:88]
	v_add_f64_e32 v[4:5], v[4:5], v[25:26]
	v_add_f64_e32 v[2:3], v[2:3], v[23:24]
	v_fma_f64 v[43:44], v[73:74], v[121:122], -v[43:44]
	v_fma_f64 v[45:46], v[75:76], v[121:122], v[45:46]
	v_fma_f64 v[57:58], v[127:128], v[153:154], v[57:58]
	;; [unrolled: 1-line block ×3, first 2 shown]
	v_add_f64_e32 v[4:5], v[4:5], v[29:30]
	v_add_f64_e32 v[2:3], v[2:3], v[27:28]
	s_delay_alu instid0(VALU_DEP_2) | instskip(NEXT) | instid1(VALU_DEP_2)
	v_add_f64_e32 v[4:5], v[4:5], v[33:34]
	v_add_f64_e32 v[2:3], v[2:3], v[31:32]
	s_delay_alu instid0(VALU_DEP_2) | instskip(NEXT) | instid1(VALU_DEP_2)
	;; [unrolled: 3-line block ×10, first 2 shown]
	v_add_f64_e32 v[7:8], v[7:8], v[69:70]
	v_add_f64_e32 v[5:6], v[2:3], v[67:68]
	s_cbranch_scc1 .LBB18_165
; %bb.164:                              ;   in Loop: Header=BB18_113 Depth=2
	s_mov_b32 s74, s22
	s_wait_alu 0xfffe
	s_cmp_eq_u32 s70, s74
	s_cselect_b32 s75, s33, 0
	s_and_saveexec_b32 s22, s0
	s_cbranch_execnz .LBB18_109
	s_branch .LBB18_113
.LBB18_165:                             ;   in Loop: Header=BB18_4 Depth=1
	scratch_load_b32 v2, off, off offset:24 ; 4-byte Folded Reload
	s_wait_loadcnt 0x0
	ds_store_b128 v2, v[5:8]
	s_wait_dscnt 0x0
	s_barrier_signal -1
	s_barrier_wait -1
	global_inv scope:SCOPE_SE
	s_and_saveexec_b32 s22, s72
	s_cbranch_execz .LBB18_2
; %bb.166:                              ;   in Loop: Header=BB18_4 Depth=1
	v_lshlrev_b32_e32 v14, 4, v173
	ds_load_b128 v[2:5], v14 offset:1072
	ds_load_b128 v[6:9], v14
	s_wait_dscnt 0x0
	v_add_f64_e32 v[10:11], v[2:3], v[6:7]
	v_add_f64_e32 v[12:13], v[4:5], v[8:9]
	ds_load_b128 v[2:5], v14 offset:2144
	ds_load_b128 v[6:9], v14 offset:3216
	s_wait_dscnt 0x1
	v_add_f64_e32 v[2:3], v[10:11], v[2:3]
	v_add_f64_e32 v[4:5], v[12:13], v[4:5]
	s_wait_dscnt 0x0
	s_delay_alu instid0(VALU_DEP_2)
	v_add_f64_e32 v[2:3], v[2:3], v[6:7]
	scratch_load_b64 v[6:7], off, off offset:192 ; 8-byte Folded Reload
	v_add_f64_e32 v[4:5], v[4:5], v[8:9]
	s_wait_loadcnt 0x0
	s_wait_alu 0xfffe
	v_add_co_u32 v6, vcc_lo, s64, v6
	s_wait_alu 0xfffd
	v_add_co_ci_u32_e64 v7, null, s65, v7, vcc_lo
	global_store_b128 v[6:7], v[2:5], off
	s_branch .LBB18_2
.LBB18_167:                             ;   in Loop: Header=BB18_4 Depth=1
	ds_load_b128 v[2:5], v253
	v_add_nc_u32_e32 v6, 16, v194
	s_mov_b32 s22, exec_lo
	s_wait_dscnt 0x0
	v_xor_b32_e32 v5, 0x80000000, v5
	ds_store_b64 v6, v[2:3]
	s_wait_alu 0xfffe
	s_or_saveexec_b32 s64, s64
	v_add_nc_u32_e32 v2, 16, v194
	s_wait_alu 0xfffe
	s_xor_b32 exec_lo, exec_lo, s64
	s_cbranch_execz .LBB18_35
.LBB18_168:                             ;   in Loop: Header=BB18_4 Depth=1
	v_mov_b32_e32 v4, 0
	v_dual_mov_b32 v5, 0 :: v_dual_mov_b32 v2, v197
	s_and_not1_b32 s22, s22, exec_lo
	s_and_b32 s65, s9, exec_lo
	s_wait_alu 0xfffe
	s_or_b32 s22, s22, s65
	s_or_b32 exec_lo, exec_lo, s64
	s_wait_alu 0xfffe
	s_and_saveexec_b32 s64, s22
	s_cbranch_execnz .LBB18_36
	s_branch .LBB18_37
.LBB18_169:                             ;   in Loop: Header=BB18_4 Depth=1
	ds_load_b128 v[9:12], v253
	v_add_nc_u32_e32 v2, 16, v194
	s_mov_b32 s22, exec_lo
	s_wait_dscnt 0x0
	v_xor_b32_e32 v12, 0x80000000, v12
	ds_store_b64 v2, v[9:10]
	s_wait_alu 0xfffe
	s_or_saveexec_b32 s64, s64
	v_add_nc_u32_e32 v2, 16, v194
	s_wait_alu 0xfffe
	s_xor_b32 exec_lo, exec_lo, s64
	s_cbranch_execz .LBB18_73
.LBB18_170:                             ;   in Loop: Header=BB18_4 Depth=1
	v_dual_mov_b32 v11, 0 :: v_dual_mov_b32 v2, v197
	v_mov_b32_e32 v12, 0
	s_and_not1_b32 s22, s22, exec_lo
	s_and_b32 s65, s9, exec_lo
	s_wait_alu 0xfffe
	s_or_b32 s22, s22, s65
	s_or_b32 exec_lo, exec_lo, s64
	s_wait_alu 0xfffe
	s_and_saveexec_b32 s64, s22
	s_cbranch_execnz .LBB18_74
	s_branch .LBB18_75
.LBB18_171:                             ;   in Loop: Header=BB18_4 Depth=1
	global_load_b128 v[9:12], v[7:8], off
	s_wait_loadcnt 0x0
	ds_store_2addr_b64 v207, v[9:10], v[11:12] offset1:1
	s_or_b32 exec_lo, exec_lo, s22
	s_and_saveexec_b32 s22, s3
	s_wait_alu 0xfffe
	s_xor_b32 s22, exec_lo, s22
	s_cbranch_execz .LBB18_18
.LBB18_172:                             ;   in Loop: Header=BB18_4 Depth=1
	v_dual_mov_b32 v2, v1 :: v_dual_mov_b32 v3, v1
	v_dual_mov_b32 v4, v1 :: v_dual_add_nc_u32 v9, 0x1080, v207
	ds_store_b128 v9, v[1:4]
	s_wait_alu 0xfffe
	s_and_not1_saveexec_b32 s22, s22
	s_cbranch_execz .LBB18_19
.LBB18_173:                             ;   in Loop: Header=BB18_4 Depth=1
	s_lshl_b64 s[64:65], s[46:47], 4
	s_wait_alu 0xfffe
	v_add_co_u32 v2, vcc_lo, v7, s64
	s_wait_alu 0xfffd
	v_add_co_ci_u32_e64 v3, null, s65, v8, vcc_lo
	global_load_b128 v[9:12], v[2:3], off
	v_add_nc_u32_e32 v2, 0x1080, v207
	s_wait_loadcnt 0x0
	ds_store_2addr_b64 v2, v[9:10], v[11:12] offset1:1
	s_or_b32 exec_lo, exec_lo, s22
	s_and_saveexec_b32 s22, s4
	s_wait_alu 0xfffe
	s_xor_b32 s22, exec_lo, s22
	s_cbranch_execz .LBB18_20
.LBB18_174:                             ;   in Loop: Header=BB18_4 Depth=1
	v_dual_mov_b32 v2, v1 :: v_dual_mov_b32 v3, v1
	v_dual_mov_b32 v4, v1 :: v_dual_add_nc_u32 v9, 0x2100, v207
	ds_store_b128 v9, v[1:4]
	s_wait_alu 0xfffe
	s_and_not1_saveexec_b32 s22, s22
	s_cbranch_execz .LBB18_21
.LBB18_175:                             ;   in Loop: Header=BB18_4 Depth=1
	v_add_co_u32 v2, vcc_lo, v7, s58
	s_wait_alu 0xfffd
	v_add_co_ci_u32_e64 v3, null, s59, v8, vcc_lo
	global_load_b128 v[9:12], v[2:3], off
	v_add_nc_u32_e32 v2, 0x2100, v207
	s_wait_loadcnt 0x0
	ds_store_2addr_b64 v2, v[9:10], v[11:12] offset1:1
	s_wait_alu 0xfffe
	s_or_b32 exec_lo, exec_lo, s22
	s_and_saveexec_b32 s22, s5
	s_wait_alu 0xfffe
	s_xor_b32 s22, exec_lo, s22
	s_cbranch_execz .LBB18_22
.LBB18_176:                             ;   in Loop: Header=BB18_4 Depth=1
	v_dual_mov_b32 v2, v1 :: v_dual_mov_b32 v3, v1
	v_dual_mov_b32 v4, v1 :: v_dual_add_nc_u32 v9, 0x3180, v207
	ds_store_b128 v9, v[1:4]
	s_wait_alu 0xfffe
	s_and_not1_saveexec_b32 s22, s22
	s_cbranch_execnz .LBB18_23
	s_branch .LBB18_24
.LBB18_177:                             ;   in Loop: Header=BB18_4 Depth=1
	global_load_b128 v[17:20], v[11:12], off
	s_wait_loadcnt 0x0
	ds_store_2addr_b64 v207, v[17:18], v[19:20] offset1:1
	s_or_b32 exec_lo, exec_lo, s22
	s_and_saveexec_b32 s22, s17
	s_wait_alu 0xfffe
	s_xor_b32 s22, exec_lo, s22
	s_cbranch_execz .LBB18_56
.LBB18_178:                             ;   in Loop: Header=BB18_4 Depth=1
	v_dual_mov_b32 v2, v1 :: v_dual_mov_b32 v3, v1
	v_dual_mov_b32 v4, v1 :: v_dual_add_nc_u32 v13, 0x1080, v207
	ds_store_b128 v13, v[1:4]
	s_wait_alu 0xfffe
	s_and_not1_saveexec_b32 s22, s22
	s_cbranch_execz .LBB18_57
.LBB18_179:                             ;   in Loop: Header=BB18_4 Depth=1
	s_lshl_b64 s[64:65], s[46:47], 4
	s_wait_alu 0xfffe
	v_add_co_u32 v2, vcc_lo, v11, s64
	s_wait_alu 0xfffd
	v_add_co_ci_u32_e64 v3, null, s65, v12, vcc_lo
	global_load_b128 v[17:20], v[2:3], off
	v_add_nc_u32_e32 v2, 0x1080, v207
	s_wait_loadcnt 0x0
	ds_store_2addr_b64 v2, v[17:18], v[19:20] offset1:1
	s_or_b32 exec_lo, exec_lo, s22
	s_and_saveexec_b32 s22, s18
	s_wait_alu 0xfffe
	s_xor_b32 s22, exec_lo, s22
	s_cbranch_execz .LBB18_58
.LBB18_180:                             ;   in Loop: Header=BB18_4 Depth=1
	v_dual_mov_b32 v2, v1 :: v_dual_mov_b32 v3, v1
	v_dual_mov_b32 v4, v1 :: v_dual_add_nc_u32 v13, 0x2100, v207
	ds_store_b128 v13, v[1:4]
	s_wait_alu 0xfffe
	s_and_not1_saveexec_b32 s22, s22
	s_cbranch_execz .LBB18_59
.LBB18_181:                             ;   in Loop: Header=BB18_4 Depth=1
	v_add_co_u32 v2, vcc_lo, v11, s58
	s_wait_alu 0xfffd
	v_add_co_ci_u32_e64 v3, null, s59, v12, vcc_lo
	global_load_b128 v[17:20], v[2:3], off
	v_add_nc_u32_e32 v2, 0x2100, v207
	s_wait_loadcnt 0x0
	ds_store_2addr_b64 v2, v[17:18], v[19:20] offset1:1
	s_wait_alu 0xfffe
	s_or_b32 exec_lo, exec_lo, s22
	s_and_saveexec_b32 s22, s19
	s_wait_alu 0xfffe
	s_xor_b32 s22, exec_lo, s22
	s_cbranch_execz .LBB18_60
.LBB18_182:                             ;   in Loop: Header=BB18_4 Depth=1
	v_dual_mov_b32 v2, v1 :: v_dual_mov_b32 v3, v1
	v_dual_mov_b32 v4, v1 :: v_dual_add_nc_u32 v13, 0x3180, v207
	ds_store_b128 v13, v[1:4]
	s_wait_alu 0xfffe
	s_and_not1_saveexec_b32 s22, s22
	s_cbranch_execnz .LBB18_61
	s_branch .LBB18_62
.LBB18_183:                             ;   in Loop: Header=BB18_4 Depth=1
	global_load_b128 v[15:18], v[11:12], off
	s_wait_loadcnt 0x0
	ds_store_2addr_b64 v207, v[15:16], v[17:18] offset1:1
	s_or_b32 exec_lo, exec_lo, s22
	s_and_saveexec_b32 s22, s17
	s_wait_alu 0xfffe
	s_xor_b32 s22, exec_lo, s22
	s_cbranch_execz .LBB18_94
.LBB18_184:                             ;   in Loop: Header=BB18_4 Depth=1
	v_dual_mov_b32 v2, v1 :: v_dual_mov_b32 v3, v1
	v_dual_mov_b32 v4, v1 :: v_dual_add_nc_u32 v15, 0x1080, v207
	ds_store_b128 v15, v[1:4]
	s_wait_alu 0xfffe
	s_and_not1_saveexec_b32 s22, s22
	s_cbranch_execz .LBB18_95
.LBB18_185:                             ;   in Loop: Header=BB18_4 Depth=1
	s_lshl_b64 s[64:65], s[46:47], 4
	s_wait_alu 0xfffe
	v_add_co_u32 v2, vcc_lo, v11, s64
	s_wait_alu 0xfffd
	v_add_co_ci_u32_e64 v3, null, s65, v12, vcc_lo
	global_load_b128 v[15:18], v[2:3], off
	v_add_nc_u32_e32 v2, 0x1080, v207
	s_wait_loadcnt 0x0
	ds_store_2addr_b64 v2, v[15:16], v[17:18] offset1:1
	s_or_b32 exec_lo, exec_lo, s22
	s_and_saveexec_b32 s22, s18
	s_wait_alu 0xfffe
	s_xor_b32 s22, exec_lo, s22
	s_cbranch_execz .LBB18_96
.LBB18_186:                             ;   in Loop: Header=BB18_4 Depth=1
	v_dual_mov_b32 v2, v1 :: v_dual_mov_b32 v3, v1
	v_dual_mov_b32 v4, v1 :: v_dual_add_nc_u32 v15, 0x2100, v207
	ds_store_b128 v15, v[1:4]
	s_wait_alu 0xfffe
	s_and_not1_saveexec_b32 s22, s22
	s_cbranch_execz .LBB18_97
.LBB18_187:                             ;   in Loop: Header=BB18_4 Depth=1
	v_add_co_u32 v2, vcc_lo, v11, s58
	s_wait_alu 0xfffd
	v_add_co_ci_u32_e64 v3, null, s59, v12, vcc_lo
	global_load_b128 v[15:18], v[2:3], off
	v_add_nc_u32_e32 v2, 0x2100, v207
	s_wait_loadcnt 0x0
	ds_store_2addr_b64 v2, v[15:16], v[17:18] offset1:1
	s_wait_alu 0xfffe
	s_or_b32 exec_lo, exec_lo, s22
	s_and_saveexec_b32 s22, s19
	s_wait_alu 0xfffe
	s_xor_b32 s22, exec_lo, s22
	s_cbranch_execz .LBB18_98
.LBB18_188:                             ;   in Loop: Header=BB18_4 Depth=1
	v_dual_mov_b32 v2, v1 :: v_dual_mov_b32 v3, v1
	v_dual_mov_b32 v4, v1 :: v_dual_add_nc_u32 v15, 0x3180, v207
	ds_store_b128 v15, v[1:4]
	s_wait_alu 0xfffe
	s_and_not1_saveexec_b32 s22, s22
	s_cbranch_execnz .LBB18_99
	s_branch .LBB18_100
.LBB18_189:
	s_nop 0
	s_sendmsg sendmsg(MSG_DEALLOC_VGPRS)
	s_endpgm
	.section	.rodata,"a",@progbits
	.p2align	6, 0x0
	.amdhsa_kernel _ZL26rocblas_hemvn_kernel_upperILb1ELi64ELi4ELi33ELi32ELi16EiPK19rocblas_complex_numIdES3_PS1_EviT6_lT7_lT5_lS6_lS7_lS5_lT8_i
		.amdhsa_group_segment_fixed_size 19200
		.amdhsa_private_segment_fixed_size 204
		.amdhsa_kernarg_size 376
		.amdhsa_user_sgpr_count 2
		.amdhsa_user_sgpr_dispatch_ptr 0
		.amdhsa_user_sgpr_queue_ptr 0
		.amdhsa_user_sgpr_kernarg_segment_ptr 1
		.amdhsa_user_sgpr_dispatch_id 0
		.amdhsa_user_sgpr_private_segment_size 0
		.amdhsa_wavefront_size32 1
		.amdhsa_uses_dynamic_stack 0
		.amdhsa_enable_private_segment 1
		.amdhsa_system_sgpr_workgroup_id_x 1
		.amdhsa_system_sgpr_workgroup_id_y 0
		.amdhsa_system_sgpr_workgroup_id_z 1
		.amdhsa_system_sgpr_workgroup_info 0
		.amdhsa_system_vgpr_workitem_id 1
		.amdhsa_next_free_vgpr 256
		.amdhsa_next_free_sgpr 88
		.amdhsa_reserve_vcc 1
		.amdhsa_float_round_mode_32 0
		.amdhsa_float_round_mode_16_64 0
		.amdhsa_float_denorm_mode_32 3
		.amdhsa_float_denorm_mode_16_64 3
		.amdhsa_fp16_overflow 0
		.amdhsa_workgroup_processor_mode 1
		.amdhsa_memory_ordered 1
		.amdhsa_forward_progress 1
		.amdhsa_inst_pref_size 116
		.amdhsa_round_robin_scheduling 0
		.amdhsa_exception_fp_ieee_invalid_op 0
		.amdhsa_exception_fp_denorm_src 0
		.amdhsa_exception_fp_ieee_div_zero 0
		.amdhsa_exception_fp_ieee_overflow 0
		.amdhsa_exception_fp_ieee_underflow 0
		.amdhsa_exception_fp_ieee_inexact 0
		.amdhsa_exception_int_div_zero 0
	.end_amdhsa_kernel
	.section	.text._ZL26rocblas_hemvn_kernel_upperILb1ELi64ELi4ELi33ELi32ELi16EiPK19rocblas_complex_numIdES3_PS1_EviT6_lT7_lT5_lS6_lS7_lS5_lT8_i,"axG",@progbits,_ZL26rocblas_hemvn_kernel_upperILb1ELi64ELi4ELi33ELi32ELi16EiPK19rocblas_complex_numIdES3_PS1_EviT6_lT7_lT5_lS6_lS7_lS5_lT8_i,comdat
.Lfunc_end18:
	.size	_ZL26rocblas_hemvn_kernel_upperILb1ELi64ELi4ELi33ELi32ELi16EiPK19rocblas_complex_numIdES3_PS1_EviT6_lT7_lT5_lS6_lS7_lS5_lT8_i, .Lfunc_end18-_ZL26rocblas_hemvn_kernel_upperILb1ELi64ELi4ELi33ELi32ELi16EiPK19rocblas_complex_numIdES3_PS1_EviT6_lT7_lT5_lS6_lS7_lS5_lT8_i
                                        ; -- End function
	.set _ZL26rocblas_hemvn_kernel_upperILb1ELi64ELi4ELi33ELi32ELi16EiPK19rocblas_complex_numIdES3_PS1_EviT6_lT7_lT5_lS6_lS7_lS5_lT8_i.num_vgpr, 256
	.set _ZL26rocblas_hemvn_kernel_upperILb1ELi64ELi4ELi33ELi32ELi16EiPK19rocblas_complex_numIdES3_PS1_EviT6_lT7_lT5_lS6_lS7_lS5_lT8_i.num_agpr, 0
	.set _ZL26rocblas_hemvn_kernel_upperILb1ELi64ELi4ELi33ELi32ELi16EiPK19rocblas_complex_numIdES3_PS1_EviT6_lT7_lT5_lS6_lS7_lS5_lT8_i.numbered_sgpr, 88
	.set _ZL26rocblas_hemvn_kernel_upperILb1ELi64ELi4ELi33ELi32ELi16EiPK19rocblas_complex_numIdES3_PS1_EviT6_lT7_lT5_lS6_lS7_lS5_lT8_i.num_named_barrier, 0
	.set _ZL26rocblas_hemvn_kernel_upperILb1ELi64ELi4ELi33ELi32ELi16EiPK19rocblas_complex_numIdES3_PS1_EviT6_lT7_lT5_lS6_lS7_lS5_lT8_i.private_seg_size, 204
	.set _ZL26rocblas_hemvn_kernel_upperILb1ELi64ELi4ELi33ELi32ELi16EiPK19rocblas_complex_numIdES3_PS1_EviT6_lT7_lT5_lS6_lS7_lS5_lT8_i.uses_vcc, 1
	.set _ZL26rocblas_hemvn_kernel_upperILb1ELi64ELi4ELi33ELi32ELi16EiPK19rocblas_complex_numIdES3_PS1_EviT6_lT7_lT5_lS6_lS7_lS5_lT8_i.uses_flat_scratch, 1
	.set _ZL26rocblas_hemvn_kernel_upperILb1ELi64ELi4ELi33ELi32ELi16EiPK19rocblas_complex_numIdES3_PS1_EviT6_lT7_lT5_lS6_lS7_lS5_lT8_i.has_dyn_sized_stack, 0
	.set _ZL26rocblas_hemvn_kernel_upperILb1ELi64ELi4ELi33ELi32ELi16EiPK19rocblas_complex_numIdES3_PS1_EviT6_lT7_lT5_lS6_lS7_lS5_lT8_i.has_recursion, 0
	.set _ZL26rocblas_hemvn_kernel_upperILb1ELi64ELi4ELi33ELi32ELi16EiPK19rocblas_complex_numIdES3_PS1_EviT6_lT7_lT5_lS6_lS7_lS5_lT8_i.has_indirect_call, 0
	.section	.AMDGPU.csdata,"",@progbits
; Kernel info:
; codeLenInByte = 14764
; TotalNumSgprs: 90
; NumVgprs: 256
; ScratchSize: 204
; MemoryBound: 1
; FloatMode: 240
; IeeeMode: 1
; LDSByteSize: 19200 bytes/workgroup (compile time only)
; SGPRBlocks: 0
; VGPRBlocks: 31
; NumSGPRsForWavesPerEU: 90
; NumVGPRsForWavesPerEU: 256
; Occupancy: 5
; WaveLimiterHint : 0
; COMPUTE_PGM_RSRC2:SCRATCH_EN: 1
; COMPUTE_PGM_RSRC2:USER_SGPR: 2
; COMPUTE_PGM_RSRC2:TRAP_HANDLER: 0
; COMPUTE_PGM_RSRC2:TGID_X_EN: 1
; COMPUTE_PGM_RSRC2:TGID_Y_EN: 0
; COMPUTE_PGM_RSRC2:TGID_Z_EN: 1
; COMPUTE_PGM_RSRC2:TIDIG_COMP_CNT: 1
	.section	.text._ZL36rocblas_hemvn_kernel_upper_block_sumILi64EiPK19rocblas_complex_numIdEPS1_S1_EviT1_lS5_lT2_lT0_lPT3_i,"axG",@progbits,_ZL36rocblas_hemvn_kernel_upper_block_sumILi64EiPK19rocblas_complex_numIdEPS1_S1_EviT1_lS5_lT2_lT0_lPT3_i,comdat
	.globl	_ZL36rocblas_hemvn_kernel_upper_block_sumILi64EiPK19rocblas_complex_numIdEPS1_S1_EviT1_lS5_lT2_lT0_lPT3_i ; -- Begin function _ZL36rocblas_hemvn_kernel_upper_block_sumILi64EiPK19rocblas_complex_numIdEPS1_S1_EviT1_lS5_lT2_lT0_lPT3_i
	.p2align	8
	.type	_ZL36rocblas_hemvn_kernel_upper_block_sumILi64EiPK19rocblas_complex_numIdEPS1_S1_EviT1_lS5_lT2_lT0_lPT3_i,@function
_ZL36rocblas_hemvn_kernel_upper_block_sumILi64EiPK19rocblas_complex_numIdEPS1_S1_EviT1_lS5_lT2_lT0_lPT3_i: ; @_ZL36rocblas_hemvn_kernel_upper_block_sumILi64EiPK19rocblas_complex_numIdEPS1_S1_EviT1_lS5_lT2_lT0_lPT3_i
; %bb.0:
	s_load_b32 s30, s[0:1], 0x50
	s_lshr_b32 s2, ttmp7, 16
	s_wait_kmcnt 0x0
	s_cmp_ge_u32 s2, s30
	s_cbranch_scc1 .LBB19_26
; %bb.1:
	s_clause 0x3
	s_load_b128 s[16:19], s[0:1], 0x28
	s_load_b32 s20, s[0:1], 0x0
	s_load_b32 s3, s[0:1], 0x38
	s_load_b128 s[12:15], s[0:1], 0x40
	v_lshl_or_b32 v0, ttmp9, 6, v0
	s_load_b256 s[4:11], s[0:1], 0x8
	s_add_nc_u64 s[24:25], s[0:1], 0x58
	s_delay_alu instid0(VALU_DEP_1) | instskip(NEXT) | instid1(VALU_DEP_1)
	v_ashrrev_i32_e32 v1, 31, v0
	v_lshlrev_b64_e32 v[1:2], 4, v[0:1]
	s_wait_kmcnt 0x0
	s_lshl_b64 s[18:19], s[18:19], 4
	v_cmp_gt_i32_e64 s0, s20, v0
	v_mul_lo_u32 v0, s3, v0
	s_delay_alu instid0(VALU_DEP_3) | instskip(NEXT) | instid1(VALU_DEP_1)
	v_add_co_u32 v3, vcc_lo, s14, v1
	v_add_co_ci_u32_e64 v2, null, s15, v2, vcc_lo
	s_ashr_i32 s21, s20, 31
	v_add_co_u32 v4, vcc_lo, v3, 8
	v_ashrrev_i32_e32 v1, 31, v0
	s_wait_alu 0xfffd
	v_add_co_ci_u32_e64 v5, null, 0, v2, vcc_lo
	s_cmp_gt_i32 ttmp9, -1
	s_add_nc_u64 s[14:15], s[16:17], s[18:19]
	v_lshlrev_b64_e32 v[6:7], 4, v[0:1]
	s_cselect_b32 s1, -1, 0
	s_add_co_i32 s31, ttmp9, 1
	s_wait_alu 0xfffe
	s_lshl_b64 s[26:27], s[20:21], 4
	s_mov_b32 s3, 0
	s_branch .LBB19_4
.LBB19_2:                               ;   in Loop: Header=BB19_4 Depth=1
	s_wait_alu 0xfffe
	s_or_b32 exec_lo, exec_lo, s16
.LBB19_3:                               ;   in Loop: Header=BB19_4 Depth=1
	s_add_co_i32 s2, s2, 0x10000
	s_wait_alu 0xfffe
	s_cmp_lt_u32 s2, s30
	s_cbranch_scc0 .LBB19_26
.LBB19_4:                               ; =>This Loop Header: Depth=1
                                        ;     Child Loop BB19_17 Depth 2
	s_wait_alu 0xfffe
	s_mul_u64 s[16:17], s[6:7], s[2:3]
	s_wait_alu 0xfffe
	s_lshl_b64 s[16:17], s[16:17], 4
	s_wait_alu 0xfffe
	s_add_nc_u64 s[16:17], s[4:5], s[16:17]
	s_load_b128 s[20:23], s[16:17], 0x0
	s_mul_u64 s[16:17], s[10:11], s[2:3]
	s_wait_alu 0xfffe
	s_lshl_b64 s[16:17], s[16:17], 4
	s_wait_alu 0xfffe
	s_add_nc_u64 s[16:17], s[8:9], s[16:17]
	s_load_b128 s[16:19], s[16:17], 0x0
	s_wait_kmcnt 0x0
	v_cmp_neq_f64_e64 s28, s[20:21], 0
	v_cmp_neq_f64_e64 s29, s[22:23], 0
	s_or_b32 s28, s28, s29
	s_mov_b32 s29, -1
	s_wait_alu 0xfffe
	s_and_b32 vcc_lo, exec_lo, s28
	s_wait_alu 0xfffe
	s_cbranch_vccz .LBB19_6
; %bb.5:                                ;   in Loop: Header=BB19_4 Depth=1
	s_and_not1_b32 vcc_lo, exec_lo, s29
	s_wait_alu 0xfffe
	s_cbranch_vccnz .LBB19_3
	s_branch .LBB19_7
.LBB19_6:                               ;   in Loop: Header=BB19_4 Depth=1
	v_cmp_neq_f64_e64 s29, s[16:17], 1.0
	v_cmp_neq_f64_e64 s33, s[18:19], 0
	s_or_b32 s29, s29, s33
	s_wait_alu 0xfffe
	s_and_not1_b32 vcc_lo, exec_lo, s29
	s_wait_alu 0xfffe
	s_cbranch_vccnz .LBB19_3
.LBB19_7:                               ;   in Loop: Header=BB19_4 Depth=1
	s_xor_b32 s33, s28, -1
	s_mul_u64 s[28:29], s[12:13], s[2:3]
	s_and_not1_b32 vcc_lo, exec_lo, s33
	s_wait_alu 0xfffe
	s_lshl_b64 s[28:29], s[28:29], 4
	s_wait_alu 0xfffe
	s_add_nc_u64 s[28:29], s[14:15], s[28:29]
	s_cbranch_vccnz .LBB19_12
; %bb.8:                                ;   in Loop: Header=BB19_4 Depth=1
	s_mov_b32 s34, 0
	s_mov_b32 s33, 0
                                        ; implicit-def: $vgpr2_vgpr3
	s_and_saveexec_b32 s35, s0
	s_cbranch_execz .LBB19_13
; %bb.9:                                ;   in Loop: Header=BB19_4 Depth=1
	v_cmp_neq_f64_e64 s33, s[16:17], 0
	v_cmp_neq_f64_e64 s36, s[18:19], 0
	v_mov_b32_e32 v2, 0
	v_dual_mov_b32 v3, 0 :: v_dual_mov_b32 v0, 0
	v_mov_b32_e32 v1, 0
	s_or_b32 s33, s33, s36
	s_delay_alu instid0(SALU_CYCLE_1)
	s_and_not1_b32 vcc_lo, exec_lo, s33
	s_wait_alu 0xfffe
	s_cbranch_vccnz .LBB19_11
; %bb.10:                               ;   in Loop: Header=BB19_4 Depth=1
	v_add_co_u32 v0, vcc_lo, s28, v6
	s_wait_alu 0xfffd
	v_add_co_ci_u32_e64 v1, null, s29, v7, vcc_lo
	global_load_b128 v[8:11], v[0:1], off
	s_wait_loadcnt 0x0
	v_mul_f64_e32 v[0:1], s[18:19], v[10:11]
	v_mul_f64_e32 v[2:3], s[16:17], v[10:11]
	s_delay_alu instid0(VALU_DEP_2) | instskip(NEXT) | instid1(VALU_DEP_2)
	v_fma_f64 v[0:1], s[16:17], v[8:9], -v[0:1]
	v_fma_f64 v[2:3], s[18:19], v[8:9], v[2:3]
.LBB19_11:                              ;   in Loop: Header=BB19_4 Depth=1
	s_mov_b32 s33, exec_lo
	s_or_b32 exec_lo, exec_lo, s35
	s_delay_alu instid0(SALU_CYCLE_1)
	s_and_b32 vcc_lo, exec_lo, s34
	s_wait_alu 0xfffe
	s_cbranch_vccnz .LBB19_14
	s_branch .LBB19_24
.LBB19_12:                              ;   in Loop: Header=BB19_4 Depth=1
	s_mov_b32 s33, 0
                                        ; implicit-def: $vgpr2_vgpr3
	s_cbranch_execnz .LBB19_14
	s_branch .LBB19_24
.LBB19_13:                              ;   in Loop: Header=BB19_4 Depth=1
	s_or_b32 exec_lo, exec_lo, s35
	s_delay_alu instid0(SALU_CYCLE_1)
	s_and_b32 vcc_lo, exec_lo, s34
	s_wait_alu 0xfffe
	s_cbranch_vccz .LBB19_24
.LBB19_14:                              ;   in Loop: Header=BB19_4 Depth=1
                                        ; implicit-def: $vgpr2_vgpr3
	s_and_saveexec_b32 s34, s0
	s_cbranch_execz .LBB19_23
; %bb.15:                               ;   in Loop: Header=BB19_4 Depth=1
	v_mov_b32_e32 v0, 0
	v_dual_mov_b32 v1, 0 :: v_dual_mov_b32 v2, 0
	v_mov_b32_e32 v3, 0
	s_and_not1_b32 vcc_lo, exec_lo, s1
	s_wait_alu 0xfffe
	s_cbranch_vccnz .LBB19_18
; %bb.16:                               ;   in Loop: Header=BB19_4 Depth=1
	s_load_b32 s36, s[24:25], 0x0
	s_mov_b32 s37, s3
	v_mov_b32_e32 v2, 0
	s_mov_b32 s35, s31
	v_mov_b32_e32 v3, 0
	s_wait_kmcnt 0x0
	s_wait_alu 0xfffe
	s_mul_u64 s[36:37], s[26:27], s[36:37]
	s_wait_alu 0xfffe
	v_mad_co_u64_u32 v[8:9], null, s36, s2, v[4:5]
	s_delay_alu instid0(VALU_DEP_1) | instskip(NEXT) | instid1(VALU_DEP_1)
	v_mov_b32_e32 v0, v9
	v_mad_co_u64_u32 v[9:10], null, s37, s2, v[0:1]
	v_mov_b32_e32 v0, 0
	v_mov_b32_e32 v1, 0
.LBB19_17:                              ;   Parent Loop BB19_4 Depth=1
                                        ; =>  This Inner Loop Header: Depth=2
	global_load_b128 v[10:13], v[8:9], off offset:-8
	v_add_co_u32 v8, vcc_lo, v8, s26
	s_wait_alu 0xfffd
	v_add_co_ci_u32_e64 v9, null, s27, v9, vcc_lo
	s_add_co_i32 s35, s35, -1
	s_delay_alu instid0(SALU_CYCLE_1)
	s_cmp_eq_u32 s35, 0
	s_wait_loadcnt 0x0
	v_add_f64_e32 v[2:3], v[2:3], v[10:11]
	v_add_f64_e32 v[0:1], v[0:1], v[12:13]
	s_cbranch_scc0 .LBB19_17
.LBB19_18:                              ;   in Loop: Header=BB19_4 Depth=1
	s_delay_alu instid0(VALU_DEP_1) | instskip(SKIP_3) | instid1(VALU_DEP_4)
	v_mul_f64_e32 v[8:9], s[22:23], v[0:1]
	v_mul_f64_e32 v[10:11], s[20:21], v[0:1]
	v_cmp_neq_f64_e64 s35, s[16:17], 0
	v_cmp_neq_f64_e64 s36, s[18:19], 0
	v_fma_f64 v[0:1], s[20:21], v[2:3], -v[8:9]
	s_delay_alu instid0(VALU_DEP_4)
	v_fma_f64 v[2:3], s[22:23], v[2:3], v[10:11]
	s_or_b32 s20, s35, s36
	s_wait_alu 0xfffe
	s_and_not1_b32 vcc_lo, exec_lo, s20
	s_mov_b32 s20, -1
	s_wait_alu 0xfffe
	s_cbranch_vccz .LBB19_20
; %bb.19:                               ;   in Loop: Header=BB19_4 Depth=1
	s_mov_b32 s20, 0
.LBB19_20:                              ;   in Loop: Header=BB19_4 Depth=1
	s_wait_alu 0xfffe
	s_and_not1_b32 vcc_lo, exec_lo, s20
	s_wait_alu 0xfffe
	s_cbranch_vccnz .LBB19_22
; %bb.21:                               ;   in Loop: Header=BB19_4 Depth=1
	v_add_co_u32 v8, vcc_lo, s28, v6
	s_wait_alu 0xfffd
	v_add_co_ci_u32_e64 v9, null, s29, v7, vcc_lo
	global_load_b128 v[8:11], v[8:9], off
	s_wait_loadcnt 0x0
	v_mul_f64_e32 v[12:13], s[18:19], v[10:11]
	v_mul_f64_e32 v[10:11], s[16:17], v[10:11]
	s_delay_alu instid0(VALU_DEP_2) | instskip(NEXT) | instid1(VALU_DEP_2)
	v_fma_f64 v[12:13], s[16:17], v[8:9], -v[12:13]
	v_fma_f64 v[8:9], s[18:19], v[8:9], v[10:11]
	s_delay_alu instid0(VALU_DEP_2) | instskip(NEXT) | instid1(VALU_DEP_2)
	v_add_f64_e32 v[0:1], v[0:1], v[12:13]
	v_add_f64_e32 v[2:3], v[2:3], v[8:9]
.LBB19_22:                              ;   in Loop: Header=BB19_4 Depth=1
	s_or_b32 s33, s33, exec_lo
.LBB19_23:                              ;   in Loop: Header=BB19_4 Depth=1
	s_or_b32 exec_lo, exec_lo, s34
.LBB19_24:                              ;   in Loop: Header=BB19_4 Depth=1
	s_and_saveexec_b32 s16, s33
	s_cbranch_execz .LBB19_2
; %bb.25:                               ;   in Loop: Header=BB19_4 Depth=1
	s_wait_alu 0xfffe
	v_add_co_u32 v8, vcc_lo, s28, v6
	s_wait_alu 0xfffd
	v_add_co_ci_u32_e64 v9, null, s29, v7, vcc_lo
	global_store_b128 v[8:9], v[0:3], off
	s_branch .LBB19_2
.LBB19_26:
	s_endpgm
	.section	.rodata,"a",@progbits
	.p2align	6, 0x0
	.amdhsa_kernel _ZL36rocblas_hemvn_kernel_upper_block_sumILi64EiPK19rocblas_complex_numIdEPS1_S1_EviT1_lS5_lT2_lT0_lPT3_i
		.amdhsa_group_segment_fixed_size 0
		.amdhsa_private_segment_fixed_size 0
		.amdhsa_kernarg_size 344
		.amdhsa_user_sgpr_count 2
		.amdhsa_user_sgpr_dispatch_ptr 0
		.amdhsa_user_sgpr_queue_ptr 0
		.amdhsa_user_sgpr_kernarg_segment_ptr 1
		.amdhsa_user_sgpr_dispatch_id 0
		.amdhsa_user_sgpr_private_segment_size 0
		.amdhsa_wavefront_size32 1
		.amdhsa_uses_dynamic_stack 0
		.amdhsa_enable_private_segment 0
		.amdhsa_system_sgpr_workgroup_id_x 1
		.amdhsa_system_sgpr_workgroup_id_y 0
		.amdhsa_system_sgpr_workgroup_id_z 1
		.amdhsa_system_sgpr_workgroup_info 0
		.amdhsa_system_vgpr_workitem_id 0
		.amdhsa_next_free_vgpr 14
		.amdhsa_next_free_sgpr 38
		.amdhsa_reserve_vcc 1
		.amdhsa_float_round_mode_32 0
		.amdhsa_float_round_mode_16_64 0
		.amdhsa_float_denorm_mode_32 3
		.amdhsa_float_denorm_mode_16_64 3
		.amdhsa_fp16_overflow 0
		.amdhsa_workgroup_processor_mode 1
		.amdhsa_memory_ordered 1
		.amdhsa_forward_progress 1
		.amdhsa_inst_pref_size 8
		.amdhsa_round_robin_scheduling 0
		.amdhsa_exception_fp_ieee_invalid_op 0
		.amdhsa_exception_fp_denorm_src 0
		.amdhsa_exception_fp_ieee_div_zero 0
		.amdhsa_exception_fp_ieee_overflow 0
		.amdhsa_exception_fp_ieee_underflow 0
		.amdhsa_exception_fp_ieee_inexact 0
		.amdhsa_exception_int_div_zero 0
	.end_amdhsa_kernel
	.section	.text._ZL36rocblas_hemvn_kernel_upper_block_sumILi64EiPK19rocblas_complex_numIdEPS1_S1_EviT1_lS5_lT2_lT0_lPT3_i,"axG",@progbits,_ZL36rocblas_hemvn_kernel_upper_block_sumILi64EiPK19rocblas_complex_numIdEPS1_S1_EviT1_lS5_lT2_lT0_lPT3_i,comdat
.Lfunc_end19:
	.size	_ZL36rocblas_hemvn_kernel_upper_block_sumILi64EiPK19rocblas_complex_numIdEPS1_S1_EviT1_lS5_lT2_lT0_lPT3_i, .Lfunc_end19-_ZL36rocblas_hemvn_kernel_upper_block_sumILi64EiPK19rocblas_complex_numIdEPS1_S1_EviT1_lS5_lT2_lT0_lPT3_i
                                        ; -- End function
	.set _ZL36rocblas_hemvn_kernel_upper_block_sumILi64EiPK19rocblas_complex_numIdEPS1_S1_EviT1_lS5_lT2_lT0_lPT3_i.num_vgpr, 14
	.set _ZL36rocblas_hemvn_kernel_upper_block_sumILi64EiPK19rocblas_complex_numIdEPS1_S1_EviT1_lS5_lT2_lT0_lPT3_i.num_agpr, 0
	.set _ZL36rocblas_hemvn_kernel_upper_block_sumILi64EiPK19rocblas_complex_numIdEPS1_S1_EviT1_lS5_lT2_lT0_lPT3_i.numbered_sgpr, 38
	.set _ZL36rocblas_hemvn_kernel_upper_block_sumILi64EiPK19rocblas_complex_numIdEPS1_S1_EviT1_lS5_lT2_lT0_lPT3_i.num_named_barrier, 0
	.set _ZL36rocblas_hemvn_kernel_upper_block_sumILi64EiPK19rocblas_complex_numIdEPS1_S1_EviT1_lS5_lT2_lT0_lPT3_i.private_seg_size, 0
	.set _ZL36rocblas_hemvn_kernel_upper_block_sumILi64EiPK19rocblas_complex_numIdEPS1_S1_EviT1_lS5_lT2_lT0_lPT3_i.uses_vcc, 1
	.set _ZL36rocblas_hemvn_kernel_upper_block_sumILi64EiPK19rocblas_complex_numIdEPS1_S1_EviT1_lS5_lT2_lT0_lPT3_i.uses_flat_scratch, 0
	.set _ZL36rocblas_hemvn_kernel_upper_block_sumILi64EiPK19rocblas_complex_numIdEPS1_S1_EviT1_lS5_lT2_lT0_lPT3_i.has_dyn_sized_stack, 0
	.set _ZL36rocblas_hemvn_kernel_upper_block_sumILi64EiPK19rocblas_complex_numIdEPS1_S1_EviT1_lS5_lT2_lT0_lPT3_i.has_recursion, 0
	.set _ZL36rocblas_hemvn_kernel_upper_block_sumILi64EiPK19rocblas_complex_numIdEPS1_S1_EviT1_lS5_lT2_lT0_lPT3_i.has_indirect_call, 0
	.section	.AMDGPU.csdata,"",@progbits
; Kernel info:
; codeLenInByte = 1008
; TotalNumSgprs: 40
; NumVgprs: 14
; ScratchSize: 0
; MemoryBound: 0
; FloatMode: 240
; IeeeMode: 1
; LDSByteSize: 0 bytes/workgroup (compile time only)
; SGPRBlocks: 0
; VGPRBlocks: 1
; NumSGPRsForWavesPerEU: 40
; NumVGPRsForWavesPerEU: 14
; Occupancy: 16
; WaveLimiterHint : 0
; COMPUTE_PGM_RSRC2:SCRATCH_EN: 0
; COMPUTE_PGM_RSRC2:USER_SGPR: 2
; COMPUTE_PGM_RSRC2:TRAP_HANDLER: 0
; COMPUTE_PGM_RSRC2:TGID_X_EN: 1
; COMPUTE_PGM_RSRC2:TGID_Y_EN: 0
; COMPUTE_PGM_RSRC2:TGID_Z_EN: 1
; COMPUTE_PGM_RSRC2:TIDIG_COMP_CNT: 0
	.section	.text._ZL26rocblas_hemvn_kernel_upperILb1ELi64ELi4ELi33ELi32ELi16El19rocblas_complex_numIdEPKS1_PS1_EviT6_lT7_lT5_lS6_lS7_lS5_lT8_i,"axG",@progbits,_ZL26rocblas_hemvn_kernel_upperILb1ELi64ELi4ELi33ELi32ELi16El19rocblas_complex_numIdEPKS1_PS1_EviT6_lT7_lT5_lS6_lS7_lS5_lT8_i,comdat
	.globl	_ZL26rocblas_hemvn_kernel_upperILb1ELi64ELi4ELi33ELi32ELi16El19rocblas_complex_numIdEPKS1_PS1_EviT6_lT7_lT5_lS6_lS7_lS5_lT8_i ; -- Begin function _ZL26rocblas_hemvn_kernel_upperILb1ELi64ELi4ELi33ELi32ELi16El19rocblas_complex_numIdEPKS1_PS1_EviT6_lT7_lT5_lS6_lS7_lS5_lT8_i
	.p2align	8
	.type	_ZL26rocblas_hemvn_kernel_upperILb1ELi64ELi4ELi33ELi32ELi16El19rocblas_complex_numIdEPKS1_PS1_EviT6_lT7_lT5_lS6_lS7_lS5_lT8_i,@function
_ZL26rocblas_hemvn_kernel_upperILb1ELi64ELi4ELi33ELi32ELi16El19rocblas_complex_numIdEPKS1_PS1_EviT6_lT7_lT5_lS6_lS7_lS5_lT8_i: ; @_ZL26rocblas_hemvn_kernel_upperILb1ELi64ELi4ELi33ELi32ELi16El19rocblas_complex_numIdEPKS1_PS1_EviT6_lT7_lT5_lS6_lS7_lS5_lT8_i
; %bb.0:
	s_clause 0x1
	s_load_b64 s[2:3], s[0:1], 0x94
	s_load_b32 s33, s[0:1], 0x80
	s_lshr_b32 s24, ttmp7, 16
	s_wait_kmcnt 0x0
	s_lshr_b32 s4, s2, 16
	s_and_b32 s2, s2, 0xffff
	s_and_b32 s3, s3, 0xffff
	s_mul_i32 s2, s4, s2
	s_delay_alu instid0(SALU_CYCLE_1) | instskip(NEXT) | instid1(SALU_CYCLE_1)
	s_mul_i32 s2, s2, s3
	s_cmp_lg_u32 s2, 0x100
	s_cselect_b32 s2, -1, 0
	s_cmp_ge_u32 s24, s33
	s_cselect_b32 s3, -1, 0
	s_delay_alu instid0(SALU_CYCLE_1) | instskip(NEXT) | instid1(SALU_CYCLE_1)
	s_or_b32 s2, s2, s3
	s_and_b32 vcc_lo, exec_lo, s2
	s_cbranch_vccnz .LBB20_187
; %bb.1:
	s_clause 0x1
	s_load_b128 s[8:11], s[0:1], 0x8
	s_load_b32 s12, s[0:1], 0x0
	s_add_nc_u64 s[16:17], s[0:1], 0x88
	s_clause 0x2
	s_load_b512 s[36:51], s[0:1], 0x20
	s_load_b64 s[14:15], s[0:1], 0x78
	s_load_b128 s[4:7], s[0:1], 0x60
	v_bfe_u32 v12, v0, 10, 10
	v_and_b32_e32 v177, 0x3ff, v0
	v_dual_mov_b32 v1, 0 :: v_dual_and_b32 v2, 31, v0
	s_lshl_b32 s22, ttmp9, 6
	s_delay_alu instid0(VALU_DEP_3) | instskip(NEXT) | instid1(VALU_DEP_3)
	v_lshlrev_b32_e32 v21, 6, v12
	v_add_nc_u32_e32 v4, s22, v177
	s_load_b32 s26, s[16:17], 0x0
	v_mov_b32_e32 v3, v1
	s_mov_b32 s25, 0
	v_add_nc_u32_e32 v13, v21, v177
	v_ashrrev_i32_e32 v5, 31, v4
	s_mov_b32 s27, s25
	s_mov_b32 s2, ttmp9
	v_cmp_eq_u32_e64 s0, 0, v12
	v_lshrrev_b32_e32 v14, 5, v13
	s_wait_kmcnt 0x0
	v_cmp_neq_f64_e64 s1, s[8:9], 0
	v_cmp_neq_f64_e64 s3, s[10:11], 0
	v_mul_lo_u32 v10, s48, v5
	v_mul_lo_u32 v11, s49, v4
	v_mad_co_u64_u32 v[6:7], null, s40, v14, v[2:3]
	v_mad_co_u64_u32 v[8:9], null, s48, v4, 0
	v_lshlrev_b32_e32 v178, 4, v177
	s_ashr_i32 s13, s12, 31
	s_lshl_b64 s[8:9], s[46:47], 4
	v_cmp_neq_f64_e64 s46, s[4:5], 1.0
	s_delay_alu instid0(VALU_DEP_4)
	v_mov_b32_e32 v3, v7
	s_wait_alu 0xfffe
	s_add_nc_u64 s[4:5], s[44:45], s[8:9]
	s_lshr_b32 s8, s13, 26
	v_add3_u32 v9, v9, v10, v11
	s_wait_alu 0xfffe
	s_add_co_i32 s8, s12, s8
	v_mad_co_u64_u32 v[10:11], null, s41, v14, v[3:4]
	s_wait_alu 0xfffe
	s_and_not1_b32 s8, s8, 63
	s_add_co_i32 s9, s26, -1
	s_lshl_b64 s[10:11], s[38:39], 4
	s_mul_u64 s[28:29], s[26:27], s[12:13]
	s_wait_alu 0xfffe
	s_sub_co_i32 s27, s12, s8
	v_lshlrev_b64_e32 v[8:9], 4, v[8:9]
	v_dual_mov_b32 v7, v10 :: v_dual_lshlrev_b32 v22, 4, v2
	v_cmp_neq_f64_e64 s56, s[6:7], 0
	s_add_nc_u64 s[6:7], s[36:37], s[10:11]
	v_add_nc_u32_e32 v10, 16, v14
	v_add_co_u32 v191, vcc_lo, s4, v8
	v_lshlrev_b64_e32 v[6:7], 4, v[6:7]
	v_add_co_ci_u32_e64 v193, null, s5, v9, vcc_lo
	v_lshlrev_b32_e32 v15, 2, v14
	v_lshl_or_b32 v16, v2, 9, v22
	v_lshlrev_b32_e32 v17, 6, v14
	v_add_nc_u32_e32 v11, 24, v14
	s_or_b32 s47, s1, s3
	s_cmp_eq_u32 ttmp9, s9
	v_mad_u32_u24 v184, 0x210, v14, v22
	s_cselect_b32 s30, s27, 0
	v_add_nc_u32_e32 v189, v16, v17
	s_cmp_lg_u32 s30, 0
	v_cmp_gt_i32_e32 vcc_lo, s30, v177
	s_cselect_b32 s60, -1, 0
	s_cmp_eq_u32 s30, 0
	v_or_b32_e32 v16, 2, v15
	s_cselect_b32 s1, -1, 0
	s_ashr_i32 s23, s22, 31
	s_ashr_i32 s3, ttmp9, 31
	s_wait_alu 0xfffe
	s_lshl_b64 s[4:5], s[22:23], 4
	s_mul_u64 s[2:3], s[12:13], s[2:3]
	s_wait_alu 0xfffe
	s_add_nc_u64 s[4:5], s[6:7], s[4:5]
	s_or_b32 s57, s1, vcc_lo
	s_wait_alu 0xfffe
	v_add_co_u32 v3, vcc_lo, s4, v6
	s_mul_u64 s[8:9], s[40:41], s[22:23]
	s_lshl_b64 s[2:3], s[2:3], 4
	s_wait_alu 0xfffd
	v_add_co_ci_u32_e64 v8, null, s5, v7, vcc_lo
	s_add_nc_u64 s[34:35], s[14:15], s[2:3]
	s_wait_alu 0xfffe
	s_lshl_b64 s[2:3], s[8:9], 4
	s_sub_co_i32 s19, s30, 32
	v_add_co_u32 v3, vcc_lo, v3, s2
	v_cmp_le_i32_e64 s4, s30, v10
	v_cmp_le_i32_e64 s18, s19, v10
	v_and_b32_e32 v10, 48, v0
	scratch_store_b32 off, v3, off          ; 4-byte Folded Spill
	s_wait_alu 0xfffd
	v_add_co_ci_u32_e64 v3, null, s3, v8, vcc_lo
	v_sub_co_u32 v8, s2, 0, v2
	s_wait_alu 0xf1ff
	v_sub_co_ci_u32_e64 v9, null, 0, 0, s2
	scratch_store_b32 off, v3, off offset:4 ; 4-byte Folded Spill
	v_add_nc_u32_e32 v3, 8, v14
	v_cmp_le_i32_e64 s2, s30, v14
	v_cmp_le_i32_e64 s5, s30, v11
	v_mul_u32_u24_e32 v23, 0x840, v14
	v_cmp_le_u32_e64 s10, v16, v2
	v_cmp_le_i32_e64 s3, s30, v3
	v_cmp_le_i32_e64 s17, s19, v3
	v_lshrrev_b32_e32 v3, 4, v13
	v_cmp_eq_u32_e64 s11, v16, v2
	v_lshlrev_b32_e32 v16, 4, v14
	v_add_nc_u32_e32 v194, 0x4700, v17
	v_cmp_le_i32_e64 s16, s19, v14
	v_cmp_le_i32_e64 s19, s19, v11
	v_cmp_eq_u32_e64 s20, 1, v14
	v_mul_i32_i24_e32 v196, 0xffffffd0, v14
	v_and_b32_e32 v14, 15, v0
	v_lshlrev_b32_e32 v11, 6, v3
	v_lshlrev_b32_e32 v10, 4, v10
	v_add_nc_u32_e32 v17, 0x200, v21
	v_cmp_le_u32_e64 s6, v15, v2
	v_cmp_eq_u32_e64 s7, v15, v2
	v_or_b32_e32 v18, 1, v15
	v_cmp_ge_u32_e64 s8, v15, v2
	v_or_b32_e32 v15, 3, v15
	v_mad_u32_u24 v200, 0x430, v14, v11
	v_mad_u32_u24 v201, 0x430, v14, v10
	v_mad_co_u64_u32 v[10:11], null, s40, v17, 0
	v_mul_u32_u24_e32 v24, 0x210, v18
	v_cmp_eq_u32_e64 s9, v18, v2
	v_mul_u32_u24_e32 v18, 33, v2
	v_cmp_le_u32_e64 s12, v15, v2
	v_cmp_eq_u32_e64 s13, v15, v2
	v_or_b32_e32 v15, 32, v2
	v_mul_i32_i24_e32 v25, 0xffffffd0, v3
	v_lshlrev_b32_e32 v192, 4, v18
	v_dual_mov_b32 v3, v11 :: v_dual_add_nc_u32 v18, 0x530, v21
	s_delay_alu instid0(VALU_DEP_4)
	v_cmp_gt_i32_e64 s15, s30, v15
	v_or_b32_e32 v15, 0xf0, v178
	s_add_co_i32 s21, ttmp9, 1
	s_xor_b32 s61, s57, -1
	s_ashr_i32 s31, s30, 31
	s_lshl_b64 s[36:37], s[40:41], 7
	s_lshl_b64 s[38:39], s[40:41], 8
	;; [unrolled: 1-line block ×3, first 2 shown]
	v_cmp_gt_u32_e64 s14, 32, v13
	v_lshlrev_b32_e32 v197, 2, v12
	s_cmp_lt_u32 s21, s26
	v_mad_u32_u24 v199, 0x10c0, v12, v178
	v_cmp_gt_u32_e64 s21, 64, v13
	v_mad_u32_u24 v202, 0x430, v14, v15
	v_mad_u32_u24 v203, 0x430, v12, v178
	v_mad_co_u64_u32 v[11:12], null, s40, v18, 0
	v_mad_co_u64_u32 v[13:14], null, s41, v17, v[3:4]
	v_add_nc_u32_e32 v17, 0x220, v21
	v_sub_co_u32 v10, vcc_lo, v10, v6
	s_delay_alu instid0(VALU_DEP_4) | instskip(NEXT) | instid1(VALU_DEP_3)
	v_dual_mov_b32 v3, v12 :: v_dual_add_nc_u32 v186, 0x2100, v184
	v_mad_co_u64_u32 v[14:15], null, s40, v17, 0
	s_wait_alu 0xfffd
	v_sub_co_ci_u32_e64 v12, null, v13, v7, vcc_lo
	v_add_nc_u32_e32 v190, 16, v189
	v_or_b32_e32 v10, 8, v10
	v_add_nc_u32_e32 v20, 0x520, v21
	scratch_store_b32 off, v12, off offset:8 ; 4-byte Folded Spill
	v_mad_co_u64_u32 v[12:13], null, s41, v18, v[3:4]
	v_mov_b32_e32 v3, v15
	v_add_nc_u32_e32 v195, v192, v16
	v_add_nc_u32_e32 v205, 0x4700, v16
	v_mad_co_u64_u32 v[15:16], null, s40, v20, 0
	s_delay_alu instid0(VALU_DEP_4)
	v_mad_co_u64_u32 v[17:18], null, s41, v17, v[3:4]
	v_sub_co_u32 v3, vcc_lo, v11, v6
	scratch_store_b32 off, v10, off offset:12 ; 4-byte Folded Spill
	v_add_nc_u32_e32 v13, 0x210, v21
	s_mul_u64 s[54:55], s[48:49], s[22:23]
	scratch_store_b32 off, v3, off offset:16 ; 4-byte Folded Spill
	s_wait_alu 0xfffd
	v_sub_co_ci_u32_e64 v3, null, v12, v7, vcc_lo
	v_sub_co_u32 v10, vcc_lo, v14, v6
	v_mad_co_u64_u32 v[18:19], null, s40, v13, 0
	scratch_store_b32 off, v3, off offset:20 ; 4-byte Folded Spill
	v_mov_b32_e32 v3, v16
	s_cselect_b32 s23, -1, 0
	s_add_co_i32 s64, s22, 64
	v_lshlrev_b64_e32 v[175:176], 4, v[8:9]
	v_cmp_gt_i32_e64 s1, s30, v2
	v_mad_co_u64_u32 v[11:12], null, s41, v20, v[3:4]
	v_sub_co_u32 v3, s22, v15, v6
	scratch_store_b32 off, v10, off offset:24 ; 4-byte Folded Spill
	s_wait_alu 0xfffd
	v_sub_co_ci_u32_e64 v10, null, v17, v7, vcc_lo
	scratch_store_b32 off, v3, off offset:32 ; 4-byte Folded Spill
	s_wait_alu 0xf1ff
	v_sub_co_ci_u32_e64 v3, null, v11, v7, s22
	scratch_store_b32 off, v10, off offset:28 ; 4-byte Folded Spill
	v_dual_mov_b32 v10, v19 :: v_dual_add_nc_u32 v19, 0x510, v21
	v_add_nc_u32_e32 v20, 0x230, v21
	v_add_nc_u32_e32 v185, 0x1080, v184
	;; [unrolled: 1-line block ×3, first 2 shown]
	s_delay_alu instid0(VALU_DEP_4) | instskip(SKIP_4) | instid1(VALU_DEP_4)
	v_mad_co_u64_u32 v[12:13], null, s41, v13, v[10:11]
	v_mad_co_u64_u32 v[13:14], null, s40, v19, 0
	v_sub_co_u32 v10, vcc_lo, v18, v6
	v_mad_co_u64_u32 v[16:17], null, s40, v20, 0
	s_wait_alu 0xfffd
	v_sub_co_ci_u32_e64 v11, null, v12, v7, vcc_lo
	scratch_store_b32 off, v3, off offset:36 ; 4-byte Folded Spill
	v_mov_b32_e32 v3, v14
	v_or_b32_e32 v10, 8, v10
	scratch_store_b32 off, v11, off offset:40 ; 4-byte Folded Spill
	v_mad_u32_u24 v188, 0x210, v2, v22
	v_cndmask_b32_e64 v204, 0, 1, s47
	v_mad_co_u64_u32 v[11:12], null, s41, v19, v[3:4]
	v_sub_co_u32 v3, vcc_lo, v13, v6
	scratch_store_b32 off, v10, off offset:44 ; 4-byte Folded Spill
	v_mov_b32_e32 v10, v17
	v_add_nc_u32_e32 v12, 0x500, v21
	v_add_nc_u32_e32 v26, 0x300, v21
	scratch_store_b32 off, v3, off offset:48 ; 4-byte Folded Spill
	s_wait_alu 0xfffd
	v_sub_co_ci_u32_e64 v3, null, v11, v7, vcc_lo
	v_mad_co_u64_u32 v[14:15], null, s41, v20, v[10:11]
	v_mad_co_u64_u32 v[17:18], null, s40, v12, 0
	v_sub_co_u32 v11, vcc_lo, v16, v6
	v_mad_co_u64_u32 v[19:20], null, s40, v26, 0
	s_wait_alu 0xfffd
	s_delay_alu instid0(VALU_DEP_4)
	v_sub_co_ci_u32_e64 v10, null, v14, v7, vcc_lo
	scratch_store_b32 off, v3, off offset:52 ; 4-byte Folded Spill
	v_mov_b32_e32 v3, v18
	v_or_b32_e32 v11, 8, v11
	scratch_store_b32 off, v10, off offset:56 ; 4-byte Folded Spill
	v_mov_b32_e32 v10, v20
	v_add_nc_u32_e32 v18, 0x430, v21
	v_add_nc_u32_e32 v20, 0x310, v21
	scratch_store_b32 off, v11, off offset:60 ; 4-byte Folded Spill
	v_mad_co_u64_u32 v[11:12], null, s41, v12, v[3:4]
	v_sub_co_u32 v3, s22, v17, v6
	v_mad_co_u64_u32 v[15:16], null, s40, v20, 0
	v_add_nc_u32_e32 v179, 0x4700, v178
	v_add_nc_u32_e32 v238, v200, v25
	v_mad_co_u64_u32 v[12:13], null, s41, v26, v[10:11]
	v_sub_co_u32 v10, vcc_lo, v19, v6
	v_mad_co_u64_u32 v[13:14], null, s40, v18, 0
	v_lshlrev_b32_e32 v239, 4, v2
	s_delay_alu instid0(VALU_DEP_3)
	v_or_b32_e32 v10, 8, v10
	scratch_store_b32 off, v3, off offset:64 ; 4-byte Folded Spill
	s_wait_alu 0xf1ff
	v_sub_co_ci_u32_e64 v3, null, v11, v7, s22
	v_add_nc_u32_e32 v240, v22, v23
	v_add_nc_u32_e32 v241, v22, v24
	s_sub_nc_u64 s[54:55], 0, s[54:55]
	scratch_store_b32 off, v3, off offset:68 ; 4-byte Folded Spill
	s_wait_alu 0xfffd
	v_sub_co_ci_u32_e64 v3, null, v12, v7, vcc_lo
	s_and_b32 s63, s0, s57
	s_or_b32 s57, s47, s46
	s_mul_u64 s[44:45], s[40:41], 0x180
	scratch_store_b32 off, v3, off offset:72 ; 4-byte Folded Spill
	v_dual_mov_b32 v3, v14 :: v_dual_add_nc_u32 v14, 0x420, v21
	s_add_co_i32 s62, s26, -2
	s_wait_alu 0xfffe
	s_sub_nc_u64 s[46:47], 0, s[30:31]
	s_or_b32 s65, s57, s56
	v_mad_co_u64_u32 v[11:12], null, s41, v18, v[3:4]
	v_sub_co_u32 v3, vcc_lo, v13, v6
	scratch_store_b32 off, v10, off offset:76 ; 4-byte Folded Spill
	v_mov_b32_e32 v10, v16
	v_mad_co_u64_u32 v[16:17], null, s40, v14, 0
	scratch_store_b32 off, v3, off offset:80 ; 4-byte Folded Spill
	s_wait_alu 0xfffd
	v_sub_co_ci_u32_e64 v3, null, v11, v7, vcc_lo
	v_mad_co_u64_u32 v[18:19], null, s41, v20, v[10:11]
	v_add_nc_u32_e32 v19, 0x320, v21
	v_sub_co_u32 v15, vcc_lo, v15, v6
	v_add_nc_u32_e32 v20, 0x330, v21
	s_lshl_b64 s[52:53], s[52:53], 4
	s_delay_alu instid0(VALU_DEP_3)
	v_mad_co_u64_u32 v[10:11], null, s40, v19, 0
	s_wait_alu 0xfffd
	v_sub_co_ci_u32_e64 v12, null, v18, v7, vcc_lo
	scratch_store_b32 off, v3, off offset:84 ; 4-byte Folded Spill
	v_dual_mov_b32 v3, v17 :: v_dual_add_nc_u32 v0, 0x4300, v178
	scratch_store_b32 off, v12, off offset:88 ; 4-byte Folded Spill
	v_add_nc_u32_e32 v18, 0x410, v21
	s_lshl_b64 s[54:55], s[54:55], 4
	v_mad_co_u64_u32 v[12:13], null, s41, v14, v[3:4]
	v_or_b32_e32 v3, 8, v15
	s_delay_alu instid0(VALU_DEP_3)
	v_mad_co_u64_u32 v[13:14], null, s40, v18, 0
	v_add_nc_u32_e32 v198, 0x4300, v21
	v_add_nc_u32_e32 v21, 0x400, v21
	scratch_store_b32 off, v3, off offset:92 ; 4-byte Folded Spill
	v_mov_b32_e32 v3, v11
	v_sub_co_u32 v11, vcc_lo, v16, v6
	v_mad_co_u64_u32 v[16:17], null, s40, v21, 0
	scratch_store_b32 off, v11, off offset:96 ; 4-byte Folded Spill
	s_wait_alu 0xfffd
	v_sub_co_ci_u32_e64 v11, null, v12, v7, vcc_lo
	v_sub_co_u32 v10, vcc_lo, v10, v6
	scratch_store_b32 off, v11, off offset:100 ; 4-byte Folded Spill
	v_mad_co_u64_u32 v[11:12], null, s41, v19, v[3:4]
	v_mov_b32_e32 v3, v14
	v_mad_co_u64_u32 v[14:15], null, s40, v20, 0
	s_delay_alu instid0(VALU_DEP_2) | instskip(SKIP_1) | instid1(VALU_DEP_4)
	v_mad_co_u64_u32 v[18:19], null, s41, v18, v[3:4]
	s_wait_alu 0xfffd
	v_sub_co_ci_u32_e64 v3, null, v11, v7, vcc_lo
	v_sub_co_u32 v11, vcc_lo, v13, v6
	scratch_store_b32 off, v3, off offset:104 ; 4-byte Folded Spill
	v_or_b32_e32 v3, 8, v10
	scratch_store_b32 off, v11, off offset:112 ; 4-byte Folded Spill
	s_wait_alu 0xfffd
	v_sub_co_ci_u32_e64 v11, null, v18, v7, vcc_lo
	v_mov_b32_e32 v10, v17
	scratch_store_b32 off, v3, off offset:108 ; 4-byte Folded Spill
	v_mov_b32_e32 v3, v15
	scratch_store_b32 off, v11, off offset:116 ; 4-byte Folded Spill
	v_mad_co_u64_u32 v[11:12], null, s41, v20, v[3:4]
	v_sub_co_u32 v3, vcc_lo, v14, v6
	v_sub_co_u32 v6, s22, v16, v6
	s_delay_alu instid0(VALU_DEP_2) | instskip(NEXT) | instid1(VALU_DEP_4)
	v_or_b32_e32 v3, 8, v3
	v_mad_co_u64_u32 v[12:13], null, s41, v21, v[10:11]
	s_wait_alu 0xfffd
	v_sub_co_ci_u32_e64 v10, null, v11, v7, vcc_lo
	scratch_store_b32 off, v3, off offset:124 ; 4-byte Folded Spill
	s_lshl_b64 s[40:41], s[40:41], 10
	scratch_store_b32 off, v10, off offset:120 ; 4-byte Folded Spill
	v_sub_co_ci_u32_e64 v3, null, v12, v7, s22
	scratch_store_b32 off, v3, off offset:128 ; 4-byte Folded Spill
	v_or_b32_e32 v3, 8, v6
	scratch_store_b32 off, v3, off offset:132 ; 4-byte Folded Spill
	v_lshlrev_b64_e32 v[3:4], 4, v[4:5]
	scratch_store_b64 off, v[3:4], off offset:136 ; 8-byte Folded Spill
	s_branch .LBB20_4
.LBB20_2:                               ;   in Loop: Header=BB20_4 Depth=1
	s_wait_alu 0xfffe
	s_or_b32 exec_lo, exec_lo, s22
.LBB20_3:                               ;   in Loop: Header=BB20_4 Depth=1
	s_add_co_i32 s24, s24, 0x10000
	s_delay_alu instid0(SALU_CYCLE_1)
	s_cmp_lt_u32 s24, s33
	s_cbranch_scc0 .LBB20_187
.LBB20_4:                               ; =>This Loop Header: Depth=1
                                        ;     Child Loop BB20_111 Depth 2
	s_and_not1_b32 vcc_lo, exec_lo, s65
	s_wait_alu 0xfffe
	s_cbranch_vccnz .LBB20_3
; %bb.5:                                ;   in Loop: Header=BB20_4 Depth=1
	v_cmp_ne_u32_e32 vcc_lo, 1, v204
	s_cbranch_vccnz .LBB20_3
; %bb.6:                                ;   in Loop: Header=BB20_4 Depth=1
	s_mul_u64 s[56:57], s[50:51], s[24:25]
	s_wait_alu 0xfffe
	s_lshl_b64 s[56:57], s[56:57], 4
	s_wait_alu 0xfffe
	v_add_co_u32 v41, vcc_lo, v191, s56
	s_wait_alu 0xfffd
	v_add_co_ci_u32_e64 v42, null, s57, v193, vcc_lo
	s_and_saveexec_b32 s22, s0
	s_cbranch_execz .LBB20_11
; %bb.7:                                ;   in Loop: Header=BB20_4 Depth=1
	s_and_saveexec_b32 s56, s61
	s_wait_alu 0xfffe
	s_xor_b32 s56, exec_lo, s56
; %bb.8:                                ;   in Loop: Header=BB20_4 Depth=1
	v_dual_mov_b32 v2, v1 :: v_dual_mov_b32 v3, v1
	v_mov_b32_e32 v4, v1
	ds_store_b128 v179, v[1:4]
; %bb.9:                                ;   in Loop: Header=BB20_4 Depth=1
	s_wait_alu 0xfffe
	s_and_not1_saveexec_b32 s56, s56
	s_cbranch_execz .LBB20_11
; %bb.10:                               ;   in Loop: Header=BB20_4 Depth=1
	global_load_b128 v[2:5], v[41:42], off
	s_wait_loadcnt 0x0
	ds_store_2addr_b64 v179, v[2:3], v[4:5] offset1:1
.LBB20_11:                              ;   in Loop: Header=BB20_4 Depth=1
	s_wait_alu 0xfffe
	s_or_b32 exec_lo, exec_lo, s22
	scratch_load_b32 v2, off, off           ; 4-byte Folded Reload
	s_mul_u64 s[56:57], s[42:43], s[24:25]
	s_mov_b32 s22, -1
	s_wait_alu 0xfffe
	s_lshl_b64 s[56:57], s[56:57], 4
                                        ; implicit-def: $vgpr9_vgpr10
	s_wait_loadcnt 0x0
	s_wait_alu 0xfffe
	v_add_co_u32 v5, vcc_lo, v2, s56
	scratch_load_b32 v2, off, off offset:4  ; 4-byte Folded Reload
	s_wait_loadcnt 0x0
	s_wait_alu 0xfffd
	v_add_co_ci_u32_e64 v6, null, s57, v2, vcc_lo
	s_and_b32 vcc_lo, exec_lo, s60
	s_wait_alu 0xfffe
	s_cbranch_vccz .LBB20_23
; %bb.12:                               ;   in Loop: Header=BB20_4 Depth=1
	s_and_saveexec_b32 s22, s2
	s_wait_alu 0xfffe
	s_xor_b32 s22, exec_lo, s22
; %bb.13:                               ;   in Loop: Header=BB20_4 Depth=1
	v_dual_mov_b32 v2, v1 :: v_dual_mov_b32 v3, v1
	v_mov_b32_e32 v4, v1
	ds_store_b128 v184, v[1:4]
; %bb.14:                               ;   in Loop: Header=BB20_4 Depth=1
	s_wait_alu 0xfffe
	s_or_saveexec_b32 s22, s22
	v_add_co_u32 v2, vcc_lo, v5, v175
	s_wait_alu 0xfffd
	v_add_co_ci_u32_e64 v3, null, v6, v176, vcc_lo
	s_lshl_b64 s[56:57], s[30:31], 4
	s_wait_alu 0xfffe
	v_add_co_u32 v2, vcc_lo, v2, s56
	s_wait_alu 0xfffd
	v_add_co_ci_u32_e64 v3, null, s57, v3, vcc_lo
	s_delay_alu instid0(VALU_DEP_2) | instskip(SKIP_1) | instid1(VALU_DEP_2)
	v_add_co_u32 v2, vcc_lo, v2, -16
	s_wait_alu 0xfffd
	v_add_co_ci_u32_e64 v3, null, -1, v3, vcc_lo
	s_delay_alu instid0(VALU_DEP_2) | instskip(NEXT) | instid1(VALU_DEP_2)
	v_cndmask_b32_e64 v7, v2, v5, s1
	v_cndmask_b32_e64 v8, v3, v6, s1
	s_xor_b32 exec_lo, exec_lo, s22
	s_cbranch_execnz .LBB20_169
; %bb.15:                               ;   in Loop: Header=BB20_4 Depth=1
	s_or_b32 exec_lo, exec_lo, s22
	s_and_saveexec_b32 s22, s3
	s_wait_alu 0xfffe
	s_xor_b32 s22, exec_lo, s22
	s_cbranch_execnz .LBB20_170
.LBB20_16:                              ;   in Loop: Header=BB20_4 Depth=1
	s_wait_alu 0xfffe
	s_and_not1_saveexec_b32 s22, s22
	s_cbranch_execnz .LBB20_171
.LBB20_17:                              ;   in Loop: Header=BB20_4 Depth=1
	s_wait_alu 0xfffe
	s_or_b32 exec_lo, exec_lo, s22
	s_and_saveexec_b32 s22, s4
	s_wait_alu 0xfffe
	s_xor_b32 s22, exec_lo, s22
	s_cbranch_execnz .LBB20_172
.LBB20_18:                              ;   in Loop: Header=BB20_4 Depth=1
	s_wait_alu 0xfffe
	s_and_not1_saveexec_b32 s22, s22
	s_cbranch_execnz .LBB20_173
.LBB20_19:                              ;   in Loop: Header=BB20_4 Depth=1
	s_wait_alu 0xfffe
	s_or_b32 exec_lo, exec_lo, s22
	s_and_saveexec_b32 s22, s5
	s_wait_alu 0xfffe
	s_xor_b32 s22, exec_lo, s22
	s_cbranch_execnz .LBB20_174
.LBB20_20:                              ;   in Loop: Header=BB20_4 Depth=1
	s_wait_alu 0xfffe
	s_and_not1_saveexec_b32 s22, s22
	s_cbranch_execz .LBB20_22
.LBB20_21:                              ;   in Loop: Header=BB20_4 Depth=1
	v_add_co_u32 v2, vcc_lo, v7, s44
	s_wait_alu 0xfffd
	v_add_co_ci_u32_e64 v3, null, s45, v8, vcc_lo
	global_load_b128 v[9:12], v[2:3], off
	s_wait_loadcnt 0x0
	ds_store_2addr_b64 v187, v[9:10], v[11:12] offset1:1
.LBB20_22:                              ;   in Loop: Header=BB20_4 Depth=1
	s_wait_alu 0xfffe
	s_or_b32 exec_lo, exec_lo, s22
	v_add_co_u32 v2, vcc_lo, v7, v239
	s_wait_alu 0xfffd
	v_add_co_ci_u32_e64 v3, null, 0, v8, vcc_lo
	s_lshl_b64 s[56:57], s[46:47], 4
	s_mov_b32 s22, 0
	s_wait_alu 0xfffe
	v_add_co_u32 v2, vcc_lo, v2, s56
	s_wait_alu 0xfffd
	v_add_co_ci_u32_e64 v3, null, s57, v3, vcc_lo
	s_delay_alu instid0(VALU_DEP_2) | instskip(SKIP_1) | instid1(VALU_DEP_2)
	v_add_co_u32 v2, vcc_lo, v2, 16
	s_wait_alu 0xfffd
	v_add_co_ci_u32_e64 v3, null, 0, v3, vcc_lo
	s_delay_alu instid0(VALU_DEP_2) | instskip(NEXT) | instid1(VALU_DEP_2)
	v_cndmask_b32_e64 v9, v2, v5, s1
	v_cndmask_b32_e64 v10, v3, v6, s1
.LBB20_23:                              ;   in Loop: Header=BB20_4 Depth=1
	s_and_b32 vcc_lo, exec_lo, s22
	s_wait_alu 0xfffe
	s_cbranch_vccz .LBB20_25
; %bb.24:                               ;   in Loop: Header=BB20_4 Depth=1
	v_add_co_u32 v2, vcc_lo, v5, s36
	s_wait_alu 0xfffd
	v_add_co_ci_u32_e64 v3, null, s37, v6, vcc_lo
	s_delay_alu instid0(VALU_DEP_2) | instskip(SKIP_1) | instid1(VALU_DEP_2)
	v_add_co_u32 v7, vcc_lo, v2, s36
	s_wait_alu 0xfffd
	v_add_co_ci_u32_e64 v8, null, s37, v3, vcc_lo
	s_delay_alu instid0(VALU_DEP_2) | instskip(SKIP_1) | instid1(VALU_DEP_2)
	v_add_co_u32 v9, vcc_lo, v7, s36
	s_wait_alu 0xfffd
	v_add_co_ci_u32_e64 v10, null, s37, v8, vcc_lo
	s_clause 0x3
	global_load_b128 v[11:14], v[5:6], off
	global_load_b128 v[15:18], v[2:3], off
	;; [unrolled: 1-line block ×4, first 2 shown]
	v_dual_mov_b32 v10, v6 :: v_dual_mov_b32 v9, v5
	s_wait_loadcnt 0x3
	ds_store_2addr_b64 v184, v[11:12], v[13:14] offset1:1
	s_wait_loadcnt 0x2
	ds_store_2addr_b64 v185, v[15:16], v[17:18] offset1:1
	;; [unrolled: 2-line block ×4, first 2 shown]
.LBB20_25:                              ;   in Loop: Header=BB20_4 Depth=1
	s_mov_b32 s22, 0
	s_wait_storecnt_dscnt 0x0
	s_barrier_signal -1
	s_barrier_wait -1
	global_inv scope:SCOPE_SE
	s_and_saveexec_b32 s56, s6
	s_wait_alu 0xfffe
	s_xor_b32 s56, exec_lo, s56
; %bb.26:                               ;   in Loop: Header=BB20_4 Depth=1
	s_and_b32 s22, s7, exec_lo
; %bb.27:                               ;   in Loop: Header=BB20_4 Depth=1
	s_wait_alu 0xfffe
	s_or_saveexec_b32 s56, s56
	v_mov_b32_e32 v4, 0
	v_dual_mov_b32 v5, 0 :: v_dual_mov_b32 v6, v188
	s_wait_alu 0xfffe
	s_xor_b32 exec_lo, exec_lo, s56
	s_cbranch_execz .LBB20_29
; %bb.28:                               ;   in Loop: Header=BB20_4 Depth=1
	ds_load_b128 v[2:5], v240
	v_mov_b32_e32 v6, v189
	s_or_b32 s22, s22, exec_lo
	s_wait_dscnt 0x0
	v_xor_b32_e32 v5, 0x80000000, v5
	ds_store_b64 v189, v[2:3]
.LBB20_29:                              ;   in Loop: Header=BB20_4 Depth=1
	s_or_b32 exec_lo, exec_lo, s56
	s_wait_alu 0xfffe
	s_and_saveexec_b32 s56, s22
; %bb.30:                               ;   in Loop: Header=BB20_4 Depth=1
	ds_store_b64 v6, v[4:5] offset:8
; %bb.31:                               ;   in Loop: Header=BB20_4 Depth=1
	s_wait_alu 0xfffe
	s_or_b32 exec_lo, exec_lo, s56
	s_mov_b32 s22, 0
                                        ; implicit-def: $vgpr4_vgpr5
	s_and_saveexec_b32 s56, s8
	s_wait_alu 0xfffe
	s_xor_b32 s56, exec_lo, s56
	s_cbranch_execnz .LBB20_165
; %bb.32:                               ;   in Loop: Header=BB20_4 Depth=1
	s_wait_alu 0xfffe
	s_or_saveexec_b32 s56, s56
	v_mov_b32_e32 v2, v190
	s_wait_alu 0xfffe
	s_xor_b32 exec_lo, exec_lo, s56
	s_cbranch_execnz .LBB20_166
.LBB20_33:                              ;   in Loop: Header=BB20_4 Depth=1
	s_or_b32 exec_lo, exec_lo, s56
	s_and_saveexec_b32 s56, s22
.LBB20_34:                              ;   in Loop: Header=BB20_4 Depth=1
	ds_store_b64 v2, v[4:5] offset:8
.LBB20_35:                              ;   in Loop: Header=BB20_4 Depth=1
	s_wait_alu 0xfffe
	s_or_b32 exec_lo, exec_lo, s56
	s_mov_b32 s22, 0
	s_and_saveexec_b32 s56, s10
	s_wait_alu 0xfffe
	s_xor_b32 s56, exec_lo, s56
; %bb.36:                               ;   in Loop: Header=BB20_4 Depth=1
	s_and_b32 s22, s11, exec_lo
; %bb.37:                               ;   in Loop: Header=BB20_4 Depth=1
	s_wait_alu 0xfffe
	s_or_saveexec_b32 s56, s56
	v_mov_b32_e32 v4, 0
	v_dual_mov_b32 v5, 0 :: v_dual_mov_b32 v6, v188
	s_wait_alu 0xfffe
	s_xor_b32 exec_lo, exec_lo, s56
	s_cbranch_execz .LBB20_39
; %bb.38:                               ;   in Loop: Header=BB20_4 Depth=1
	ds_load_b128 v[2:5], v241 offset:528
	v_add_nc_u32_e32 v7, 32, v189
	s_or_b32 s22, s22, exec_lo
	s_delay_alu instid0(VALU_DEP_1)
	v_mov_b32_e32 v6, v7
	s_wait_dscnt 0x0
	v_xor_b32_e32 v5, 0x80000000, v5
	ds_store_b64 v7, v[2:3]
.LBB20_39:                              ;   in Loop: Header=BB20_4 Depth=1
	s_or_b32 exec_lo, exec_lo, s56
	s_wait_alu 0xfffe
	s_and_saveexec_b32 s56, s22
; %bb.40:                               ;   in Loop: Header=BB20_4 Depth=1
	ds_store_b64 v6, v[4:5] offset:8
; %bb.41:                               ;   in Loop: Header=BB20_4 Depth=1
	s_wait_alu 0xfffe
	s_or_b32 exec_lo, exec_lo, s56
	s_mov_b32 s22, 0
	s_and_saveexec_b32 s56, s12
	s_wait_alu 0xfffe
	s_xor_b32 s56, exec_lo, s56
; %bb.42:                               ;   in Loop: Header=BB20_4 Depth=1
	s_and_b32 s22, s13, exec_lo
; %bb.43:                               ;   in Loop: Header=BB20_4 Depth=1
	s_wait_alu 0xfffe
	s_or_saveexec_b32 s56, s56
	v_mov_b32_e32 v4, 0
	v_dual_mov_b32 v5, 0 :: v_dual_mov_b32 v6, v188
	s_wait_alu 0xfffe
	s_xor_b32 exec_lo, exec_lo, s56
	s_cbranch_execz .LBB20_45
; %bb.44:                               ;   in Loop: Header=BB20_4 Depth=1
	ds_load_b128 v[2:5], v241 offset:1056
	v_add_nc_u32_e32 v7, 48, v189
	s_or_b32 s22, s22, exec_lo
	s_delay_alu instid0(VALU_DEP_1)
	v_mov_b32_e32 v6, v7
	s_wait_dscnt 0x0
	v_xor_b32_e32 v5, 0x80000000, v5
	ds_store_b64 v7, v[2:3]
.LBB20_45:                              ;   in Loop: Header=BB20_4 Depth=1
	s_or_b32 exec_lo, exec_lo, s56
	s_wait_alu 0xfffe
	s_and_saveexec_b32 s56, s22
; %bb.46:                               ;   in Loop: Header=BB20_4 Depth=1
	ds_store_b64 v6, v[4:5] offset:8
; %bb.47:                               ;   in Loop: Header=BB20_4 Depth=1
	s_wait_alu 0xfffe
	s_or_b32 exec_lo, exec_lo, s56
	s_wait_loadcnt_dscnt 0x0
	s_barrier_signal -1
	s_barrier_wait -1
	global_inv scope:SCOPE_SE
	ds_load_b128 v[2:5], v240
	ds_load_b128 v[11:14], v194
	ds_load_b128 v[15:18], v194 offset:16
	ds_load_b128 v[19:22], v241 offset:1056
	s_wait_dscnt 0x2
	v_mul_f64_e32 v[27:28], v[13:14], v[4:5]
	v_mul_f64_e32 v[29:30], v[11:12], v[4:5]
	ds_load_b128 v[4:7], v241
	ds_load_b128 v[23:26], v241 offset:528
	s_wait_dscnt 0x1
	v_mul_f64_e32 v[31:32], v[17:18], v[6:7]
	v_mul_f64_e32 v[6:7], v[15:16], v[6:7]
	v_fma_f64 v[33:34], v[11:12], v[2:3], -v[27:28]
	v_fma_f64 v[2:3], v[13:14], v[2:3], v[29:30]
	ds_load_b128 v[11:14], v194 offset:32
	ds_load_b128 v[27:30], v194 offset:48
	s_wait_loadcnt_dscnt 0x0
	s_barrier_signal -1
	s_barrier_wait -1
	global_inv scope:SCOPE_SE
	v_mul_f64_e32 v[35:36], v[13:14], v[25:26]
	v_mul_f64_e32 v[25:26], v[11:12], v[25:26]
	v_fma_f64 v[15:16], v[15:16], v[4:5], -v[31:32]
	v_fma_f64 v[4:5], v[17:18], v[4:5], v[6:7]
	v_mul_f64_e32 v[17:18], v[29:30], v[21:22]
	v_mul_f64_e32 v[21:22], v[27:28], v[21:22]
	v_add_f64_e32 v[6:7], 0, v[33:34]
	v_add_f64_e32 v[2:3], 0, v[2:3]
	v_fma_f64 v[11:12], v[11:12], v[23:24], -v[35:36]
	v_fma_f64 v[13:14], v[13:14], v[23:24], v[25:26]
	s_delay_alu instid0(VALU_DEP_4) | instskip(NEXT) | instid1(VALU_DEP_4)
	v_add_f64_e32 v[6:7], v[6:7], v[15:16]
	v_add_f64_e32 v[2:3], v[2:3], v[4:5]
	v_fma_f64 v[4:5], v[27:28], v[19:20], -v[17:18]
	v_fma_f64 v[15:16], v[29:30], v[19:20], v[21:22]
	s_delay_alu instid0(VALU_DEP_4) | instskip(NEXT) | instid1(VALU_DEP_4)
	v_add_f64_e32 v[6:7], v[6:7], v[11:12]
	v_add_f64_e32 v[2:3], v[2:3], v[13:14]
	s_delay_alu instid0(VALU_DEP_2) | instskip(NEXT) | instid1(VALU_DEP_2)
	v_add_f64_e32 v[11:12], v[6:7], v[4:5]
	v_add_f64_e32 v[13:14], v[2:3], v[15:16]
	v_mov_b32_e32 v5, 0
	v_dual_mov_b32 v6, 0 :: v_dual_mov_b32 v7, 0
	v_mov_b32_e32 v8, 0
	ds_store_b128 v195, v[11:14]
	s_wait_loadcnt_dscnt 0x0
	s_barrier_signal -1
	s_barrier_wait -1
	global_inv scope:SCOPE_SE
	s_and_saveexec_b32 s22, s14
	s_cbranch_execz .LBB20_49
; %bb.48:                               ;   in Loop: Header=BB20_4 Depth=1
	ds_load_b128 v[2:5], v192
	ds_load_b128 v[11:14], v192 offset:16
	s_wait_dscnt 0x0
	v_add_f64_e32 v[6:7], v[11:12], v[2:3]
	v_add_f64_e32 v[15:16], v[13:14], v[4:5]
	ds_load_b128 v[2:5], v192 offset:32
	ds_load_b128 v[11:14], v192 offset:48
	s_wait_dscnt 0x1
	v_add_f64_e32 v[2:3], v[6:7], v[2:3]
	v_add_f64_e32 v[4:5], v[15:16], v[4:5]
	s_wait_dscnt 0x0
	s_delay_alu instid0(VALU_DEP_2) | instskip(NEXT) | instid1(VALU_DEP_2)
	v_add_f64_e32 v[6:7], v[2:3], v[11:12]
	v_add_f64_e32 v[15:16], v[4:5], v[13:14]
	ds_load_b128 v[2:5], v192 offset:64
	ds_load_b128 v[11:14], v192 offset:80
	s_wait_dscnt 0x1
	v_add_f64_e32 v[2:3], v[6:7], v[2:3]
	v_add_f64_e32 v[4:5], v[15:16], v[4:5]
	s_wait_dscnt 0x0
	s_delay_alu instid0(VALU_DEP_2) | instskip(NEXT) | instid1(VALU_DEP_2)
	;; [unrolled: 9-line block ×3, first 2 shown]
	v_add_f64_e32 v[5:6], v[2:3], v[11:12]
	v_add_f64_e32 v[7:8], v[7:8], v[13:14]
.LBB20_49:                              ;   in Loop: Header=BB20_4 Depth=1
	s_wait_alu 0xfffe
	s_or_b32 exec_lo, exec_lo, s22
	v_add_co_u32 v15, vcc_lo, v9, s52
	s_wait_alu 0xfffd
	v_add_co_ci_u32_e64 v16, null, s53, v10, vcc_lo
	s_mov_b32 s22, -1
	v_add_co_u32 v9, vcc_lo, 0x200, v15
	s_wait_alu 0xfffd
	v_add_co_ci_u32_e64 v10, null, 0, v16, vcc_lo
	s_and_b32 vcc_lo, exec_lo, s60
	s_wait_loadcnt 0x0
	s_barrier_signal -1
	s_barrier_wait -1
	global_inv scope:SCOPE_SE
                                        ; implicit-def: $vgpr13_vgpr14
	s_wait_alu 0xfffe
	s_cbranch_vccz .LBB20_61
; %bb.50:                               ;   in Loop: Header=BB20_4 Depth=1
	s_and_saveexec_b32 s22, s16
	s_wait_alu 0xfffe
	s_xor_b32 s22, exec_lo, s22
; %bb.51:                               ;   in Loop: Header=BB20_4 Depth=1
	v_dual_mov_b32 v2, v1 :: v_dual_mov_b32 v3, v1
	v_mov_b32_e32 v4, v1
	ds_store_b128 v184, v[1:4]
; %bb.52:                               ;   in Loop: Header=BB20_4 Depth=1
	s_wait_alu 0xfffe
	s_or_saveexec_b32 s22, s22
	v_add_co_u32 v2, vcc_lo, v15, v175
	s_wait_alu 0xfffd
	v_add_co_ci_u32_e64 v3, null, v16, v176, vcc_lo
	s_lshl_b64 s[56:57], s[30:31], 4
	s_wait_alu 0xfffe
	v_add_co_u32 v2, vcc_lo, v2, s56
	s_wait_alu 0xfffd
	v_add_co_ci_u32_e64 v3, null, s57, v3, vcc_lo
	s_delay_alu instid0(VALU_DEP_2) | instskip(SKIP_1) | instid1(VALU_DEP_2)
	v_add_co_u32 v2, vcc_lo, v2, -16
	s_wait_alu 0xfffd
	v_add_co_ci_u32_e64 v3, null, -1, v3, vcc_lo
	s_delay_alu instid0(VALU_DEP_2) | instskip(NEXT) | instid1(VALU_DEP_2)
	v_cndmask_b32_e64 v11, v2, v9, s15
	v_cndmask_b32_e64 v12, v3, v10, s15
	s_xor_b32 exec_lo, exec_lo, s22
	s_cbranch_execnz .LBB20_175
; %bb.53:                               ;   in Loop: Header=BB20_4 Depth=1
	s_or_b32 exec_lo, exec_lo, s22
	s_and_saveexec_b32 s22, s17
	s_wait_alu 0xfffe
	s_xor_b32 s22, exec_lo, s22
	s_cbranch_execnz .LBB20_176
.LBB20_54:                              ;   in Loop: Header=BB20_4 Depth=1
	s_wait_alu 0xfffe
	s_and_not1_saveexec_b32 s22, s22
	s_cbranch_execnz .LBB20_177
.LBB20_55:                              ;   in Loop: Header=BB20_4 Depth=1
	s_wait_alu 0xfffe
	s_or_b32 exec_lo, exec_lo, s22
	s_and_saveexec_b32 s22, s18
	s_wait_alu 0xfffe
	s_xor_b32 s22, exec_lo, s22
	s_cbranch_execnz .LBB20_178
.LBB20_56:                              ;   in Loop: Header=BB20_4 Depth=1
	s_wait_alu 0xfffe
	s_and_not1_saveexec_b32 s22, s22
	s_cbranch_execnz .LBB20_179
.LBB20_57:                              ;   in Loop: Header=BB20_4 Depth=1
	s_wait_alu 0xfffe
	s_or_b32 exec_lo, exec_lo, s22
	s_and_saveexec_b32 s22, s19
	s_wait_alu 0xfffe
	s_xor_b32 s22, exec_lo, s22
	s_cbranch_execnz .LBB20_180
.LBB20_58:                              ;   in Loop: Header=BB20_4 Depth=1
	s_wait_alu 0xfffe
	s_and_not1_saveexec_b32 s22, s22
	s_cbranch_execz .LBB20_60
.LBB20_59:                              ;   in Loop: Header=BB20_4 Depth=1
	v_add_co_u32 v2, vcc_lo, v11, s44
	s_wait_alu 0xfffd
	v_add_co_ci_u32_e64 v3, null, s45, v12, vcc_lo
	global_load_b128 v[17:20], v[2:3], off
	s_wait_loadcnt 0x0
	ds_store_2addr_b64 v187, v[17:18], v[19:20] offset1:1
.LBB20_60:                              ;   in Loop: Header=BB20_4 Depth=1
	s_wait_alu 0xfffe
	s_or_b32 exec_lo, exec_lo, s22
	v_add_co_u32 v2, vcc_lo, v11, v239
	s_wait_alu 0xfffd
	v_add_co_ci_u32_e64 v3, null, 0, v12, vcc_lo
	s_lshl_b64 s[56:57], s[46:47], 4
	s_mov_b32 s22, 0
	s_wait_alu 0xfffe
	v_add_co_u32 v2, vcc_lo, v2, s56
	s_wait_alu 0xfffd
	v_add_co_ci_u32_e64 v3, null, s57, v3, vcc_lo
	s_delay_alu instid0(VALU_DEP_2) | instskip(SKIP_1) | instid1(VALU_DEP_2)
	v_add_co_u32 v2, vcc_lo, 0x210, v2
	s_wait_alu 0xfffd
	v_add_co_ci_u32_e64 v3, null, 0, v3, vcc_lo
	s_delay_alu instid0(VALU_DEP_2) | instskip(NEXT) | instid1(VALU_DEP_2)
	v_cndmask_b32_e64 v13, v2, v9, s15
	v_cndmask_b32_e64 v14, v3, v10, s15
.LBB20_61:                              ;   in Loop: Header=BB20_4 Depth=1
	s_and_b32 vcc_lo, exec_lo, s22
	s_wait_alu 0xfffe
	s_cbranch_vccz .LBB20_63
; %bb.62:                               ;   in Loop: Header=BB20_4 Depth=1
	v_add_co_u32 v2, vcc_lo, v15, s36
	s_wait_alu 0xfffd
	v_add_co_ci_u32_e64 v3, null, s37, v16, vcc_lo
	s_delay_alu instid0(VALU_DEP_2) | instskip(SKIP_1) | instid1(VALU_DEP_2)
	v_add_co_u32 v11, vcc_lo, v2, s36
	s_wait_alu 0xfffd
	v_add_co_ci_u32_e64 v12, null, s37, v3, vcc_lo
	s_delay_alu instid0(VALU_DEP_2) | instskip(SKIP_1) | instid1(VALU_DEP_2)
	v_add_co_u32 v13, vcc_lo, v11, s36
	s_wait_alu 0xfffd
	v_add_co_ci_u32_e64 v14, null, s37, v12, vcc_lo
	s_clause 0x3
	global_load_b128 v[15:18], v[9:10], off
	global_load_b128 v[19:22], v[2:3], off offset:512
	global_load_b128 v[23:26], v[11:12], off offset:512
	;; [unrolled: 1-line block ×3, first 2 shown]
	v_dual_mov_b32 v14, v10 :: v_dual_mov_b32 v13, v9
	s_wait_loadcnt 0x3
	ds_store_2addr_b64 v184, v[15:16], v[17:18] offset1:1
	s_wait_loadcnt 0x2
	ds_store_2addr_b64 v185, v[19:20], v[21:22] offset1:1
	;; [unrolled: 2-line block ×4, first 2 shown]
.LBB20_63:                              ;   in Loop: Header=BB20_4 Depth=1
	s_mov_b32 s22, 0
	s_wait_loadcnt_dscnt 0x0
	s_barrier_signal -1
	s_barrier_wait -1
	global_inv scope:SCOPE_SE
	s_and_saveexec_b32 s56, s6
	s_wait_alu 0xfffe
	s_xor_b32 s56, exec_lo, s56
; %bb.64:                               ;   in Loop: Header=BB20_4 Depth=1
	s_and_b32 s22, s7, exec_lo
; %bb.65:                               ;   in Loop: Header=BB20_4 Depth=1
	s_wait_alu 0xfffe
	s_or_saveexec_b32 s56, s56
	v_dual_mov_b32 v11, 0 :: v_dual_mov_b32 v2, v188
	v_mov_b32_e32 v12, 0
	s_wait_alu 0xfffe
	s_xor_b32 exec_lo, exec_lo, s56
	s_cbranch_execz .LBB20_67
; %bb.66:                               ;   in Loop: Header=BB20_4 Depth=1
	ds_load_b128 v[9:12], v240
	v_mov_b32_e32 v2, v189
	s_or_b32 s22, s22, exec_lo
	s_wait_dscnt 0x0
	v_xor_b32_e32 v12, 0x80000000, v12
	ds_store_b64 v189, v[9:10]
.LBB20_67:                              ;   in Loop: Header=BB20_4 Depth=1
	s_or_b32 exec_lo, exec_lo, s56
	s_wait_alu 0xfffe
	s_and_saveexec_b32 s56, s22
; %bb.68:                               ;   in Loop: Header=BB20_4 Depth=1
	ds_store_b64 v2, v[11:12] offset:8
; %bb.69:                               ;   in Loop: Header=BB20_4 Depth=1
	s_wait_alu 0xfffe
	s_or_b32 exec_lo, exec_lo, s56
	s_mov_b32 s22, 0
                                        ; implicit-def: $vgpr11_vgpr12
	s_and_saveexec_b32 s56, s8
	s_wait_alu 0xfffe
	s_xor_b32 s56, exec_lo, s56
	s_cbranch_execnz .LBB20_167
; %bb.70:                               ;   in Loop: Header=BB20_4 Depth=1
	s_wait_alu 0xfffe
	s_or_saveexec_b32 s56, s56
	v_mov_b32_e32 v2, v190
	s_wait_alu 0xfffe
	s_xor_b32 exec_lo, exec_lo, s56
	s_cbranch_execnz .LBB20_168
.LBB20_71:                              ;   in Loop: Header=BB20_4 Depth=1
	s_or_b32 exec_lo, exec_lo, s56
	s_and_saveexec_b32 s56, s22
.LBB20_72:                              ;   in Loop: Header=BB20_4 Depth=1
	ds_store_b64 v2, v[11:12] offset:8
.LBB20_73:                              ;   in Loop: Header=BB20_4 Depth=1
	s_wait_alu 0xfffe
	s_or_b32 exec_lo, exec_lo, s56
	s_mov_b32 s22, 0
	s_and_saveexec_b32 s56, s10
	s_wait_alu 0xfffe
	s_xor_b32 s56, exec_lo, s56
; %bb.74:                               ;   in Loop: Header=BB20_4 Depth=1
	s_and_b32 s22, s11, exec_lo
; %bb.75:                               ;   in Loop: Header=BB20_4 Depth=1
	s_wait_alu 0xfffe
	s_or_saveexec_b32 s56, s56
	v_dual_mov_b32 v11, 0 :: v_dual_mov_b32 v2, v188
	v_mov_b32_e32 v12, 0
	s_wait_alu 0xfffe
	s_xor_b32 exec_lo, exec_lo, s56
	s_cbranch_execz .LBB20_77
; %bb.76:                               ;   in Loop: Header=BB20_4 Depth=1
	ds_load_b128 v[9:12], v241 offset:528
	v_add_nc_u32_e32 v3, 32, v189
	s_or_b32 s22, s22, exec_lo
	s_delay_alu instid0(VALU_DEP_1)
	v_mov_b32_e32 v2, v3
	s_wait_dscnt 0x0
	v_xor_b32_e32 v12, 0x80000000, v12
	ds_store_b64 v3, v[9:10]
.LBB20_77:                              ;   in Loop: Header=BB20_4 Depth=1
	s_or_b32 exec_lo, exec_lo, s56
	s_wait_alu 0xfffe
	s_and_saveexec_b32 s56, s22
; %bb.78:                               ;   in Loop: Header=BB20_4 Depth=1
	ds_store_b64 v2, v[11:12] offset:8
; %bb.79:                               ;   in Loop: Header=BB20_4 Depth=1
	s_wait_alu 0xfffe
	s_or_b32 exec_lo, exec_lo, s56
	s_mov_b32 s22, 0
	s_and_saveexec_b32 s56, s12
	s_wait_alu 0xfffe
	s_xor_b32 s56, exec_lo, s56
; %bb.80:                               ;   in Loop: Header=BB20_4 Depth=1
	s_and_b32 s22, s13, exec_lo
; %bb.81:                               ;   in Loop: Header=BB20_4 Depth=1
	s_wait_alu 0xfffe
	s_or_saveexec_b32 s56, s56
	v_dual_mov_b32 v11, 0 :: v_dual_mov_b32 v2, v188
	v_mov_b32_e32 v12, 0
	s_wait_alu 0xfffe
	s_xor_b32 exec_lo, exec_lo, s56
	s_cbranch_execz .LBB20_83
; %bb.82:                               ;   in Loop: Header=BB20_4 Depth=1
	ds_load_b128 v[9:12], v241 offset:1056
	v_add_nc_u32_e32 v3, 48, v189
	s_or_b32 s22, s22, exec_lo
	s_delay_alu instid0(VALU_DEP_1)
	v_mov_b32_e32 v2, v3
	s_wait_dscnt 0x0
	v_xor_b32_e32 v12, 0x80000000, v12
	ds_store_b64 v3, v[9:10]
.LBB20_83:                              ;   in Loop: Header=BB20_4 Depth=1
	s_or_b32 exec_lo, exec_lo, s56
	s_wait_alu 0xfffe
	s_and_saveexec_b32 s56, s22
; %bb.84:                               ;   in Loop: Header=BB20_4 Depth=1
	ds_store_b64 v2, v[11:12] offset:8
; %bb.85:                               ;   in Loop: Header=BB20_4 Depth=1
	s_wait_alu 0xfffe
	s_or_b32 exec_lo, exec_lo, s56
	s_wait_loadcnt_dscnt 0x0
	s_barrier_signal -1
	s_barrier_wait -1
	global_inv scope:SCOPE_SE
	ds_load_b128 v[9:12], v240
	ds_load_b128 v[15:18], v194 offset:512
	ds_load_b128 v[19:22], v194 offset:528
	;; [unrolled: 1-line block ×3, first 2 shown]
	ds_load_b128 v[27:30], v241
	ds_load_b128 v[31:34], v241 offset:528
	s_wait_dscnt 0x4
	v_mul_f64_e32 v[2:3], v[17:18], v[11:12]
	v_mul_f64_e32 v[11:12], v[15:16], v[11:12]
	s_wait_dscnt 0x1
	v_mul_f64_e32 v[35:36], v[21:22], v[29:30]
	v_mul_f64_e32 v[29:30], v[19:20], v[29:30]
	s_delay_alu instid0(VALU_DEP_4) | instskip(NEXT) | instid1(VALU_DEP_4)
	v_fma_f64 v[2:3], v[15:16], v[9:10], -v[2:3]
	v_fma_f64 v[37:38], v[17:18], v[9:10], v[11:12]
	ds_load_b128 v[9:12], v194 offset:544
	ds_load_b128 v[15:18], v194 offset:560
	v_fma_f64 v[19:20], v[19:20], v[27:28], -v[35:36]
	v_fma_f64 v[21:22], v[21:22], v[27:28], v[29:30]
	s_wait_loadcnt_dscnt 0x0
	s_barrier_signal -1
	s_barrier_wait -1
	global_inv scope:SCOPE_SE
	v_mul_f64_e32 v[39:40], v[11:12], v[33:34]
	v_mul_f64_e32 v[33:34], v[9:10], v[33:34]
	;; [unrolled: 1-line block ×4, first 2 shown]
	v_add_f64_e32 v[2:3], 0, v[2:3]
	v_add_f64_e32 v[27:28], 0, v[37:38]
	v_fma_f64 v[9:10], v[9:10], v[31:32], -v[39:40]
	v_fma_f64 v[11:12], v[11:12], v[31:32], v[33:34]
	v_fma_f64 v[15:16], v[15:16], v[23:24], -v[29:30]
	v_fma_f64 v[17:18], v[17:18], v[23:24], v[25:26]
	v_add_f64_e32 v[2:3], v[2:3], v[19:20]
	v_add_f64_e32 v[19:20], v[27:28], v[21:22]
	s_delay_alu instid0(VALU_DEP_2) | instskip(NEXT) | instid1(VALU_DEP_2)
	v_add_f64_e32 v[2:3], v[2:3], v[9:10]
	v_add_f64_e32 v[11:12], v[19:20], v[11:12]
	s_delay_alu instid0(VALU_DEP_2) | instskip(NEXT) | instid1(VALU_DEP_2)
	v_add_f64_e32 v[9:10], v[2:3], v[15:16]
	v_add_f64_e32 v[11:12], v[11:12], v[17:18]
	ds_store_b128 v195, v[9:12]
	s_wait_loadcnt_dscnt 0x0
	s_barrier_signal -1
	s_barrier_wait -1
	global_inv scope:SCOPE_SE
	s_and_saveexec_b32 s22, s20
	s_cbranch_execz .LBB20_87
; %bb.86:                               ;   in Loop: Header=BB20_4 Depth=1
	ds_load_b128 v[2:5], v192
	ds_load_b128 v[6:9], v192 offset:16
	s_wait_dscnt 0x0
	v_add_f64_e32 v[10:11], v[6:7], v[2:3]
	v_add_f64_e32 v[15:16], v[8:9], v[4:5]
	ds_load_b128 v[2:5], v192 offset:32
	ds_load_b128 v[6:9], v192 offset:48
	s_wait_dscnt 0x1
	v_add_f64_e32 v[2:3], v[10:11], v[2:3]
	v_add_f64_e32 v[4:5], v[15:16], v[4:5]
	s_wait_dscnt 0x0
	s_delay_alu instid0(VALU_DEP_2) | instskip(NEXT) | instid1(VALU_DEP_2)
	v_add_f64_e32 v[10:11], v[2:3], v[6:7]
	v_add_f64_e32 v[15:16], v[4:5], v[8:9]
	ds_load_b128 v[2:5], v192 offset:64
	ds_load_b128 v[6:9], v192 offset:80
	s_wait_dscnt 0x1
	v_add_f64_e32 v[2:3], v[10:11], v[2:3]
	v_add_f64_e32 v[4:5], v[15:16], v[4:5]
	s_wait_dscnt 0x0
	s_delay_alu instid0(VALU_DEP_2) | instskip(NEXT) | instid1(VALU_DEP_2)
	;; [unrolled: 9-line block ×3, first 2 shown]
	v_add_f64_e32 v[5:6], v[2:3], v[6:7]
	v_add_f64_e32 v[7:8], v[10:11], v[8:9]
.LBB20_87:                              ;   in Loop: Header=BB20_4 Depth=1
	s_wait_alu 0xfffe
	s_or_b32 exec_lo, exec_lo, s22
	v_add_co_u32 v9, vcc_lo, 0xfffffe00, v13
	s_wait_alu 0xfffd
	v_add_co_ci_u32_e64 v10, null, -1, v14, vcc_lo
	s_and_b32 vcc_lo, exec_lo, s60
	s_mov_b32 s22, -1
	s_wait_loadcnt 0x0
	s_barrier_signal -1
	s_barrier_wait -1
	global_inv scope:SCOPE_SE
                                        ; implicit-def: $vgpr2_vgpr3
	s_wait_alu 0xfffe
	s_cbranch_vccz .LBB20_99
; %bb.88:                               ;   in Loop: Header=BB20_4 Depth=1
	s_and_saveexec_b32 s22, s16
	s_wait_alu 0xfffe
	s_xor_b32 s22, exec_lo, s22
; %bb.89:                               ;   in Loop: Header=BB20_4 Depth=1
	v_dual_mov_b32 v2, v1 :: v_dual_mov_b32 v3, v1
	v_mov_b32_e32 v4, v1
	ds_store_b128 v184, v[1:4]
; %bb.90:                               ;   in Loop: Header=BB20_4 Depth=1
	s_wait_alu 0xfffe
	s_or_saveexec_b32 s22, s22
	v_add_co_u32 v2, vcc_lo, v13, v175
	s_wait_alu 0xfffd
	v_add_co_ci_u32_e64 v3, null, v14, v176, vcc_lo
	s_lshl_b64 s[56:57], s[30:31], 4
	s_wait_alu 0xfffe
	v_add_co_u32 v2, vcc_lo, v2, s56
	s_wait_alu 0xfffd
	v_add_co_ci_u32_e64 v3, null, s57, v3, vcc_lo
	s_delay_alu instid0(VALU_DEP_2) | instskip(SKIP_1) | instid1(VALU_DEP_2)
	v_add_co_u32 v2, vcc_lo, 0xfffffdf0, v2
	s_wait_alu 0xfffd
	v_add_co_ci_u32_e64 v3, null, -1, v3, vcc_lo
	s_delay_alu instid0(VALU_DEP_2) | instskip(NEXT) | instid1(VALU_DEP_2)
	v_cndmask_b32_e64 v11, v2, v9, s1
	v_cndmask_b32_e64 v12, v3, v10, s1
	s_xor_b32 exec_lo, exec_lo, s22
	s_cbranch_execnz .LBB20_181
; %bb.91:                               ;   in Loop: Header=BB20_4 Depth=1
	s_or_b32 exec_lo, exec_lo, s22
	s_and_saveexec_b32 s22, s17
	s_wait_alu 0xfffe
	s_xor_b32 s22, exec_lo, s22
	s_cbranch_execnz .LBB20_182
.LBB20_92:                              ;   in Loop: Header=BB20_4 Depth=1
	s_wait_alu 0xfffe
	s_and_not1_saveexec_b32 s22, s22
	s_cbranch_execnz .LBB20_183
.LBB20_93:                              ;   in Loop: Header=BB20_4 Depth=1
	s_wait_alu 0xfffe
	s_or_b32 exec_lo, exec_lo, s22
	s_and_saveexec_b32 s22, s18
	s_wait_alu 0xfffe
	s_xor_b32 s22, exec_lo, s22
	s_cbranch_execnz .LBB20_184
.LBB20_94:                              ;   in Loop: Header=BB20_4 Depth=1
	s_wait_alu 0xfffe
	s_and_not1_saveexec_b32 s22, s22
	s_cbranch_execnz .LBB20_185
.LBB20_95:                              ;   in Loop: Header=BB20_4 Depth=1
	s_wait_alu 0xfffe
	s_or_b32 exec_lo, exec_lo, s22
	s_and_saveexec_b32 s22, s19
	s_wait_alu 0xfffe
	s_xor_b32 s22, exec_lo, s22
	s_cbranch_execnz .LBB20_186
.LBB20_96:                              ;   in Loop: Header=BB20_4 Depth=1
	s_wait_alu 0xfffe
	s_and_not1_saveexec_b32 s22, s22
	s_cbranch_execz .LBB20_98
.LBB20_97:                              ;   in Loop: Header=BB20_4 Depth=1
	v_add_co_u32 v2, vcc_lo, v11, s44
	s_wait_alu 0xfffd
	v_add_co_ci_u32_e64 v3, null, s45, v12, vcc_lo
	global_load_b128 v[15:18], v[2:3], off
	s_wait_loadcnt 0x0
	ds_store_2addr_b64 v187, v[15:16], v[17:18] offset1:1
.LBB20_98:                              ;   in Loop: Header=BB20_4 Depth=1
	s_wait_alu 0xfffe
	s_or_b32 exec_lo, exec_lo, s22
	v_add_co_u32 v2, vcc_lo, v11, v239
	s_wait_alu 0xfffd
	v_add_co_ci_u32_e64 v3, null, 0, v12, vcc_lo
	s_lshl_b64 s[56:57], s[46:47], 4
	s_mov_b32 s22, 0
	s_wait_alu 0xfffe
	v_add_co_u32 v2, vcc_lo, v2, s56
	s_wait_alu 0xfffd
	v_add_co_ci_u32_e64 v3, null, s57, v3, vcc_lo
	s_delay_alu instid0(VALU_DEP_2) | instskip(SKIP_1) | instid1(VALU_DEP_2)
	v_add_co_u32 v2, vcc_lo, v2, 16
	s_wait_alu 0xfffd
	v_add_co_ci_u32_e64 v3, null, 0, v3, vcc_lo
	s_delay_alu instid0(VALU_DEP_2) | instskip(NEXT) | instid1(VALU_DEP_2)
	v_cndmask_b32_e64 v2, v2, v9, s1
	v_cndmask_b32_e64 v3, v3, v10, s1
.LBB20_99:                              ;   in Loop: Header=BB20_4 Depth=1
	s_and_b32 vcc_lo, exec_lo, s22
	s_wait_alu 0xfffe
	s_cbranch_vccz .LBB20_101
; %bb.100:                              ;   in Loop: Header=BB20_4 Depth=1
	v_add_co_u32 v2, vcc_lo, v13, s36
	s_wait_alu 0xfffd
	v_add_co_ci_u32_e64 v3, null, s37, v14, vcc_lo
	s_delay_alu instid0(VALU_DEP_2) | instskip(SKIP_1) | instid1(VALU_DEP_2)
	v_add_co_u32 v19, vcc_lo, v2, s36
	s_wait_alu 0xfffd
	v_add_co_ci_u32_e64 v20, null, s37, v3, vcc_lo
	s_delay_alu instid0(VALU_DEP_2) | instskip(SKIP_1) | instid1(VALU_DEP_2)
	v_add_co_u32 v23, vcc_lo, v19, s36
	s_wait_alu 0xfffd
	v_add_co_ci_u32_e64 v24, null, s37, v20, vcc_lo
	s_clause 0x3
	global_load_b128 v[11:14], v[9:10], off
	global_load_b128 v[15:18], v[2:3], off offset:-512
	global_load_b128 v[19:22], v[19:20], off offset:-512
	;; [unrolled: 1-line block ×3, first 2 shown]
	v_dual_mov_b32 v2, v9 :: v_dual_mov_b32 v3, v10
	s_wait_loadcnt 0x3
	ds_store_2addr_b64 v184, v[11:12], v[13:14] offset1:1
	s_wait_loadcnt 0x2
	ds_store_2addr_b64 v185, v[15:16], v[17:18] offset1:1
	;; [unrolled: 2-line block ×4, first 2 shown]
.LBB20_101:                             ;   in Loop: Header=BB20_4 Depth=1
	v_add_nc_u32_e32 v4, v189, v196
	v_add_nc_u32_e32 v13, v194, v196
	s_wait_loadcnt_dscnt 0x0
	s_barrier_signal -1
	s_barrier_wait -1
	global_inv scope:SCOPE_SE
	ds_load_b128 v[9:12], v4
	ds_load_b128 v[13:16], v13
	ds_load_b128 v[17:20], v205 offset:128
	ds_load_b128 v[21:24], v195 offset:128
	;; [unrolled: 1-line block ×4, first 2 shown]
	s_wait_dscnt 0x2
	v_mul_f64_e32 v[35:36], v[23:24], v[19:20]
	v_mul_f64_e32 v[33:34], v[11:12], v[15:16]
	;; [unrolled: 1-line block ×4, first 2 shown]
	s_delay_alu instid0(VALU_DEP_4) | instskip(NEXT) | instid1(VALU_DEP_4)
	v_fma_f64 v[17:18], v[21:22], v[17:18], v[35:36]
	v_fma_f64 v[33:34], v[9:10], v[13:14], v[33:34]
	s_delay_alu instid0(VALU_DEP_4)
	v_fma_f64 v[37:38], v[9:10], v[15:16], -v[11:12]
	ds_load_b128 v[9:12], v205 offset:256
	ds_load_b128 v[13:16], v205 offset:384
	v_fma_f64 v[19:20], v[21:22], v[19:20], -v[23:24]
	s_wait_dscnt 0x1
	v_mul_f64_e32 v[39:40], v[27:28], v[11:12]
	v_mul_f64_e32 v[27:28], v[27:28], v[9:10]
	v_add_f64_e32 v[21:22], 0, v[33:34]
	v_add_f64_e32 v[23:24], 0, v[37:38]
	s_wait_dscnt 0x0
	v_mul_f64_e32 v[33:34], v[31:32], v[15:16]
	v_mul_f64_e32 v[31:32], v[31:32], v[13:14]
	v_fma_f64 v[9:10], v[25:26], v[9:10], v[39:40]
	v_fma_f64 v[11:12], v[25:26], v[11:12], -v[27:28]
	v_add_f64_e32 v[17:18], v[21:22], v[17:18]
	v_add_f64_e32 v[19:20], v[23:24], v[19:20]
	v_fma_f64 v[13:14], v[29:30], v[13:14], v[33:34]
	v_fma_f64 v[15:16], v[29:30], v[15:16], -v[31:32]
	s_delay_alu instid0(VALU_DEP_4) | instskip(NEXT) | instid1(VALU_DEP_4)
	v_add_f64_e32 v[9:10], v[17:18], v[9:10]
	v_add_f64_e32 v[11:12], v[19:20], v[11:12]
	s_delay_alu instid0(VALU_DEP_2) | instskip(NEXT) | instid1(VALU_DEP_2)
	v_add_f64_e32 v[43:44], v[9:10], v[13:14]
	v_add_f64_e32 v[45:46], v[11:12], v[15:16]
	ds_load_b128 v[33:36], v194 offset:512
	ds_load_b128 v[25:28], v194 offset:528
	;; [unrolled: 1-line block ×4, first 2 shown]
	ds_load_b128 v[29:32], v241
	ds_load_b128 v[21:24], v241 offset:528
	ds_load_b128 v[37:40], v240
	ds_load_b128 v[17:20], v241 offset:1056
	s_wait_loadcnt_dscnt 0x0
	s_barrier_signal -1
	s_barrier_wait -1
	global_inv scope:SCOPE_SE
	ds_store_b128 v195, v[43:46]
	s_wait_loadcnt_dscnt 0x0
	s_barrier_signal -1
	s_barrier_wait -1
	global_inv scope:SCOPE_SE
	s_and_saveexec_b32 s22, s20
	s_cbranch_execz .LBB20_103
; %bb.102:                              ;   in Loop: Header=BB20_4 Depth=1
	ds_load_b128 v[43:46], v192
	ds_load_b128 v[47:50], v192 offset:16
	s_wait_dscnt 0x1
	v_add_f64_e32 v[4:5], v[5:6], v[43:44]
	v_add_f64_e32 v[6:7], v[7:8], v[45:46]
	s_wait_dscnt 0x0
	s_delay_alu instid0(VALU_DEP_2) | instskip(NEXT) | instid1(VALU_DEP_2)
	v_add_f64_e32 v[47:48], v[4:5], v[47:48]
	v_add_f64_e32 v[49:50], v[6:7], v[49:50]
	ds_load_b128 v[4:7], v192 offset:32
	ds_load_b128 v[43:46], v192 offset:48
	s_wait_dscnt 0x1
	v_add_f64_e32 v[4:5], v[47:48], v[4:5]
	v_add_f64_e32 v[6:7], v[49:50], v[6:7]
	s_wait_dscnt 0x0
	s_delay_alu instid0(VALU_DEP_2) | instskip(NEXT) | instid1(VALU_DEP_2)
	v_add_f64_e32 v[47:48], v[4:5], v[43:44]
	v_add_f64_e32 v[49:50], v[6:7], v[45:46]
	ds_load_b128 v[4:7], v192 offset:64
	;; [unrolled: 9-line block ×3, first 2 shown]
	ds_load_b128 v[43:46], v192 offset:112
	s_wait_dscnt 0x1
	v_add_f64_e32 v[4:5], v[47:48], v[4:5]
	v_add_f64_e32 v[7:8], v[49:50], v[6:7]
	s_wait_dscnt 0x0
	s_delay_alu instid0(VALU_DEP_2) | instskip(NEXT) | instid1(VALU_DEP_2)
	v_add_f64_e32 v[5:6], v[4:5], v[43:44]
	v_add_f64_e32 v[7:8], v[7:8], v[45:46]
.LBB20_103:                             ;   in Loop: Header=BB20_4 Depth=1
	s_wait_alu 0xfffe
	s_or_b32 exec_lo, exec_lo, s22
	v_mul_f64_e32 v[43:44], v[35:36], v[39:40]
	v_mul_f64_e32 v[39:40], v[33:34], v[39:40]
	;; [unrolled: 1-line block ×4, first 2 shown]
	s_wait_loadcnt 0x0
	s_barrier_signal -1
	s_barrier_wait -1
	global_inv scope:SCOPE_SE
	v_fma_f64 v[33:34], v[33:34], v[37:38], -v[43:44]
	v_fma_f64 v[35:36], v[35:36], v[37:38], v[39:40]
	v_mul_f64_e32 v[37:38], v[15:16], v[23:24]
	v_mul_f64_e32 v[23:24], v[13:14], v[23:24]
	v_fma_f64 v[25:26], v[25:26], v[29:30], -v[45:46]
	v_fma_f64 v[27:28], v[27:28], v[29:30], v[31:32]
	v_add_f64_e32 v[29:30], 0, v[33:34]
	v_add_f64_e32 v[31:32], 0, v[35:36]
	v_mul_f64_e32 v[33:34], v[11:12], v[19:20]
	v_mul_f64_e32 v[19:20], v[9:10], v[19:20]
	v_fma_f64 v[13:14], v[13:14], v[21:22], -v[37:38]
	v_fma_f64 v[15:16], v[15:16], v[21:22], v[23:24]
	v_add_f64_e32 v[21:22], v[29:30], v[25:26]
	v_add_f64_e32 v[23:24], v[31:32], v[27:28]
	v_fma_f64 v[9:10], v[9:10], v[17:18], -v[33:34]
	v_fma_f64 v[11:12], v[11:12], v[17:18], v[19:20]
	s_delay_alu instid0(VALU_DEP_4) | instskip(NEXT) | instid1(VALU_DEP_4)
	v_add_f64_e32 v[13:14], v[21:22], v[13:14]
	v_add_f64_e32 v[15:16], v[23:24], v[15:16]
	s_delay_alu instid0(VALU_DEP_2) | instskip(NEXT) | instid1(VALU_DEP_2)
	v_add_f64_e32 v[9:10], v[13:14], v[9:10]
	v_add_f64_e32 v[11:12], v[15:16], v[11:12]
	ds_store_b128 v195, v[9:12]
	s_wait_loadcnt_dscnt 0x0
	s_barrier_signal -1
	s_barrier_wait -1
	global_inv scope:SCOPE_SE
	s_and_saveexec_b32 s22, s14
	s_cbranch_execz .LBB20_105
; %bb.104:                              ;   in Loop: Header=BB20_4 Depth=1
	ds_load_b128 v[9:12], v192
	ds_load_b128 v[13:16], v192 offset:16
	s_wait_dscnt 0x1
	v_add_f64_e32 v[4:5], v[5:6], v[9:10]
	v_add_f64_e32 v[6:7], v[7:8], v[11:12]
	s_wait_dscnt 0x0
	s_delay_alu instid0(VALU_DEP_2) | instskip(NEXT) | instid1(VALU_DEP_2)
	v_add_f64_e32 v[12:13], v[4:5], v[13:14]
	v_add_f64_e32 v[14:15], v[6:7], v[15:16]
	ds_load_b128 v[4:7], v192 offset:32
	ds_load_b128 v[8:11], v192 offset:48
	s_wait_dscnt 0x1
	v_add_f64_e32 v[4:5], v[12:13], v[4:5]
	v_add_f64_e32 v[6:7], v[14:15], v[6:7]
	s_wait_dscnt 0x0
	s_delay_alu instid0(VALU_DEP_2) | instskip(NEXT) | instid1(VALU_DEP_2)
	v_add_f64_e32 v[12:13], v[4:5], v[8:9]
	v_add_f64_e32 v[14:15], v[6:7], v[10:11]
	ds_load_b128 v[4:7], v192 offset:64
	;; [unrolled: 9-line block ×3, first 2 shown]
	ds_load_b128 v[8:11], v192 offset:112
	s_wait_dscnt 0x1
	v_add_f64_e32 v[4:5], v[12:13], v[4:5]
	v_add_f64_e32 v[12:13], v[14:15], v[6:7]
	s_wait_dscnt 0x0
	s_delay_alu instid0(VALU_DEP_2) | instskip(NEXT) | instid1(VALU_DEP_2)
	v_add_f64_e32 v[5:6], v[4:5], v[8:9]
	v_add_f64_e32 v[7:8], v[12:13], v[10:11]
.LBB20_105:                             ;   in Loop: Header=BB20_4 Depth=1
	s_wait_alu 0xfffe
	s_or_b32 exec_lo, exec_lo, s22
	s_mul_u64 s[56:57], s[28:29], s[24:25]
	s_and_not1_b32 vcc_lo, exec_lo, s23
	s_wait_alu 0xfffe
	s_lshl_b64 s[56:57], s[56:57], 4
	s_wait_loadcnt 0x0
	s_wait_alu 0xfffe
	s_add_nc_u64 s[56:57], s[34:35], s[56:57]
	s_barrier_signal -1
	s_barrier_wait -1
	global_inv scope:SCOPE_SE
	s_cbranch_vccnz .LBB20_163
; %bb.106:                              ;   in Loop: Header=BB20_4 Depth=1
	scratch_load_b32 v4, off, off offset:12 ; 4-byte Folded Reload
	v_add_co_u32 v242, vcc_lo, v41, s54
	s_wait_alu 0xfffd
	v_add_co_ci_u32_e64 v243, null, s55, v42, vcc_lo
	s_mov_b32 s66, ttmp9
	s_mov_b32 s58, s64
	s_wait_loadcnt 0x0
	v_add_co_u32 v244, vcc_lo, v2, v4
	scratch_load_b32 v4, off, off offset:8  ; 4-byte Folded Reload
	s_wait_loadcnt 0x0
	s_wait_alu 0xfffd
	v_add_co_ci_u32_e64 v245, null, v3, v4, vcc_lo
	scratch_load_b32 v4, off, off offset:16 ; 4-byte Folded Reload
	s_wait_loadcnt 0x0
	v_add_co_u32 v246, vcc_lo, v2, v4
	scratch_load_b32 v4, off, off offset:20 ; 4-byte Folded Reload
	s_wait_loadcnt 0x0
	s_wait_alu 0xfffd
	v_add_co_ci_u32_e64 v247, null, v3, v4, vcc_lo
	scratch_load_b32 v4, off, off offset:24 ; 4-byte Folded Reload
	s_wait_loadcnt 0x0
	v_add_co_u32 v248, vcc_lo, v2, v4
	scratch_load_b32 v4, off, off offset:28 ; 4-byte Folded Reload
	;; [unrolled: 7-line block ×15, first 2 shown]
	s_wait_loadcnt 0x0
	s_wait_alu 0xfffd
	v_add_co_ci_u32_e64 v225, null, v3, v2, vcc_lo
	s_wait_alu 0xfffe
	s_cmp_eq_u32 s62, s66
	s_cselect_b32 s67, s27, 0
	s_and_saveexec_b32 s22, s0
	s_cbranch_execz .LBB20_111
.LBB20_107:                             ;   in Loop: Header=BB20_4 Depth=1
	s_wait_alu 0xfffe
	v_cmp_le_i32_e32 vcc_lo, s67, v177
	s_cmp_lg_u32 s67, 0
	s_cselect_b32 s59, -1, 0
	s_wait_alu 0xfffe
	s_and_b32 s59, s59, vcc_lo
	s_wait_alu 0xfffe
	s_and_saveexec_b32 s68, s59
	s_wait_alu 0xfffe
	s_xor_b32 s59, exec_lo, s68
; %bb.108:                              ;   in Loop: Header=BB20_4 Depth=1
	v_dual_mov_b32 v2, v1 :: v_dual_mov_b32 v3, v1
	v_mov_b32_e32 v4, v1
	ds_store_b128 v0, v[1:4]
; %bb.109:                              ;   in Loop: Header=BB20_4 Depth=1
	s_wait_alu 0xfffe
	s_and_not1_saveexec_b32 s59, s59
	s_cbranch_execz .LBB20_111
; %bb.110:                              ;   in Loop: Header=BB20_4 Depth=1
	s_ashr_i32 s59, s58, 31
	s_wait_alu 0xfffe
	s_mul_u64 s[68:69], s[48:49], s[58:59]
	s_wait_alu 0xfffe
	s_lshl_b64 s[68:69], s[68:69], 4
	s_wait_alu 0xfffe
	v_add_co_u32 v2, vcc_lo, v242, s68
	s_wait_alu 0xfffd
	v_add_co_ci_u32_e64 v3, null, s69, v243, vcc_lo
	global_load_b128 v[9:12], v[2:3], off
	s_wait_loadcnt 0x0
	ds_store_2addr_b64 v0, v[9:10], v[11:12] offset1:1
.LBB20_111:                             ;   Parent Loop BB20_4 Depth=1
                                        ; =>  This Inner Loop Header: Depth=2
	s_wait_alu 0xfffe
	s_or_b32 exec_lo, exec_lo, s22
	s_cmp_eq_u32 s67, 0
	v_add_co_u32 v2, vcc_lo, v244, v178
	s_cselect_b32 s59, -1, 0
	s_cmp_lg_u32 s67, 0
	s_wait_alu 0xfffd
	v_add_co_ci_u32_e64 v3, null, 0, v245, vcc_lo
	s_cselect_b32 s22, -1, 0
	s_wait_dscnt 0x0
	s_wait_alu 0xfffe
	s_and_b32 vcc_lo, exec_lo, s22
	s_barrier_signal -1
	s_barrier_wait -1
	global_inv scope:SCOPE_SE
	s_wait_alu 0xfffe
	s_cbranch_vccz .LBB20_119
; %bb.112:                              ;   in Loop: Header=BB20_111 Depth=2
	v_mov_b32_e32 v9, 0
	v_dual_mov_b32 v10, 0 :: v_dual_mov_b32 v13, 0
	v_dual_mov_b32 v15, 0 :: v_dual_mov_b32 v14, 0
	v_mov_b32_e32 v16, 0
	s_mov_b32 s68, exec_lo
	v_cmpx_gt_i32_e64 s67, v197
	s_cbranch_execz .LBB20_114
; %bb.113:                              ;   in Loop: Header=BB20_111 Depth=2
	global_load_b128 v[13:16], v[2:3], off offset:-8
.LBB20_114:                             ;   in Loop: Header=BB20_111 Depth=2
	s_wait_alu 0xfffe
	s_or_b32 exec_lo, exec_lo, s68
	v_mov_b32_e32 v11, 0
	v_or_b32_e32 v4, 1, v197
	v_mov_b32_e32 v12, 0
	s_mov_b32 s68, exec_lo
	s_delay_alu instid0(VALU_DEP_2)
	v_cmpx_gt_i32_e64 s67, v4
	s_cbranch_execz .LBB20_116
; %bb.115:                              ;   in Loop: Header=BB20_111 Depth=2
	v_add_co_u32 v9, vcc_lo, v252, v178
	s_wait_alu 0xfffd
	v_add_co_ci_u32_e64 v10, null, 0, v253, vcc_lo
	global_load_b128 v[9:12], v[9:10], off offset:-8
.LBB20_116:                             ;   in Loop: Header=BB20_111 Depth=2
	s_wait_alu 0xfffe
	s_or_b32 exec_lo, exec_lo, s68
	v_mov_b32_e32 v17, 0
	v_dual_mov_b32 v18, 0 :: v_dual_mov_b32 v19, 0
	v_or_b32_e32 v4, 2, v197
	v_mov_b32_e32 v20, 0
	s_mov_b32 s68, exec_lo
	s_delay_alu instid0(VALU_DEP_2)
	v_cmpx_gt_i32_e64 s67, v4
	s_cbranch_execz .LBB20_118
; %bb.117:                              ;   in Loop: Header=BB20_111 Depth=2
	v_add_co_u32 v17, vcc_lo, v248, v178
	s_wait_alu 0xfffd
	v_add_co_ci_u32_e64 v18, null, 0, v249, vcc_lo
	global_load_b128 v[17:20], v[17:18], off
.LBB20_118:                             ;   in Loop: Header=BB20_111 Depth=2
	s_wait_alu 0xfffe
	s_or_b32 exec_lo, exec_lo, s68
	v_or_b32_e32 v4, 3, v197
	s_delay_alu instid0(VALU_DEP_1)
	v_cmp_gt_i32_e64 s68, s67, v4
	s_branch .LBB20_121
.LBB20_119:                             ;   in Loop: Header=BB20_111 Depth=2
	s_mov_b32 s68, 0
                                        ; implicit-def: $vgpr19_vgpr20
                                        ; implicit-def: $vgpr11_vgpr12
                                        ; implicit-def: $vgpr15_vgpr16
	s_cbranch_execz .LBB20_121
; %bb.120:                              ;   in Loop: Header=BB20_111 Depth=2
	s_wait_loadcnt 0x0
	v_add_co_u32 v9, vcc_lo, v252, v178
	s_wait_alu 0xfffd
	v_add_co_ci_u32_e64 v10, null, 0, v253, vcc_lo
	v_add_co_u32 v17, vcc_lo, v248, v178
	s_wait_alu 0xfffd
	v_add_co_ci_u32_e64 v18, null, 0, v249, vcc_lo
	global_load_b128 v[13:16], v[2:3], off offset:-8
	global_load_b128 v[9:12], v[9:10], off offset:-8
	global_load_b128 v[17:20], v[17:18], off
	s_wait_alu 0xfffe
	s_or_b32 s68, s68, exec_lo
.LBB20_121:                             ;   in Loop: Header=BB20_111 Depth=2
	v_mov_b32_e32 v21, 0
	v_dual_mov_b32 v22, 0 :: v_dual_mov_b32 v23, 0
	v_mov_b32_e32 v24, 0
	s_wait_alu 0xfffe
	s_and_saveexec_b32 s69, s68
	s_cbranch_execz .LBB20_123
; %bb.122:                              ;   in Loop: Header=BB20_111 Depth=2
	v_add_co_u32 v2, vcc_lo, v206, v178
	s_wait_alu 0xfffd
	v_add_co_ci_u32_e64 v3, null, 0, v207, vcc_lo
	global_load_b128 v[21:24], v[2:3], off offset:-8
.LBB20_123:                             ;   in Loop: Header=BB20_111 Depth=2
	s_wait_alu 0xfffe
	s_or_b32 exec_lo, exec_lo, s69
	ds_load_b128 v[29:32], v179
	ds_load_b128 v[25:28], v198
	v_cndmask_b32_e64 v4, 0, 1, s22
	s_wait_loadcnt_dscnt 0x1
	v_mul_f64_e32 v[2:3], v[15:16], v[31:32]
	v_mul_f64_e32 v[33:34], v[15:16], v[29:30]
	;; [unrolled: 1-line block ×8, first 2 shown]
	v_fma_f64 v[41:42], v[13:14], v[29:30], v[2:3]
	v_fma_f64 v[43:44], v[13:14], v[31:32], -v[33:34]
	v_fma_f64 v[45:46], v[9:10], v[29:30], v[35:36]
	v_fma_f64 v[47:48], v[9:10], v[31:32], -v[37:38]
	v_fma_f64 v[49:50], v[17:18], v[29:30], v[39:40]
	v_fma_f64 v[51:52], v[17:18], v[31:32], -v[51:52]
	v_fma_f64 v[53:54], v[21:22], v[29:30], v[53:54]
	v_fma_f64 v[55:56], v[21:22], v[31:32], -v[55:56]
	ds_load_b128 v[37:40], v198 offset:16
	ds_load_b128 v[33:36], v198 offset:32
	;; [unrolled: 1-line block ×3, first 2 shown]
	v_add_co_u32 v2, vcc_lo, v210, v178
	s_wait_alu 0xfffd
	v_add_co_ci_u32_e64 v3, null, 0, v211, vcc_lo
	s_and_not1_b32 vcc_lo, exec_lo, s22
	ds_store_b128 v199, v[41:44]
	ds_store_b128 v199, v[45:48] offset:1072
	ds_store_b128 v199, v[49:52] offset:2144
	;; [unrolled: 1-line block ×3, first 2 shown]
	s_wait_dscnt 0x0
	s_barrier_signal -1
	s_barrier_wait -1
	global_inv scope:SCOPE_SE
	ds_load_b128 v[97:100], v200
	ds_load_b128 v[93:96], v200 offset:16
	ds_load_b128 v[89:92], v200 offset:32
	;; [unrolled: 1-line block ×3, first 2 shown]
	s_wait_loadcnt_dscnt 0x0
	s_barrier_signal -1
	s_barrier_wait -1
	global_inv scope:SCOPE_SE
	s_wait_alu 0xfffe
	s_cbranch_vccnz .LBB20_131
; %bb.124:                              ;   in Loop: Header=BB20_111 Depth=2
	v_mov_b32_e32 v41, 0
	v_mov_b32_e32 v45, 0
	;; [unrolled: 1-line block ×3, first 2 shown]
	v_dual_mov_b32 v42, 0 :: v_dual_add_nc_u32 v43, 16, v197
	v_mov_b32_e32 v46, 0
	v_mov_b32_e32 v48, 0
	s_mov_b32 s22, exec_lo
	s_delay_alu instid0(VALU_DEP_3)
	v_cmpx_gt_i32_e64 s67, v43
	s_cbranch_execz .LBB20_126
; %bb.125:                              ;   in Loop: Header=BB20_111 Depth=2
	global_load_b128 v[45:48], v[2:3], off offset:-8
.LBB20_126:                             ;   in Loop: Header=BB20_111 Depth=2
	s_wait_alu 0xfffe
	s_or_b32 exec_lo, exec_lo, s22
	v_mov_b32_e32 v43, 0
	v_dual_mov_b32 v44, 0 :: v_dual_add_nc_u32 v49, 17, v197
	s_mov_b32 s22, exec_lo
	s_delay_alu instid0(VALU_DEP_1)
	v_cmpx_gt_i32_e64 s67, v49
	s_cbranch_execz .LBB20_128
; %bb.127:                              ;   in Loop: Header=BB20_111 Depth=2
	v_add_co_u32 v41, vcc_lo, v214, v178
	s_wait_alu 0xfffd
	v_add_co_ci_u32_e64 v42, null, 0, v215, vcc_lo
	global_load_b128 v[41:44], v[41:42], off offset:-8
.LBB20_128:                             ;   in Loop: Header=BB20_111 Depth=2
	s_wait_alu 0xfffe
	s_or_b32 exec_lo, exec_lo, s22
	v_mov_b32_e32 v49, 0
	v_mov_b32_e32 v51, 0
	v_dual_mov_b32 v50, 0 :: v_dual_add_nc_u32 v53, 18, v197
	v_mov_b32_e32 v52, 0
	s_mov_b32 s22, exec_lo
	s_delay_alu instid0(VALU_DEP_2)
	v_cmpx_gt_i32_e64 s67, v53
	s_cbranch_execz .LBB20_130
; %bb.129:                              ;   in Loop: Header=BB20_111 Depth=2
	v_add_co_u32 v49, vcc_lo, v218, v178
	s_wait_alu 0xfffd
	v_add_co_ci_u32_e64 v50, null, 0, v219, vcc_lo
	global_load_b128 v[49:52], v[49:50], off offset:-8
.LBB20_130:                             ;   in Loop: Header=BB20_111 Depth=2
	s_wait_alu 0xfffe
	s_or_b32 exec_lo, exec_lo, s22
	v_add_nc_u32_e32 v53, 19, v197
	s_delay_alu instid0(VALU_DEP_1)
	v_cmp_gt_i32_e64 s22, s67, v53
	s_branch .LBB20_133
.LBB20_131:                             ;   in Loop: Header=BB20_111 Depth=2
	s_mov_b32 s22, 0
                                        ; implicit-def: $vgpr51_vgpr52
                                        ; implicit-def: $vgpr43_vgpr44
                                        ; implicit-def: $vgpr47_vgpr48
	s_cbranch_execz .LBB20_133
; %bb.132:                              ;   in Loop: Header=BB20_111 Depth=2
	s_wait_loadcnt 0x0
	v_add_co_u32 v41, vcc_lo, v214, v178
	s_wait_alu 0xfffd
	v_add_co_ci_u32_e64 v42, null, 0, v215, vcc_lo
	v_add_co_u32 v49, vcc_lo, v218, v178
	s_wait_alu 0xfffd
	v_add_co_ci_u32_e64 v50, null, 0, v219, vcc_lo
	global_load_b128 v[45:48], v[2:3], off offset:-8
	global_load_b128 v[41:44], v[41:42], off offset:-8
	;; [unrolled: 1-line block ×3, first 2 shown]
	s_wait_alu 0xfffe
	s_or_b32 s22, s22, exec_lo
.LBB20_133:                             ;   in Loop: Header=BB20_111 Depth=2
	v_mov_b32_e32 v53, 0
	v_dual_mov_b32 v54, 0 :: v_dual_mov_b32 v55, 0
	v_mov_b32_e32 v56, 0
	s_wait_alu 0xfffe
	s_and_saveexec_b32 s68, s22
	s_cbranch_execz .LBB20_135
; %bb.134:                              ;   in Loop: Header=BB20_111 Depth=2
	v_add_co_u32 v2, vcc_lo, v222, v178
	s_wait_alu 0xfffd
	v_add_co_ci_u32_e64 v3, null, 0, v223, vcc_lo
	global_load_b128 v[53:56], v[2:3], off offset:-8
.LBB20_135:                             ;   in Loop: Header=BB20_111 Depth=2
	s_wait_alu 0xfffe
	s_or_b32 exec_lo, exec_lo, s68
	ds_load_b128 v[61:64], v179
	ds_load_b128 v[57:60], v198 offset:256
	v_cmp_ne_u32_e32 vcc_lo, 1, v4
	s_and_b32 vcc_lo, exec_lo, vcc_lo
	s_wait_loadcnt_dscnt 0x1
	v_mul_f64_e32 v[2:3], v[47:48], v[63:64]
	v_mul_f64_e32 v[65:66], v[47:48], v[61:62]
	;; [unrolled: 1-line block ×8, first 2 shown]
	v_fma_f64 v[73:74], v[45:46], v[61:62], v[2:3]
	v_fma_f64 v[75:76], v[45:46], v[63:64], -v[65:66]
	v_fma_f64 v[77:78], v[41:42], v[61:62], v[67:68]
	v_fma_f64 v[79:80], v[41:42], v[63:64], -v[69:70]
	;; [unrolled: 2-line block ×4, first 2 shown]
	ds_load_b128 v[69:72], v198 offset:272
	ds_load_b128 v[65:68], v198 offset:288
	;; [unrolled: 1-line block ×3, first 2 shown]
	v_add_co_u32 v2, s22, v224, v178
	s_wait_alu 0xf1ff
	v_add_co_ci_u32_e64 v3, null, 0, v225, s22
	ds_store_b128 v199, v[73:76]
	ds_store_b128 v199, v[77:80] offset:1072
	ds_store_b128 v199, v[81:84] offset:2144
	ds_store_b128 v199, v[101:104] offset:3216
	s_wait_dscnt 0x0
	s_barrier_signal -1
	s_barrier_wait -1
	global_inv scope:SCOPE_SE
	ds_load_b128 v[145:148], v200
	ds_load_b128 v[141:144], v200 offset:16
	ds_load_b128 v[137:140], v200 offset:32
	;; [unrolled: 1-line block ×3, first 2 shown]
	s_wait_loadcnt_dscnt 0x0
	s_barrier_signal -1
	s_barrier_wait -1
	global_inv scope:SCOPE_SE
	s_wait_alu 0xfffe
	s_cbranch_vccnz .LBB20_143
; %bb.136:                              ;   in Loop: Header=BB20_111 Depth=2
	v_mov_b32_e32 v73, 0
	v_mov_b32_e32 v77, 0
	;; [unrolled: 1-line block ×3, first 2 shown]
	v_dual_mov_b32 v74, 0 :: v_dual_add_nc_u32 v75, 32, v197
	v_mov_b32_e32 v78, 0
	v_mov_b32_e32 v80, 0
	s_mov_b32 s22, exec_lo
	s_delay_alu instid0(VALU_DEP_3)
	v_cmpx_gt_i32_e64 s67, v75
	s_cbranch_execz .LBB20_138
; %bb.137:                              ;   in Loop: Header=BB20_111 Depth=2
	global_load_b128 v[77:80], v[2:3], off offset:-8
.LBB20_138:                             ;   in Loop: Header=BB20_111 Depth=2
	s_wait_alu 0xfffe
	s_or_b32 exec_lo, exec_lo, s22
	v_mov_b32_e32 v75, 0
	v_dual_mov_b32 v76, 0 :: v_dual_add_nc_u32 v81, 33, v197
	s_mov_b32 s22, exec_lo
	s_delay_alu instid0(VALU_DEP_1)
	v_cmpx_gt_i32_e64 s67, v81
	s_cbranch_execz .LBB20_140
; %bb.139:                              ;   in Loop: Header=BB20_111 Depth=2
	v_add_co_u32 v73, vcc_lo, v220, v178
	s_wait_alu 0xfffd
	v_add_co_ci_u32_e64 v74, null, 0, v221, vcc_lo
	global_load_b128 v[73:76], v[73:74], off
.LBB20_140:                             ;   in Loop: Header=BB20_111 Depth=2
	s_wait_alu 0xfffe
	s_or_b32 exec_lo, exec_lo, s22
	v_mov_b32_e32 v81, 0
	v_mov_b32_e32 v83, 0
	v_dual_mov_b32 v82, 0 :: v_dual_add_nc_u32 v101, 34, v197
	v_mov_b32_e32 v84, 0
	s_mov_b32 s22, exec_lo
	s_delay_alu instid0(VALU_DEP_2)
	v_cmpx_gt_i32_e64 s67, v101
	s_cbranch_execz .LBB20_142
; %bb.141:                              ;   in Loop: Header=BB20_111 Depth=2
	v_add_co_u32 v81, vcc_lo, v216, v178
	s_wait_alu 0xfffd
	v_add_co_ci_u32_e64 v82, null, 0, v217, vcc_lo
	global_load_b128 v[81:84], v[81:82], off
.LBB20_142:                             ;   in Loop: Header=BB20_111 Depth=2
	s_wait_alu 0xfffe
	s_or_b32 exec_lo, exec_lo, s22
	v_add_nc_u32_e32 v101, 35, v197
	s_delay_alu instid0(VALU_DEP_1)
	v_cmp_gt_i32_e64 s22, s67, v101
	s_branch .LBB20_145
.LBB20_143:                             ;   in Loop: Header=BB20_111 Depth=2
	s_mov_b32 s22, 0
                                        ; implicit-def: $vgpr83_vgpr84
                                        ; implicit-def: $vgpr75_vgpr76
                                        ; implicit-def: $vgpr79_vgpr80
	s_cbranch_execz .LBB20_145
; %bb.144:                              ;   in Loop: Header=BB20_111 Depth=2
	s_wait_loadcnt 0x0
	v_add_co_u32 v73, vcc_lo, v220, v178
	s_wait_alu 0xfffd
	v_add_co_ci_u32_e64 v74, null, 0, v221, vcc_lo
	v_add_co_u32 v81, vcc_lo, v216, v178
	s_wait_alu 0xfffd
	v_add_co_ci_u32_e64 v82, null, 0, v217, vcc_lo
	global_load_b128 v[77:80], v[2:3], off offset:-8
	global_load_b128 v[73:76], v[73:74], off
	global_load_b128 v[81:84], v[81:82], off
	s_wait_alu 0xfffe
	s_or_b32 s22, s22, exec_lo
.LBB20_145:                             ;   in Loop: Header=BB20_111 Depth=2
	v_mov_b32_e32 v101, 0
	v_dual_mov_b32 v102, 0 :: v_dual_mov_b32 v103, 0
	v_mov_b32_e32 v104, 0
	s_wait_alu 0xfffe
	s_and_saveexec_b32 s68, s22
	s_cbranch_execz .LBB20_147
; %bb.146:                              ;   in Loop: Header=BB20_111 Depth=2
	v_add_co_u32 v2, vcc_lo, v212, v178
	s_wait_alu 0xfffd
	v_add_co_ci_u32_e64 v3, null, 0, v213, vcc_lo
	global_load_b128 v[101:104], v[2:3], off
.LBB20_147:                             ;   in Loop: Header=BB20_111 Depth=2
	s_wait_alu 0xfffe
	s_or_b32 exec_lo, exec_lo, s68
	ds_load_b128 v[109:112], v179
	ds_load_b128 v[105:108], v198 offset:512
	v_cmp_ne_u32_e32 vcc_lo, 1, v4
	s_and_b32 vcc_lo, exec_lo, vcc_lo
	s_wait_loadcnt_dscnt 0x1
	v_mul_f64_e32 v[2:3], v[79:80], v[111:112]
	v_mul_f64_e32 v[115:116], v[79:80], v[109:110]
	;; [unrolled: 1-line block ×6, first 2 shown]
	v_fma_f64 v[113:114], v[77:78], v[109:110], v[2:3]
	v_mul_f64_e32 v[2:3], v[83:84], v[109:110]
	v_fma_f64 v[115:116], v[77:78], v[111:112], -v[115:116]
	v_fma_f64 v[117:118], v[73:74], v[109:110], v[117:118]
	v_fma_f64 v[119:120], v[73:74], v[111:112], -v[119:120]
	v_fma_f64 v[121:122], v[81:82], v[109:110], v[121:122]
	v_fma_f64 v[127:128], v[101:102], v[111:112], -v[127:128]
	ds_store_b128 v199, v[113:116]
	ds_store_b128 v199, v[117:120] offset:1072
	v_fma_f64 v[123:124], v[81:82], v[111:112], -v[2:3]
	v_mul_f64_e32 v[2:3], v[103:104], v[111:112]
	s_delay_alu instid0(VALU_DEP_1)
	v_fma_f64 v[125:126], v[101:102], v[109:110], v[2:3]
	ds_load_b128 v[113:116], v198 offset:528
	ds_load_b128 v[109:112], v198 offset:544
	ds_store_b128 v199, v[121:124] offset:2144
	ds_load_b128 v[117:120], v198 offset:560
	v_add_co_u32 v2, s22, v208, v178
	s_wait_alu 0xf1ff
	v_add_co_ci_u32_e64 v3, null, 0, v209, s22
	ds_store_b128 v199, v[125:128] offset:3216
	s_wait_dscnt 0x0
	s_barrier_signal -1
	s_barrier_wait -1
	global_inv scope:SCOPE_SE
	ds_load_b128 v[169:172], v200
	ds_load_b128 v[165:168], v200 offset:16
	ds_load_b128 v[161:164], v200 offset:32
	;; [unrolled: 1-line block ×3, first 2 shown]
	s_wait_loadcnt_dscnt 0x0
	s_barrier_signal -1
	s_barrier_wait -1
	global_inv scope:SCOPE_SE
	s_wait_alu 0xfffe
	s_cbranch_vccnz .LBB20_155
; %bb.148:                              ;   in Loop: Header=BB20_111 Depth=2
	v_dual_mov_b32 v121, 0 :: v_dual_add_nc_u32 v4, 48, v197
	v_dual_mov_b32 v122, 0 :: v_dual_mov_b32 v125, 0
	v_dual_mov_b32 v126, 0 :: v_dual_mov_b32 v127, 0
	v_mov_b32_e32 v128, 0
	s_mov_b32 s22, exec_lo
	v_cmpx_gt_i32_e64 s67, v4
	s_cbranch_execz .LBB20_150
; %bb.149:                              ;   in Loop: Header=BB20_111 Depth=2
	global_load_b128 v[125:128], v[2:3], off
.LBB20_150:                             ;   in Loop: Header=BB20_111 Depth=2
	s_wait_alu 0xfffe
	s_or_b32 exec_lo, exec_lo, s22
	v_dual_mov_b32 v123, 0 :: v_dual_add_nc_u32 v4, 49, v197
	v_mov_b32_e32 v124, 0
	s_mov_b32 s22, exec_lo
	s_delay_alu instid0(VALU_DEP_2)
	v_cmpx_gt_i32_e64 s67, v4
	s_cbranch_execz .LBB20_152
; %bb.151:                              ;   in Loop: Header=BB20_111 Depth=2
	v_add_co_u32 v121, vcc_lo, v254, v178
	s_wait_alu 0xfffd
	v_add_co_ci_u32_e64 v122, null, 0, v255, vcc_lo
	global_load_b128 v[121:124], v[121:122], off
.LBB20_152:                             ;   in Loop: Header=BB20_111 Depth=2
	s_wait_alu 0xfffe
	s_or_b32 exec_lo, exec_lo, s22
	v_dual_mov_b32 v129, 0 :: v_dual_add_nc_u32 v4, 50, v197
	v_dual_mov_b32 v130, 0 :: v_dual_mov_b32 v131, 0
	v_mov_b32_e32 v132, 0
	s_mov_b32 s22, exec_lo
	s_delay_alu instid0(VALU_DEP_3)
	v_cmpx_gt_i32_e64 s67, v4
	s_cbranch_execz .LBB20_154
; %bb.153:                              ;   in Loop: Header=BB20_111 Depth=2
	v_add_co_u32 v129, vcc_lo, v250, v178
	s_wait_alu 0xfffd
	v_add_co_ci_u32_e64 v130, null, 0, v251, vcc_lo
	global_load_b128 v[129:132], v[129:130], off
.LBB20_154:                             ;   in Loop: Header=BB20_111 Depth=2
	s_wait_alu 0xfffe
	s_or_b32 exec_lo, exec_lo, s22
	v_add_nc_u32_e32 v4, 51, v197
	s_delay_alu instid0(VALU_DEP_1)
	v_cmp_gt_i32_e64 s22, s67, v4
	s_branch .LBB20_157
.LBB20_155:                             ;   in Loop: Header=BB20_111 Depth=2
	s_mov_b32 s22, 0
                                        ; implicit-def: $vgpr131_vgpr132
                                        ; implicit-def: $vgpr123_vgpr124
                                        ; implicit-def: $vgpr127_vgpr128
	s_cbranch_execz .LBB20_157
; %bb.156:                              ;   in Loop: Header=BB20_111 Depth=2
	s_wait_loadcnt 0x0
	v_add_co_u32 v121, vcc_lo, v254, v178
	s_wait_alu 0xfffd
	v_add_co_ci_u32_e64 v122, null, 0, v255, vcc_lo
	v_add_co_u32 v129, vcc_lo, v250, v178
	s_wait_alu 0xfffd
	v_add_co_ci_u32_e64 v130, null, 0, v251, vcc_lo
	global_load_b128 v[125:128], v[2:3], off
	global_load_b128 v[121:124], v[121:122], off
	global_load_b128 v[129:132], v[129:130], off
	s_wait_alu 0xfffe
	s_or_b32 s22, s22, exec_lo
.LBB20_157:                             ;   in Loop: Header=BB20_111 Depth=2
	v_mov_b32_e32 v149, 0
	v_dual_mov_b32 v150, 0 :: v_dual_mov_b32 v151, 0
	v_mov_b32_e32 v152, 0
	s_wait_alu 0xfffe
	s_and_saveexec_b32 s68, s22
	s_cbranch_execz .LBB20_159
; %bb.158:                              ;   in Loop: Header=BB20_111 Depth=2
	v_add_co_u32 v2, vcc_lo, v246, v178
	s_wait_alu 0xfffd
	v_add_co_ci_u32_e64 v3, null, 0, v247, vcc_lo
	global_load_b128 v[149:152], v[2:3], off
.LBB20_159:                             ;   in Loop: Header=BB20_111 Depth=2
	s_wait_alu 0xfffe
	s_or_b32 exec_lo, exec_lo, s68
	ds_load_b128 v[226:229], v179
	ds_load_b128 v[153:156], v198 offset:768
	v_cmp_gt_i32_e32 vcc_lo, s67, v177
	s_or_b32 s22, s59, vcc_lo
	s_wait_alu 0xfffe
	s_and_b32 s59, s21, s22
	s_wait_loadcnt_dscnt 0x1
	v_mul_f64_e32 v[2:3], v[127:128], v[228:229]
	v_mul_f64_e32 v[180:181], v[127:128], v[226:227]
	;; [unrolled: 1-line block ×4, first 2 shown]
	s_delay_alu instid0(VALU_DEP_4) | instskip(SKIP_4) | instid1(VALU_DEP_4)
	v_fma_f64 v[230:231], v[125:126], v[226:227], v[2:3]
	v_mul_f64_e32 v[2:3], v[123:124], v[228:229]
	v_fma_f64 v[232:233], v[125:126], v[228:229], -v[180:181]
	v_mul_f64_e32 v[180:181], v[123:124], v[226:227]
	v_fma_f64 v[182:183], v[129:130], v[228:229], -v[182:183]
	v_fma_f64 v[234:235], v[121:122], v[226:227], v[2:3]
	v_mul_f64_e32 v[2:3], v[131:132], v[228:229]
	s_delay_alu instid0(VALU_DEP_4) | instskip(NEXT) | instid1(VALU_DEP_2)
	v_fma_f64 v[236:237], v[121:122], v[228:229], -v[180:181]
	v_fma_f64 v[180:181], v[129:130], v[226:227], v[2:3]
	v_mul_f64_e32 v[2:3], v[151:152], v[228:229]
	v_fma_f64 v[228:229], v[149:150], v[228:229], -v[173:174]
	s_delay_alu instid0(VALU_DEP_2)
	v_fma_f64 v[226:227], v[149:150], v[226:227], v[2:3]
	v_add_f64_e32 v[2:3], 0, v[169:170]
	v_add_f64_e32 v[169:170], 0, v[171:172]
	ds_store_b128 v199, v[230:233]
	ds_store_b128 v199, v[234:237] offset:1072
	ds_store_b128 v199, v[180:183] offset:2144
	;; [unrolled: 1-line block ×3, first 2 shown]
	v_add_f64_e32 v[2:3], v[2:3], v[165:166]
	v_add_f64_e32 v[165:166], v[169:170], v[167:168]
	s_delay_alu instid0(VALU_DEP_2) | instskip(NEXT) | instid1(VALU_DEP_2)
	v_add_f64_e32 v[2:3], v[2:3], v[161:162]
	v_add_f64_e32 v[161:162], v[165:166], v[163:164]
	s_delay_alu instid0(VALU_DEP_2) | instskip(SKIP_2) | instid1(VALU_DEP_4)
	v_add_f64_e32 v[157:158], v[2:3], v[157:158]
	v_add_f64_e32 v[2:3], 0, v[97:98]
	;; [unrolled: 1-line block ×4, first 2 shown]
	s_delay_alu instid0(VALU_DEP_3) | instskip(NEXT) | instid1(VALU_DEP_3)
	v_add_f64_e32 v[2:3], v[2:3], v[93:94]
	v_add_f64_e32 v[93:94], v[97:98], v[95:96]
	s_delay_alu instid0(VALU_DEP_2) | instskip(NEXT) | instid1(VALU_DEP_2)
	v_add_f64_e32 v[2:3], v[2:3], v[89:90]
	v_add_f64_e32 v[89:90], v[93:94], v[91:92]
	s_delay_alu instid0(VALU_DEP_2) | instskip(SKIP_2) | instid1(VALU_DEP_4)
	v_add_f64_e32 v[97:98], v[2:3], v[85:86]
	v_add_f64_e32 v[85:86], 0, v[147:148]
	;; [unrolled: 1-line block ×4, first 2 shown]
	s_delay_alu instid0(VALU_DEP_3) | instskip(NEXT) | instid1(VALU_DEP_3)
	v_add_f64_e32 v[85:86], v[85:86], v[143:144]
	v_add_f64_e32 v[2:3], v[2:3], v[141:142]
	s_delay_alu instid0(VALU_DEP_2) | instskip(NEXT) | instid1(VALU_DEP_2)
	v_add_f64_e32 v[85:86], v[85:86], v[139:140]
	v_add_f64_e32 v[2:3], v[2:3], v[137:138]
	s_delay_alu instid0(VALU_DEP_2)
	v_add_f64_e32 v[135:136], v[85:86], v[135:136]
	ds_load_b128 v[93:96], v198 offset:784
	ds_load_b128 v[89:92], v198 offset:800
	ds_load_b128 v[85:88], v198 offset:816
	s_wait_dscnt 0x0
	s_barrier_signal -1
	s_barrier_wait -1
	global_inv scope:SCOPE_SE
	ds_load_b128 v[137:140], v200
	ds_load_b128 v[141:144], v200 offset:16
	v_add_f64_e32 v[133:134], v[2:3], v[133:134]
	s_wait_dscnt 0x1
	v_add_f64_e32 v[2:3], 0, v[137:138]
	v_add_f64_e32 v[137:138], 0, v[139:140]
	s_wait_dscnt 0x0
	s_delay_alu instid0(VALU_DEP_2) | instskip(NEXT) | instid1(VALU_DEP_2)
	v_add_f64_e32 v[2:3], v[2:3], v[141:142]
	v_add_f64_e32 v[145:146], v[137:138], v[143:144]
	ds_load_b128 v[137:140], v200 offset:32
	ds_load_b128 v[141:144], v200 offset:48
	s_wait_loadcnt_dscnt 0x0
	s_barrier_signal -1
	s_barrier_wait -1
	global_inv scope:SCOPE_SE
	ds_store_b128 v238, v[97:100]
	ds_store_b128 v238, v[133:136] offset:256
	ds_store_b128 v238, v[157:160] offset:512
	v_add_f64_e32 v[2:3], v[2:3], v[137:138]
	v_add_f64_e32 v[139:140], v[145:146], v[139:140]
	s_delay_alu instid0(VALU_DEP_2) | instskip(NEXT) | instid1(VALU_DEP_2)
	v_add_f64_e32 v[137:138], v[2:3], v[141:142]
	v_add_f64_e32 v[139:140], v[139:140], v[143:144]
	ds_store_b128 v238, v[137:140] offset:768
	s_wait_loadcnt_dscnt 0x0
	s_barrier_signal -1
	s_barrier_wait -1
	global_inv scope:SCOPE_SE
	s_wait_alu 0xfffe
	s_and_saveexec_b32 s22, s59
	s_cbranch_execz .LBB20_161
; %bb.160:                              ;   in Loop: Header=BB20_111 Depth=2
	ds_load_b128 v[97:100], v201
	ds_load_b128 v[133:136], v201 offset:16
	s_wait_dscnt 0x0
	v_add_f64_e32 v[2:3], v[133:134], v[97:98]
	v_add_f64_e32 v[137:138], v[135:136], v[99:100]
	ds_load_b128 v[97:100], v201 offset:32
	ds_load_b128 v[133:136], v201 offset:48
	s_wait_dscnt 0x1
	v_add_f64_e32 v[2:3], v[2:3], v[97:98]
	v_add_f64_e32 v[97:98], v[137:138], v[99:100]
	s_wait_dscnt 0x0
	s_delay_alu instid0(VALU_DEP_2) | instskip(NEXT) | instid1(VALU_DEP_2)
	v_add_f64_e32 v[2:3], v[2:3], v[133:134]
	v_add_f64_e32 v[137:138], v[97:98], v[135:136]
	ds_load_b128 v[97:100], v201 offset:64
	ds_load_b128 v[133:136], v201 offset:80
	s_wait_dscnt 0x1
	v_add_f64_e32 v[2:3], v[2:3], v[97:98]
	v_add_f64_e32 v[97:98], v[137:138], v[99:100]
	s_wait_dscnt 0x0
	s_delay_alu instid0(VALU_DEP_2) | instskip(NEXT) | instid1(VALU_DEP_2)
	;; [unrolled: 9-line block ×6, first 2 shown]
	v_add_f64_e32 v[2:3], v[2:3], v[133:134]
	v_add_f64_e32 v[137:138], v[97:98], v[135:136]
	ds_load_b128 v[97:100], v201 offset:224
	ds_load_b128 v[133:136], v202
	s_wait_dscnt 0x1
	v_add_f64_e32 v[2:3], v[2:3], v[97:98]
	v_add_f64_e32 v[99:100], v[137:138], v[99:100]
	s_wait_dscnt 0x0
	s_delay_alu instid0(VALU_DEP_2) | instskip(NEXT) | instid1(VALU_DEP_2)
	v_add_f64_e32 v[97:98], v[2:3], v[133:134]
	v_add_f64_e32 v[99:100], v[99:100], v[135:136]
	v_add_nc_u32_e32 v2, s58, v177
	s_delay_alu instid0(VALU_DEP_1) | instskip(NEXT) | instid1(VALU_DEP_1)
	v_ashrrev_i32_e32 v3, 31, v2
	v_lshlrev_b64_e32 v[2:3], 4, v[2:3]
	s_delay_alu instid0(VALU_DEP_1) | instskip(SKIP_1) | instid1(VALU_DEP_2)
	v_add_co_u32 v2, vcc_lo, s56, v2
	s_wait_alu 0xfffd
	v_add_co_ci_u32_e64 v3, null, s57, v3, vcc_lo
	global_store_b128 v[2:3], v[97:100], off
.LBB20_161:                             ;   in Loop: Header=BB20_111 Depth=2
	s_wait_alu 0xfffe
	s_or_b32 exec_lo, exec_lo, s22
	v_mul_f64_e32 v[2:3], v[15:16], v[27:28]
	v_add_co_u32 v244, vcc_lo, v244, s40
	s_wait_alu 0xfffd
	v_add_co_ci_u32_e64 v245, null, s41, v245, vcc_lo
	v_add_co_u32 v246, vcc_lo, v246, s40
	s_wait_alu 0xfffd
	v_add_co_ci_u32_e64 v247, null, s41, v247, vcc_lo
	v_add_co_u32 v248, vcc_lo, v248, s40
	s_wait_alu 0xfffd
	v_add_co_ci_u32_e64 v249, null, s41, v249, vcc_lo
	v_add_co_u32 v250, vcc_lo, v250, s40
	s_wait_alu 0xfffd
	v_add_co_ci_u32_e64 v251, null, s41, v251, vcc_lo
	v_add_co_u32 v252, vcc_lo, v252, s40
	s_wait_alu 0xfffd
	v_add_co_ci_u32_e64 v253, null, s41, v253, vcc_lo
	v_add_co_u32 v254, vcc_lo, v254, s40
	s_wait_alu 0xfffd
	v_add_co_ci_u32_e64 v255, null, s41, v255, vcc_lo
	v_add_co_u32 v206, vcc_lo, v206, s40
	s_wait_alu 0xfffd
	v_add_co_ci_u32_e64 v207, null, s41, v207, vcc_lo
	v_add_co_u32 v208, vcc_lo, v208, s40
	s_wait_alu 0xfffd
	v_add_co_ci_u32_e64 v209, null, s41, v209, vcc_lo
	v_add_co_u32 v210, vcc_lo, v210, s40
	s_wait_alu 0xfffd
	v_add_co_ci_u32_e64 v211, null, s41, v211, vcc_lo
	v_add_co_u32 v212, vcc_lo, v212, s40
	v_fma_f64 v[2:3], v[13:14], v[25:26], -v[2:3]
	v_mul_f64_e32 v[13:14], v[13:14], v[27:28]
	v_mul_f64_e32 v[27:28], v[43:44], v[71:72]
	s_wait_alu 0xfffd
	v_add_co_ci_u32_e64 v213, null, s41, v213, vcc_lo
	v_add_co_u32 v214, vcc_lo, v214, s40
	s_wait_alu 0xfffd
	v_add_co_ci_u32_e64 v215, null, s41, v215, vcc_lo
	v_add_co_u32 v216, vcc_lo, v216, s40
	;; [unrolled: 3-line block ×6, first 2 shown]
	s_wait_alu 0xfffd
	v_add_co_ci_u32_e64 v225, null, s41, v225, vcc_lo
	s_add_co_i32 s59, s66, 2
	s_add_co_i32 s22, s66, 1
	;; [unrolled: 1-line block ×3, first 2 shown]
	s_wait_alu 0xfffe
	s_cmp_ge_u32 s59, s26
	s_wait_loadcnt 0x0
	s_wait_storecnt 0x0
	s_barrier_signal -1
	s_barrier_wait -1
	global_inv scope:SCOPE_SE
	v_add_f64_e32 v[2:3], v[5:6], v[2:3]
	v_fma_f64 v[13:14], v[15:16], v[25:26], v[13:14]
	v_mul_f64_e32 v[15:16], v[11:12], v[39:40]
	v_mul_f64_e32 v[25:26], v[45:46], v[59:60]
	v_fma_f64 v[27:28], v[41:42], v[69:70], -v[27:28]
	s_delay_alu instid0(VALU_DEP_4) | instskip(NEXT) | instid1(VALU_DEP_4)
	v_add_f64_e32 v[4:5], v[7:8], v[13:14]
	v_fma_f64 v[15:16], v[9:10], v[37:38], -v[15:16]
	v_mul_f64_e32 v[9:10], v[9:10], v[39:40]
	v_fma_f64 v[25:26], v[47:48], v[57:58], v[25:26]
	v_mul_f64_e32 v[39:40], v[79:80], v[107:108]
	s_delay_alu instid0(VALU_DEP_4) | instskip(NEXT) | instid1(VALU_DEP_4)
	v_add_f64_e32 v[2:3], v[2:3], v[15:16]
	v_fma_f64 v[9:10], v[11:12], v[37:38], v[9:10]
	v_mul_f64_e32 v[11:12], v[19:20], v[35:36]
	v_mul_f64_e32 v[37:38], v[53:54], v[63:64]
	v_fma_f64 v[39:40], v[77:78], v[105:106], -v[39:40]
	s_delay_alu instid0(VALU_DEP_4) | instskip(NEXT) | instid1(VALU_DEP_4)
	v_add_f64_e32 v[4:5], v[4:5], v[9:10]
	v_fma_f64 v[11:12], v[17:18], v[33:34], -v[11:12]
	v_mul_f64_e32 v[17:18], v[17:18], v[35:36]
	v_mul_f64_e32 v[35:36], v[55:56], v[63:64]
	v_fma_f64 v[37:38], v[55:56], v[61:62], v[37:38]
	v_mul_f64_e32 v[55:56], v[127:128], v[155:156]
	v_mul_f64_e32 v[63:64], v[131:132], v[91:92]
	v_add_f64_e32 v[2:3], v[2:3], v[11:12]
	v_fma_f64 v[17:18], v[19:20], v[33:34], v[17:18]
	v_mul_f64_e32 v[19:20], v[23:24], v[31:32]
	v_mul_f64_e32 v[33:34], v[49:50], v[67:68]
	v_fma_f64 v[35:36], v[53:54], v[61:62], -v[35:36]
	v_mul_f64_e32 v[53:54], v[101:102], v[119:120]
	v_fma_f64 v[55:56], v[125:126], v[153:154], -v[55:56]
	v_mul_f64_e32 v[61:62], v[121:122], v[95:96]
	v_fma_f64 v[63:64], v[129:130], v[89:90], -v[63:64]
	v_add_f64_e32 v[4:5], v[4:5], v[17:18]
	v_fma_f64 v[19:20], v[21:22], v[29:30], -v[19:20]
	v_mul_f64_e32 v[21:22], v[21:22], v[31:32]
	v_mul_f64_e32 v[31:32], v[51:52], v[67:68]
	v_fma_f64 v[33:34], v[51:52], v[65:66], v[33:34]
	v_mul_f64_e32 v[51:52], v[103:104], v[119:120]
	v_fma_f64 v[53:54], v[103:104], v[117:118], v[53:54]
	v_fma_f64 v[61:62], v[123:124], v[93:94], v[61:62]
	v_mul_f64_e32 v[67:68], v[151:152], v[87:88]
	v_add_f64_e32 v[2:3], v[2:3], v[19:20]
	v_fma_f64 v[21:22], v[23:24], v[29:30], v[21:22]
	v_mul_f64_e32 v[23:24], v[47:48], v[59:60]
	v_mul_f64_e32 v[29:30], v[41:42], v[71:72]
	v_fma_f64 v[31:32], v[49:50], v[65:66], -v[31:32]
	v_mul_f64_e32 v[41:42], v[77:78], v[107:108]
	v_mul_f64_e32 v[47:48], v[83:84], v[111:112]
	v_mul_f64_e32 v[49:50], v[81:82], v[111:112]
	v_fma_f64 v[51:52], v[101:102], v[117:118], -v[51:52]
	v_mul_f64_e32 v[59:60], v[123:124], v[95:96]
	v_mul_f64_e32 v[65:66], v[129:130], v[91:92]
	v_fma_f64 v[67:68], v[149:150], v[85:86], -v[67:68]
	v_add_f64_e32 v[4:5], v[4:5], v[21:22]
	v_fma_f64 v[23:24], v[45:46], v[57:58], -v[23:24]
	v_fma_f64 v[29:30], v[43:44], v[69:70], v[29:30]
	v_mul_f64_e32 v[43:44], v[75:76], v[115:116]
	v_fma_f64 v[41:42], v[79:80], v[105:106], v[41:42]
	v_mul_f64_e32 v[45:46], v[73:74], v[115:116]
	v_fma_f64 v[47:48], v[81:82], v[109:110], -v[47:48]
	v_fma_f64 v[49:50], v[83:84], v[109:110], v[49:50]
	v_mul_f64_e32 v[57:58], v[125:126], v[155:156]
	v_fma_f64 v[59:60], v[121:122], v[93:94], -v[59:60]
	v_fma_f64 v[65:66], v[131:132], v[89:90], v[65:66]
	v_mul_f64_e32 v[69:70], v[149:150], v[87:88]
	v_add_f64_e32 v[4:5], v[4:5], v[25:26]
	v_add_f64_e32 v[2:3], v[2:3], v[23:24]
	v_fma_f64 v[43:44], v[73:74], v[113:114], -v[43:44]
	v_fma_f64 v[45:46], v[75:76], v[113:114], v[45:46]
	v_fma_f64 v[57:58], v[127:128], v[153:154], v[57:58]
	;; [unrolled: 1-line block ×3, first 2 shown]
	v_add_f64_e32 v[4:5], v[4:5], v[29:30]
	v_add_f64_e32 v[2:3], v[2:3], v[27:28]
	s_delay_alu instid0(VALU_DEP_2) | instskip(NEXT) | instid1(VALU_DEP_2)
	v_add_f64_e32 v[4:5], v[4:5], v[33:34]
	v_add_f64_e32 v[2:3], v[2:3], v[31:32]
	s_delay_alu instid0(VALU_DEP_2) | instskip(NEXT) | instid1(VALU_DEP_2)
	;; [unrolled: 3-line block ×10, first 2 shown]
	v_add_f64_e32 v[7:8], v[7:8], v[69:70]
	v_add_f64_e32 v[5:6], v[2:3], v[67:68]
	s_cbranch_scc1 .LBB20_163
; %bb.162:                              ;   in Loop: Header=BB20_111 Depth=2
	s_mov_b32 s66, s22
	s_wait_alu 0xfffe
	s_cmp_eq_u32 s62, s66
	s_cselect_b32 s67, s27, 0
	s_and_saveexec_b32 s22, s0
	s_cbranch_execnz .LBB20_107
	s_branch .LBB20_111
.LBB20_163:                             ;   in Loop: Header=BB20_4 Depth=1
	ds_store_b128 v203, v[5:8]
	s_wait_loadcnt_dscnt 0x0
	s_barrier_signal -1
	s_barrier_wait -1
	global_inv scope:SCOPE_SE
	s_and_saveexec_b32 s22, s63
	s_cbranch_execz .LBB20_2
; %bb.164:                              ;   in Loop: Header=BB20_4 Depth=1
	ds_load_b128 v[2:5], v178 offset:1072
	ds_load_b128 v[6:9], v178
	s_wait_dscnt 0x0
	v_add_f64_e32 v[10:11], v[2:3], v[6:7]
	v_add_f64_e32 v[12:13], v[4:5], v[8:9]
	ds_load_b128 v[2:5], v178 offset:2144
	ds_load_b128 v[6:9], v178 offset:3216
	s_wait_dscnt 0x1
	v_add_f64_e32 v[2:3], v[10:11], v[2:3]
	v_add_f64_e32 v[4:5], v[12:13], v[4:5]
	s_wait_dscnt 0x0
	s_delay_alu instid0(VALU_DEP_2)
	v_add_f64_e32 v[2:3], v[2:3], v[6:7]
	scratch_load_b64 v[6:7], off, off offset:136 ; 8-byte Folded Reload
	v_add_f64_e32 v[4:5], v[4:5], v[8:9]
	s_wait_loadcnt 0x0
	s_wait_alu 0xfffe
	v_add_co_u32 v6, vcc_lo, s56, v6
	s_wait_alu 0xfffd
	v_add_co_ci_u32_e64 v7, null, s57, v7, vcc_lo
	global_store_b128 v[6:7], v[2:5], off
	s_branch .LBB20_2
.LBB20_165:                             ;   in Loop: Header=BB20_4 Depth=1
	ds_load_b128 v[2:5], v241
	s_mov_b32 s22, exec_lo
	s_wait_dscnt 0x0
	v_xor_b32_e32 v5, 0x80000000, v5
	ds_store_b64 v190, v[2:3]
	s_wait_alu 0xfffe
	s_or_saveexec_b32 s56, s56
	v_mov_b32_e32 v2, v190
	s_wait_alu 0xfffe
	s_xor_b32 exec_lo, exec_lo, s56
	s_cbranch_execz .LBB20_33
.LBB20_166:                             ;   in Loop: Header=BB20_4 Depth=1
	v_mov_b32_e32 v4, 0
	v_dual_mov_b32 v5, 0 :: v_dual_mov_b32 v2, v188
	s_and_not1_b32 s22, s22, exec_lo
	s_and_b32 s57, s9, exec_lo
	s_wait_alu 0xfffe
	s_or_b32 s22, s22, s57
	s_or_b32 exec_lo, exec_lo, s56
	s_wait_alu 0xfffe
	s_and_saveexec_b32 s56, s22
	s_cbranch_execnz .LBB20_34
	s_branch .LBB20_35
.LBB20_167:                             ;   in Loop: Header=BB20_4 Depth=1
	ds_load_b128 v[9:12], v241
	s_mov_b32 s22, exec_lo
	s_wait_dscnt 0x0
	v_xor_b32_e32 v12, 0x80000000, v12
	ds_store_b64 v190, v[9:10]
	s_wait_alu 0xfffe
	s_or_saveexec_b32 s56, s56
	v_mov_b32_e32 v2, v190
	s_wait_alu 0xfffe
	s_xor_b32 exec_lo, exec_lo, s56
	s_cbranch_execz .LBB20_71
.LBB20_168:                             ;   in Loop: Header=BB20_4 Depth=1
	v_dual_mov_b32 v11, 0 :: v_dual_mov_b32 v2, v188
	v_mov_b32_e32 v12, 0
	s_and_not1_b32 s22, s22, exec_lo
	s_and_b32 s57, s9, exec_lo
	s_wait_alu 0xfffe
	s_or_b32 s22, s22, s57
	s_or_b32 exec_lo, exec_lo, s56
	s_wait_alu 0xfffe
	s_and_saveexec_b32 s56, s22
	s_cbranch_execnz .LBB20_72
	s_branch .LBB20_73
.LBB20_169:                             ;   in Loop: Header=BB20_4 Depth=1
	global_load_b128 v[9:12], v[7:8], off
	s_wait_loadcnt 0x0
	ds_store_2addr_b64 v184, v[9:10], v[11:12] offset1:1
	s_or_b32 exec_lo, exec_lo, s22
	s_and_saveexec_b32 s22, s3
	s_wait_alu 0xfffe
	s_xor_b32 s22, exec_lo, s22
	s_cbranch_execz .LBB20_16
.LBB20_170:                             ;   in Loop: Header=BB20_4 Depth=1
	v_dual_mov_b32 v2, v1 :: v_dual_mov_b32 v3, v1
	v_mov_b32_e32 v4, v1
	ds_store_b128 v185, v[1:4]
	s_wait_alu 0xfffe
	s_and_not1_saveexec_b32 s22, s22
	s_cbranch_execz .LBB20_17
.LBB20_171:                             ;   in Loop: Header=BB20_4 Depth=1
	v_add_co_u32 v2, vcc_lo, v7, s36
	s_wait_alu 0xfffd
	v_add_co_ci_u32_e64 v3, null, s37, v8, vcc_lo
	global_load_b128 v[9:12], v[2:3], off
	s_wait_loadcnt 0x0
	ds_store_2addr_b64 v185, v[9:10], v[11:12] offset1:1
	s_wait_alu 0xfffe
	s_or_b32 exec_lo, exec_lo, s22
	s_and_saveexec_b32 s22, s4
	s_wait_alu 0xfffe
	s_xor_b32 s22, exec_lo, s22
	s_cbranch_execz .LBB20_18
.LBB20_172:                             ;   in Loop: Header=BB20_4 Depth=1
	v_dual_mov_b32 v2, v1 :: v_dual_mov_b32 v3, v1
	v_mov_b32_e32 v4, v1
	ds_store_b128 v186, v[1:4]
	s_wait_alu 0xfffe
	s_and_not1_saveexec_b32 s22, s22
	s_cbranch_execz .LBB20_19
.LBB20_173:                             ;   in Loop: Header=BB20_4 Depth=1
	v_add_co_u32 v2, vcc_lo, v7, s38
	s_wait_alu 0xfffd
	v_add_co_ci_u32_e64 v3, null, s39, v8, vcc_lo
	global_load_b128 v[9:12], v[2:3], off
	s_wait_loadcnt 0x0
	ds_store_2addr_b64 v186, v[9:10], v[11:12] offset1:1
	s_wait_alu 0xfffe
	s_or_b32 exec_lo, exec_lo, s22
	s_and_saveexec_b32 s22, s5
	s_wait_alu 0xfffe
	s_xor_b32 s22, exec_lo, s22
	s_cbranch_execz .LBB20_20
.LBB20_174:                             ;   in Loop: Header=BB20_4 Depth=1
	v_dual_mov_b32 v2, v1 :: v_dual_mov_b32 v3, v1
	v_mov_b32_e32 v4, v1
	ds_store_b128 v187, v[1:4]
	s_wait_alu 0xfffe
	s_and_not1_saveexec_b32 s22, s22
	s_cbranch_execnz .LBB20_21
	s_branch .LBB20_22
.LBB20_175:                             ;   in Loop: Header=BB20_4 Depth=1
	global_load_b128 v[17:20], v[11:12], off
	s_wait_loadcnt 0x0
	ds_store_2addr_b64 v184, v[17:18], v[19:20] offset1:1
	s_or_b32 exec_lo, exec_lo, s22
	s_and_saveexec_b32 s22, s17
	s_wait_alu 0xfffe
	s_xor_b32 s22, exec_lo, s22
	s_cbranch_execz .LBB20_54
.LBB20_176:                             ;   in Loop: Header=BB20_4 Depth=1
	v_dual_mov_b32 v2, v1 :: v_dual_mov_b32 v3, v1
	v_mov_b32_e32 v4, v1
	ds_store_b128 v185, v[1:4]
	s_wait_alu 0xfffe
	s_and_not1_saveexec_b32 s22, s22
	s_cbranch_execz .LBB20_55
.LBB20_177:                             ;   in Loop: Header=BB20_4 Depth=1
	v_add_co_u32 v2, vcc_lo, v11, s36
	s_wait_alu 0xfffd
	v_add_co_ci_u32_e64 v3, null, s37, v12, vcc_lo
	global_load_b128 v[17:20], v[2:3], off
	s_wait_loadcnt 0x0
	ds_store_2addr_b64 v185, v[17:18], v[19:20] offset1:1
	s_wait_alu 0xfffe
	s_or_b32 exec_lo, exec_lo, s22
	s_and_saveexec_b32 s22, s18
	s_wait_alu 0xfffe
	s_xor_b32 s22, exec_lo, s22
	s_cbranch_execz .LBB20_56
.LBB20_178:                             ;   in Loop: Header=BB20_4 Depth=1
	v_dual_mov_b32 v2, v1 :: v_dual_mov_b32 v3, v1
	v_mov_b32_e32 v4, v1
	ds_store_b128 v186, v[1:4]
	s_wait_alu 0xfffe
	s_and_not1_saveexec_b32 s22, s22
	s_cbranch_execz .LBB20_57
.LBB20_179:                             ;   in Loop: Header=BB20_4 Depth=1
	v_add_co_u32 v2, vcc_lo, v11, s38
	s_wait_alu 0xfffd
	v_add_co_ci_u32_e64 v3, null, s39, v12, vcc_lo
	global_load_b128 v[17:20], v[2:3], off
	s_wait_loadcnt 0x0
	ds_store_2addr_b64 v186, v[17:18], v[19:20] offset1:1
	s_wait_alu 0xfffe
	s_or_b32 exec_lo, exec_lo, s22
	s_and_saveexec_b32 s22, s19
	s_wait_alu 0xfffe
	s_xor_b32 s22, exec_lo, s22
	s_cbranch_execz .LBB20_58
.LBB20_180:                             ;   in Loop: Header=BB20_4 Depth=1
	v_dual_mov_b32 v2, v1 :: v_dual_mov_b32 v3, v1
	v_mov_b32_e32 v4, v1
	ds_store_b128 v187, v[1:4]
	s_wait_alu 0xfffe
	s_and_not1_saveexec_b32 s22, s22
	s_cbranch_execnz .LBB20_59
	s_branch .LBB20_60
.LBB20_181:                             ;   in Loop: Header=BB20_4 Depth=1
	global_load_b128 v[15:18], v[11:12], off
	s_wait_loadcnt 0x0
	ds_store_2addr_b64 v184, v[15:16], v[17:18] offset1:1
	s_or_b32 exec_lo, exec_lo, s22
	s_and_saveexec_b32 s22, s17
	s_wait_alu 0xfffe
	s_xor_b32 s22, exec_lo, s22
	s_cbranch_execz .LBB20_92
.LBB20_182:                             ;   in Loop: Header=BB20_4 Depth=1
	v_dual_mov_b32 v2, v1 :: v_dual_mov_b32 v3, v1
	v_mov_b32_e32 v4, v1
	ds_store_b128 v185, v[1:4]
	s_wait_alu 0xfffe
	s_and_not1_saveexec_b32 s22, s22
	s_cbranch_execz .LBB20_93
.LBB20_183:                             ;   in Loop: Header=BB20_4 Depth=1
	v_add_co_u32 v2, vcc_lo, v11, s36
	s_wait_alu 0xfffd
	v_add_co_ci_u32_e64 v3, null, s37, v12, vcc_lo
	global_load_b128 v[15:18], v[2:3], off
	s_wait_loadcnt 0x0
	ds_store_2addr_b64 v185, v[15:16], v[17:18] offset1:1
	s_wait_alu 0xfffe
	s_or_b32 exec_lo, exec_lo, s22
	s_and_saveexec_b32 s22, s18
	s_wait_alu 0xfffe
	s_xor_b32 s22, exec_lo, s22
	s_cbranch_execz .LBB20_94
.LBB20_184:                             ;   in Loop: Header=BB20_4 Depth=1
	v_dual_mov_b32 v2, v1 :: v_dual_mov_b32 v3, v1
	v_mov_b32_e32 v4, v1
	ds_store_b128 v186, v[1:4]
	s_wait_alu 0xfffe
	s_and_not1_saveexec_b32 s22, s22
	s_cbranch_execz .LBB20_95
.LBB20_185:                             ;   in Loop: Header=BB20_4 Depth=1
	v_add_co_u32 v2, vcc_lo, v11, s38
	s_wait_alu 0xfffd
	v_add_co_ci_u32_e64 v3, null, s39, v12, vcc_lo
	global_load_b128 v[15:18], v[2:3], off
	s_wait_loadcnt 0x0
	ds_store_2addr_b64 v186, v[15:16], v[17:18] offset1:1
	s_wait_alu 0xfffe
	s_or_b32 exec_lo, exec_lo, s22
	s_and_saveexec_b32 s22, s19
	s_wait_alu 0xfffe
	s_xor_b32 s22, exec_lo, s22
	s_cbranch_execz .LBB20_96
.LBB20_186:                             ;   in Loop: Header=BB20_4 Depth=1
	v_dual_mov_b32 v2, v1 :: v_dual_mov_b32 v3, v1
	v_mov_b32_e32 v4, v1
	ds_store_b128 v187, v[1:4]
	s_wait_alu 0xfffe
	s_and_not1_saveexec_b32 s22, s22
	s_cbranch_execnz .LBB20_97
	s_branch .LBB20_98
.LBB20_187:
	s_nop 0
	s_sendmsg sendmsg(MSG_DEALLOC_VGPRS)
	s_endpgm
	.section	.rodata,"a",@progbits
	.p2align	6, 0x0
	.amdhsa_kernel _ZL26rocblas_hemvn_kernel_upperILb1ELi64ELi4ELi33ELi32ELi16El19rocblas_complex_numIdEPKS1_PS1_EviT6_lT7_lT5_lS6_lS7_lS5_lT8_i
		.amdhsa_group_segment_fixed_size 19200
		.amdhsa_private_segment_fixed_size 148
		.amdhsa_kernarg_size 392
		.amdhsa_user_sgpr_count 2
		.amdhsa_user_sgpr_dispatch_ptr 0
		.amdhsa_user_sgpr_queue_ptr 0
		.amdhsa_user_sgpr_kernarg_segment_ptr 1
		.amdhsa_user_sgpr_dispatch_id 0
		.amdhsa_user_sgpr_private_segment_size 0
		.amdhsa_wavefront_size32 1
		.amdhsa_uses_dynamic_stack 0
		.amdhsa_enable_private_segment 1
		.amdhsa_system_sgpr_workgroup_id_x 1
		.amdhsa_system_sgpr_workgroup_id_y 0
		.amdhsa_system_sgpr_workgroup_id_z 1
		.amdhsa_system_sgpr_workgroup_info 0
		.amdhsa_system_vgpr_workitem_id 1
		.amdhsa_next_free_vgpr 256
		.amdhsa_next_free_sgpr 70
		.amdhsa_reserve_vcc 1
		.amdhsa_float_round_mode_32 0
		.amdhsa_float_round_mode_16_64 0
		.amdhsa_float_denorm_mode_32 3
		.amdhsa_float_denorm_mode_16_64 3
		.amdhsa_fp16_overflow 0
		.amdhsa_workgroup_processor_mode 1
		.amdhsa_memory_ordered 1
		.amdhsa_forward_progress 1
		.amdhsa_inst_pref_size 111
		.amdhsa_round_robin_scheduling 0
		.amdhsa_exception_fp_ieee_invalid_op 0
		.amdhsa_exception_fp_denorm_src 0
		.amdhsa_exception_fp_ieee_div_zero 0
		.amdhsa_exception_fp_ieee_overflow 0
		.amdhsa_exception_fp_ieee_underflow 0
		.amdhsa_exception_fp_ieee_inexact 0
		.amdhsa_exception_int_div_zero 0
	.end_amdhsa_kernel
	.section	.text._ZL26rocblas_hemvn_kernel_upperILb1ELi64ELi4ELi33ELi32ELi16El19rocblas_complex_numIdEPKS1_PS1_EviT6_lT7_lT5_lS6_lS7_lS5_lT8_i,"axG",@progbits,_ZL26rocblas_hemvn_kernel_upperILb1ELi64ELi4ELi33ELi32ELi16El19rocblas_complex_numIdEPKS1_PS1_EviT6_lT7_lT5_lS6_lS7_lS5_lT8_i,comdat
.Lfunc_end20:
	.size	_ZL26rocblas_hemvn_kernel_upperILb1ELi64ELi4ELi33ELi32ELi16El19rocblas_complex_numIdEPKS1_PS1_EviT6_lT7_lT5_lS6_lS7_lS5_lT8_i, .Lfunc_end20-_ZL26rocblas_hemvn_kernel_upperILb1ELi64ELi4ELi33ELi32ELi16El19rocblas_complex_numIdEPKS1_PS1_EviT6_lT7_lT5_lS6_lS7_lS5_lT8_i
                                        ; -- End function
	.set _ZL26rocblas_hemvn_kernel_upperILb1ELi64ELi4ELi33ELi32ELi16El19rocblas_complex_numIdEPKS1_PS1_EviT6_lT7_lT5_lS6_lS7_lS5_lT8_i.num_vgpr, 256
	.set _ZL26rocblas_hemvn_kernel_upperILb1ELi64ELi4ELi33ELi32ELi16El19rocblas_complex_numIdEPKS1_PS1_EviT6_lT7_lT5_lS6_lS7_lS5_lT8_i.num_agpr, 0
	.set _ZL26rocblas_hemvn_kernel_upperILb1ELi64ELi4ELi33ELi32ELi16El19rocblas_complex_numIdEPKS1_PS1_EviT6_lT7_lT5_lS6_lS7_lS5_lT8_i.numbered_sgpr, 70
	.set _ZL26rocblas_hemvn_kernel_upperILb1ELi64ELi4ELi33ELi32ELi16El19rocblas_complex_numIdEPKS1_PS1_EviT6_lT7_lT5_lS6_lS7_lS5_lT8_i.num_named_barrier, 0
	.set _ZL26rocblas_hemvn_kernel_upperILb1ELi64ELi4ELi33ELi32ELi16El19rocblas_complex_numIdEPKS1_PS1_EviT6_lT7_lT5_lS6_lS7_lS5_lT8_i.private_seg_size, 148
	.set _ZL26rocblas_hemvn_kernel_upperILb1ELi64ELi4ELi33ELi32ELi16El19rocblas_complex_numIdEPKS1_PS1_EviT6_lT7_lT5_lS6_lS7_lS5_lT8_i.uses_vcc, 1
	.set _ZL26rocblas_hemvn_kernel_upperILb1ELi64ELi4ELi33ELi32ELi16El19rocblas_complex_numIdEPKS1_PS1_EviT6_lT7_lT5_lS6_lS7_lS5_lT8_i.uses_flat_scratch, 0
	.set _ZL26rocblas_hemvn_kernel_upperILb1ELi64ELi4ELi33ELi32ELi16El19rocblas_complex_numIdEPKS1_PS1_EviT6_lT7_lT5_lS6_lS7_lS5_lT8_i.has_dyn_sized_stack, 0
	.set _ZL26rocblas_hemvn_kernel_upperILb1ELi64ELi4ELi33ELi32ELi16El19rocblas_complex_numIdEPKS1_PS1_EviT6_lT7_lT5_lS6_lS7_lS5_lT8_i.has_recursion, 0
	.set _ZL26rocblas_hemvn_kernel_upperILb1ELi64ELi4ELi33ELi32ELi16El19rocblas_complex_numIdEPKS1_PS1_EviT6_lT7_lT5_lS6_lS7_lS5_lT8_i.has_indirect_call, 0
	.section	.AMDGPU.csdata,"",@progbits
; Kernel info:
; codeLenInByte = 14108
; TotalNumSgprs: 72
; NumVgprs: 256
; ScratchSize: 148
; MemoryBound: 1
; FloatMode: 240
; IeeeMode: 1
; LDSByteSize: 19200 bytes/workgroup (compile time only)
; SGPRBlocks: 0
; VGPRBlocks: 31
; NumSGPRsForWavesPerEU: 72
; NumVGPRsForWavesPerEU: 256
; Occupancy: 5
; WaveLimiterHint : 1
; COMPUTE_PGM_RSRC2:SCRATCH_EN: 1
; COMPUTE_PGM_RSRC2:USER_SGPR: 2
; COMPUTE_PGM_RSRC2:TRAP_HANDLER: 0
; COMPUTE_PGM_RSRC2:TGID_X_EN: 1
; COMPUTE_PGM_RSRC2:TGID_Y_EN: 0
; COMPUTE_PGM_RSRC2:TGID_Z_EN: 1
; COMPUTE_PGM_RSRC2:TIDIG_COMP_CNT: 1
	.section	.text._ZL36rocblas_hemvn_kernel_upper_block_sumILi64El19rocblas_complex_numIdEPS1_S1_EviT1_lS3_lT2_lT0_lPT3_i,"axG",@progbits,_ZL36rocblas_hemvn_kernel_upper_block_sumILi64El19rocblas_complex_numIdEPS1_S1_EviT1_lS3_lT2_lT0_lPT3_i,comdat
	.globl	_ZL36rocblas_hemvn_kernel_upper_block_sumILi64El19rocblas_complex_numIdEPS1_S1_EviT1_lS3_lT2_lT0_lPT3_i ; -- Begin function _ZL36rocblas_hemvn_kernel_upper_block_sumILi64El19rocblas_complex_numIdEPS1_S1_EviT1_lS3_lT2_lT0_lPT3_i
	.p2align	8
	.type	_ZL36rocblas_hemvn_kernel_upper_block_sumILi64El19rocblas_complex_numIdEPS1_S1_EviT1_lS3_lT2_lT0_lPT3_i,@function
_ZL36rocblas_hemvn_kernel_upper_block_sumILi64El19rocblas_complex_numIdEPS1_S1_EviT1_lS3_lT2_lT0_lPT3_i: ; @_ZL36rocblas_hemvn_kernel_upper_block_sumILi64El19rocblas_complex_numIdEPS1_S1_EviT1_lS3_lT2_lT0_lPT3_i
; %bb.0:
	s_load_b32 s22, s[0:1], 0x60
	s_lshr_b32 s2, ttmp7, 16
	s_wait_kmcnt 0x0
	s_cmp_ge_u32 s2, s22
	s_cbranch_scc1 .LBB21_24
; %bb.1:
	s_clause 0x4
	s_load_b128 s[12:15], s[0:1], 0x8
	s_load_b128 s[16:19], s[0:1], 0x20
	s_load_b256 s[4:11], s[0:1], 0x40
	s_load_b32 s28, s[0:1], 0x0
	s_load_b64 s[24:25], s[0:1], 0x38
	v_lshl_or_b32 v0, ttmp9, 6, v0
	s_add_nc_u64 s[20:21], s[0:1], 0x68
	s_delay_alu instid0(VALU_DEP_1) | instskip(NEXT) | instid1(VALU_DEP_1)
	v_ashrrev_i32_e32 v1, 31, v0
	v_lshlrev_b64_e32 v[2:3], 4, v[0:1]
	s_wait_kmcnt 0x0
	v_cmp_neq_f64_e64 s3, s[12:13], 0
	v_cmp_neq_f64_e64 s23, s[14:15], 0
	;; [unrolled: 1-line block ×4, first 2 shown]
	v_cmp_neq_f64_e64 s30, s[16:17], 1.0
	v_cmp_gt_i32_e64 s0, s28, v0
	v_mul_lo_u32 v6, s6, v1
	v_mul_lo_u32 v7, s7, v0
	v_mad_co_u64_u32 v[0:1], null, s6, v0, 0
	v_add_co_u32 v2, vcc_lo, s10, v2
	s_delay_alu instid0(VALU_DEP_1)
	v_add_co_ci_u32_e64 v3, null, s11, v3, vcc_lo
	s_lshl_b64 s[4:5], s[4:5], 4
	s_ashr_i32 s29, s28, 31
	v_add3_u32 v1, v1, v6, v7
	v_add_co_u32 v4, vcc_lo, v2, 8
	s_wait_alu 0xfffd
	v_add_co_ci_u32_e64 v5, null, 0, v3, vcc_lo
	s_delay_alu instid0(VALU_DEP_3)
	v_lshlrev_b64_e32 v[6:7], 4, v[0:1]
	s_add_nc_u64 s[4:5], s[24:25], s[4:5]
	s_or_b32 s3, s3, s23
	s_or_b32 s6, s27, s26
	s_xor_b32 s1, s3, -1
	s_wait_alu 0xfffe
	s_xor_b32 s23, s6, -1
	s_cmp_gt_i32 ttmp9, -1
	v_cndmask_b32_e64 v10, 0, 1, s6
	s_cselect_b32 s24, -1, 0
	s_or_b32 s3, s3, s30
	s_lshl_b64 s[6:7], s[28:29], 4
	s_or_b32 s25, s3, s26
	s_add_co_i32 s26, ttmp9, 1
	s_mov_b32 s3, 0
	s_branch .LBB21_4
.LBB21_2:                               ;   in Loop: Header=BB21_4 Depth=1
	s_wait_alu 0xfffe
	s_or_b32 exec_lo, exec_lo, s28
.LBB21_3:                               ;   in Loop: Header=BB21_4 Depth=1
	s_add_co_i32 s2, s2, 0x10000
	s_wait_alu 0xfffe
	s_cmp_lt_u32 s2, s22
	s_cbranch_scc0 .LBB21_24
.LBB21_4:                               ; =>This Loop Header: Depth=1
                                        ;     Child Loop BB21_15 Depth 2
	s_and_not1_b32 vcc_lo, exec_lo, s25
	s_wait_alu 0xfffe
	s_cbranch_vccnz .LBB21_3
; %bb.5:                                ;   in Loop: Header=BB21_4 Depth=1
	s_mul_u64 s[10:11], s[8:9], s[2:3]
	s_and_not1_b32 vcc_lo, exec_lo, s1
	s_wait_alu 0xfffe
	s_lshl_b64 s[10:11], s[10:11], 4
	s_wait_alu 0xfffe
	s_add_nc_u64 s[10:11], s[4:5], s[10:11]
	s_cbranch_vccnz .LBB21_10
; %bb.6:                                ;   in Loop: Header=BB21_4 Depth=1
	s_mov_b32 s28, 0
	s_mov_b32 s27, 0
                                        ; implicit-def: $vgpr2_vgpr3
	s_and_saveexec_b32 s29, s0
	s_cbranch_execz .LBB21_11
; %bb.7:                                ;   in Loop: Header=BB21_4 Depth=1
	v_cmp_ne_u32_e32 vcc_lo, 1, v10
	v_mov_b32_e32 v2, 0
	v_dual_mov_b32 v3, 0 :: v_dual_mov_b32 v0, 0
	v_mov_b32_e32 v1, 0
	s_cbranch_vccnz .LBB21_9
; %bb.8:                                ;   in Loop: Header=BB21_4 Depth=1
	s_wait_alu 0xfffe
	v_add_co_u32 v0, vcc_lo, s10, v6
	s_wait_alu 0xfffd
	v_add_co_ci_u32_e64 v1, null, s11, v7, vcc_lo
	global_load_b128 v[11:14], v[0:1], off
	s_wait_loadcnt 0x0
	v_mul_f64_e32 v[0:1], s[18:19], v[13:14]
	v_mul_f64_e32 v[2:3], s[16:17], v[13:14]
	s_delay_alu instid0(VALU_DEP_2) | instskip(NEXT) | instid1(VALU_DEP_2)
	v_fma_f64 v[0:1], s[16:17], v[11:12], -v[0:1]
	v_fma_f64 v[2:3], s[18:19], v[11:12], v[2:3]
.LBB21_9:                               ;   in Loop: Header=BB21_4 Depth=1
	s_mov_b32 s27, exec_lo
	s_wait_alu 0xfffe
	s_or_b32 exec_lo, exec_lo, s29
	s_delay_alu instid0(SALU_CYCLE_1)
	s_and_b32 vcc_lo, exec_lo, s28
	s_wait_alu 0xfffe
	s_cbranch_vccnz .LBB21_12
	s_branch .LBB21_22
.LBB21_10:                              ;   in Loop: Header=BB21_4 Depth=1
	s_mov_b32 s27, 0
                                        ; implicit-def: $vgpr2_vgpr3
	s_cbranch_execnz .LBB21_12
	s_branch .LBB21_22
.LBB21_11:                              ;   in Loop: Header=BB21_4 Depth=1
	s_wait_alu 0xfffe
	s_or_b32 exec_lo, exec_lo, s29
	s_delay_alu instid0(SALU_CYCLE_1)
	s_and_b32 vcc_lo, exec_lo, s28
	s_wait_alu 0xfffe
	s_cbranch_vccz .LBB21_22
.LBB21_12:                              ;   in Loop: Header=BB21_4 Depth=1
                                        ; implicit-def: $vgpr2_vgpr3
	s_and_saveexec_b32 s28, s0
	s_cbranch_execz .LBB21_21
; %bb.13:                               ;   in Loop: Header=BB21_4 Depth=1
	v_mov_b32_e32 v0, 0
	v_dual_mov_b32 v1, 0 :: v_dual_mov_b32 v2, 0
	v_mov_b32_e32 v3, 0
	s_and_not1_b32 vcc_lo, exec_lo, s24
	s_wait_alu 0xfffe
	s_cbranch_vccnz .LBB21_16
; %bb.14:                               ;   in Loop: Header=BB21_4 Depth=1
	s_load_b32 s30, s[20:21], 0x0
	s_mov_b32 s31, s3
	v_mov_b32_e32 v2, 0
	s_mov_b32 s29, s26
	v_mov_b32_e32 v3, 0
	s_wait_kmcnt 0x0
	s_wait_alu 0xfffe
	s_mul_u64 s[30:31], s[6:7], s[30:31]
	s_wait_alu 0xfffe
	v_mad_co_u64_u32 v[8:9], null, s30, s2, v[4:5]
	s_delay_alu instid0(VALU_DEP_1) | instskip(NEXT) | instid1(VALU_DEP_1)
	v_mov_b32_e32 v0, v9
	v_mad_co_u64_u32 v[11:12], null, s31, s2, v[0:1]
	v_mov_b32_e32 v0, 0
	v_mov_b32_e32 v1, 0
	s_delay_alu instid0(VALU_DEP_3)
	v_mov_b32_e32 v9, v11
.LBB21_15:                              ;   Parent Loop BB21_4 Depth=1
                                        ; =>  This Inner Loop Header: Depth=2
	global_load_b128 v[11:14], v[8:9], off offset:-8
	v_add_co_u32 v8, vcc_lo, v8, s6
	s_wait_alu 0xfffd
	v_add_co_ci_u32_e64 v9, null, s7, v9, vcc_lo
	s_wait_alu 0xfffe
	s_add_co_i32 s29, s29, -1
	s_wait_alu 0xfffe
	s_cmp_eq_u32 s29, 0
	s_wait_loadcnt 0x0
	v_add_f64_e32 v[2:3], v[2:3], v[11:12]
	v_add_f64_e32 v[0:1], v[0:1], v[13:14]
	s_cbranch_scc0 .LBB21_15
.LBB21_16:                              ;   in Loop: Header=BB21_4 Depth=1
	s_delay_alu instid0(VALU_DEP_1) | instskip(SKIP_3) | instid1(VALU_DEP_2)
	v_mul_f64_e32 v[8:9], s[14:15], v[0:1]
	v_mul_f64_e32 v[11:12], s[12:13], v[0:1]
	s_and_b32 vcc_lo, exec_lo, s23
	s_mov_b32 s29, -1
	v_fma_f64 v[0:1], s[12:13], v[2:3], -v[8:9]
	s_delay_alu instid0(VALU_DEP_2)
	v_fma_f64 v[2:3], s[14:15], v[2:3], v[11:12]
	s_wait_alu 0xfffe
	s_cbranch_vccz .LBB21_18
; %bb.17:                               ;   in Loop: Header=BB21_4 Depth=1
	s_mov_b32 s29, 0
.LBB21_18:                              ;   in Loop: Header=BB21_4 Depth=1
	s_wait_alu 0xfffe
	s_and_not1_b32 vcc_lo, exec_lo, s29
	s_wait_alu 0xfffe
	s_cbranch_vccnz .LBB21_20
; %bb.19:                               ;   in Loop: Header=BB21_4 Depth=1
	v_add_co_u32 v8, vcc_lo, s10, v6
	s_wait_alu 0xfffd
	v_add_co_ci_u32_e64 v9, null, s11, v7, vcc_lo
	global_load_b128 v[11:14], v[8:9], off
	s_wait_loadcnt 0x0
	v_mul_f64_e32 v[8:9], s[18:19], v[13:14]
	v_mul_f64_e32 v[13:14], s[16:17], v[13:14]
	s_delay_alu instid0(VALU_DEP_2) | instskip(NEXT) | instid1(VALU_DEP_2)
	v_fma_f64 v[8:9], s[16:17], v[11:12], -v[8:9]
	v_fma_f64 v[11:12], s[18:19], v[11:12], v[13:14]
	s_delay_alu instid0(VALU_DEP_2) | instskip(NEXT) | instid1(VALU_DEP_2)
	v_add_f64_e32 v[0:1], v[0:1], v[8:9]
	v_add_f64_e32 v[2:3], v[2:3], v[11:12]
.LBB21_20:                              ;   in Loop: Header=BB21_4 Depth=1
	s_or_b32 s27, s27, exec_lo
.LBB21_21:                              ;   in Loop: Header=BB21_4 Depth=1
	s_wait_alu 0xfffe
	s_or_b32 exec_lo, exec_lo, s28
.LBB21_22:                              ;   in Loop: Header=BB21_4 Depth=1
	s_and_saveexec_b32 s28, s27
	s_cbranch_execz .LBB21_2
; %bb.23:                               ;   in Loop: Header=BB21_4 Depth=1
	s_wait_alu 0xfffe
	v_add_co_u32 v8, vcc_lo, s10, v6
	s_wait_alu 0xfffd
	v_add_co_ci_u32_e64 v9, null, s11, v7, vcc_lo
	global_store_b128 v[8:9], v[0:3], off
	s_branch .LBB21_2
.LBB21_24:
	s_endpgm
	.section	.rodata,"a",@progbits
	.p2align	6, 0x0
	.amdhsa_kernel _ZL36rocblas_hemvn_kernel_upper_block_sumILi64El19rocblas_complex_numIdEPS1_S1_EviT1_lS3_lT2_lT0_lPT3_i
		.amdhsa_group_segment_fixed_size 0
		.amdhsa_private_segment_fixed_size 0
		.amdhsa_kernarg_size 360
		.amdhsa_user_sgpr_count 2
		.amdhsa_user_sgpr_dispatch_ptr 0
		.amdhsa_user_sgpr_queue_ptr 0
		.amdhsa_user_sgpr_kernarg_segment_ptr 1
		.amdhsa_user_sgpr_dispatch_id 0
		.amdhsa_user_sgpr_private_segment_size 0
		.amdhsa_wavefront_size32 1
		.amdhsa_uses_dynamic_stack 0
		.amdhsa_enable_private_segment 0
		.amdhsa_system_sgpr_workgroup_id_x 1
		.amdhsa_system_sgpr_workgroup_id_y 0
		.amdhsa_system_sgpr_workgroup_id_z 1
		.amdhsa_system_sgpr_workgroup_info 0
		.amdhsa_system_vgpr_workitem_id 0
		.amdhsa_next_free_vgpr 15
		.amdhsa_next_free_sgpr 32
		.amdhsa_reserve_vcc 1
		.amdhsa_float_round_mode_32 0
		.amdhsa_float_round_mode_16_64 0
		.amdhsa_float_denorm_mode_32 3
		.amdhsa_float_denorm_mode_16_64 3
		.amdhsa_fp16_overflow 0
		.amdhsa_workgroup_processor_mode 1
		.amdhsa_memory_ordered 1
		.amdhsa_forward_progress 1
		.amdhsa_inst_pref_size 8
		.amdhsa_round_robin_scheduling 0
		.amdhsa_exception_fp_ieee_invalid_op 0
		.amdhsa_exception_fp_denorm_src 0
		.amdhsa_exception_fp_ieee_div_zero 0
		.amdhsa_exception_fp_ieee_overflow 0
		.amdhsa_exception_fp_ieee_underflow 0
		.amdhsa_exception_fp_ieee_inexact 0
		.amdhsa_exception_int_div_zero 0
	.end_amdhsa_kernel
	.section	.text._ZL36rocblas_hemvn_kernel_upper_block_sumILi64El19rocblas_complex_numIdEPS1_S1_EviT1_lS3_lT2_lT0_lPT3_i,"axG",@progbits,_ZL36rocblas_hemvn_kernel_upper_block_sumILi64El19rocblas_complex_numIdEPS1_S1_EviT1_lS3_lT2_lT0_lPT3_i,comdat
.Lfunc_end21:
	.size	_ZL36rocblas_hemvn_kernel_upper_block_sumILi64El19rocblas_complex_numIdEPS1_S1_EviT1_lS3_lT2_lT0_lPT3_i, .Lfunc_end21-_ZL36rocblas_hemvn_kernel_upper_block_sumILi64El19rocblas_complex_numIdEPS1_S1_EviT1_lS3_lT2_lT0_lPT3_i
                                        ; -- End function
	.set _ZL36rocblas_hemvn_kernel_upper_block_sumILi64El19rocblas_complex_numIdEPS1_S1_EviT1_lS3_lT2_lT0_lPT3_i.num_vgpr, 15
	.set _ZL36rocblas_hemvn_kernel_upper_block_sumILi64El19rocblas_complex_numIdEPS1_S1_EviT1_lS3_lT2_lT0_lPT3_i.num_agpr, 0
	.set _ZL36rocblas_hemvn_kernel_upper_block_sumILi64El19rocblas_complex_numIdEPS1_S1_EviT1_lS3_lT2_lT0_lPT3_i.numbered_sgpr, 32
	.set _ZL36rocblas_hemvn_kernel_upper_block_sumILi64El19rocblas_complex_numIdEPS1_S1_EviT1_lS3_lT2_lT0_lPT3_i.num_named_barrier, 0
	.set _ZL36rocblas_hemvn_kernel_upper_block_sumILi64El19rocblas_complex_numIdEPS1_S1_EviT1_lS3_lT2_lT0_lPT3_i.private_seg_size, 0
	.set _ZL36rocblas_hemvn_kernel_upper_block_sumILi64El19rocblas_complex_numIdEPS1_S1_EviT1_lS3_lT2_lT0_lPT3_i.uses_vcc, 1
	.set _ZL36rocblas_hemvn_kernel_upper_block_sumILi64El19rocblas_complex_numIdEPS1_S1_EviT1_lS3_lT2_lT0_lPT3_i.uses_flat_scratch, 0
	.set _ZL36rocblas_hemvn_kernel_upper_block_sumILi64El19rocblas_complex_numIdEPS1_S1_EviT1_lS3_lT2_lT0_lPT3_i.has_dyn_sized_stack, 0
	.set _ZL36rocblas_hemvn_kernel_upper_block_sumILi64El19rocblas_complex_numIdEPS1_S1_EviT1_lS3_lT2_lT0_lPT3_i.has_recursion, 0
	.set _ZL36rocblas_hemvn_kernel_upper_block_sumILi64El19rocblas_complex_numIdEPS1_S1_EviT1_lS3_lT2_lT0_lPT3_i.has_indirect_call, 0
	.section	.AMDGPU.csdata,"",@progbits
; Kernel info:
; codeLenInByte = 932
; TotalNumSgprs: 34
; NumVgprs: 15
; ScratchSize: 0
; MemoryBound: 0
; FloatMode: 240
; IeeeMode: 1
; LDSByteSize: 0 bytes/workgroup (compile time only)
; SGPRBlocks: 0
; VGPRBlocks: 1
; NumSGPRsForWavesPerEU: 34
; NumVGPRsForWavesPerEU: 15
; Occupancy: 16
; WaveLimiterHint : 0
; COMPUTE_PGM_RSRC2:SCRATCH_EN: 0
; COMPUTE_PGM_RSRC2:USER_SGPR: 2
; COMPUTE_PGM_RSRC2:TRAP_HANDLER: 0
; COMPUTE_PGM_RSRC2:TGID_X_EN: 1
; COMPUTE_PGM_RSRC2:TGID_Y_EN: 0
; COMPUTE_PGM_RSRC2:TGID_Z_EN: 1
; COMPUTE_PGM_RSRC2:TIDIG_COMP_CNT: 0
	.section	.text._ZL26rocblas_hemvn_kernel_upperILb1ELi64ELi4ELi33ELi32ELi16Ei19rocblas_complex_numIdEPKS1_PS1_EviT6_lT7_lT5_lS6_lS7_lS5_lT8_i,"axG",@progbits,_ZL26rocblas_hemvn_kernel_upperILb1ELi64ELi4ELi33ELi32ELi16Ei19rocblas_complex_numIdEPKS1_PS1_EviT6_lT7_lT5_lS6_lS7_lS5_lT8_i,comdat
	.globl	_ZL26rocblas_hemvn_kernel_upperILb1ELi64ELi4ELi33ELi32ELi16Ei19rocblas_complex_numIdEPKS1_PS1_EviT6_lT7_lT5_lS6_lS7_lS5_lT8_i ; -- Begin function _ZL26rocblas_hemvn_kernel_upperILb1ELi64ELi4ELi33ELi32ELi16Ei19rocblas_complex_numIdEPKS1_PS1_EviT6_lT7_lT5_lS6_lS7_lS5_lT8_i
	.p2align	8
	.type	_ZL26rocblas_hemvn_kernel_upperILb1ELi64ELi4ELi33ELi32ELi16Ei19rocblas_complex_numIdEPKS1_PS1_EviT6_lT7_lT5_lS6_lS7_lS5_lT8_i,@function
_ZL26rocblas_hemvn_kernel_upperILb1ELi64ELi4ELi33ELi32ELi16Ei19rocblas_complex_numIdEPKS1_PS1_EviT6_lT7_lT5_lS6_lS7_lS5_lT8_i: ; @_ZL26rocblas_hemvn_kernel_upperILb1ELi64ELi4ELi33ELi32ELi16Ei19rocblas_complex_numIdEPKS1_PS1_EviT6_lT7_lT5_lS6_lS7_lS5_lT8_i
; %bb.0:
	s_clause 0x1
	s_load_b64 s[2:3], s[0:1], 0x94
	s_load_b32 s23, s[0:1], 0x80
	s_lshr_b32 s28, ttmp7, 16
	s_wait_kmcnt 0x0
	s_lshr_b32 s4, s2, 16
	s_and_b32 s2, s2, 0xffff
	s_and_b32 s3, s3, 0xffff
	s_mul_i32 s2, s4, s2
	s_delay_alu instid0(SALU_CYCLE_1) | instskip(NEXT) | instid1(SALU_CYCLE_1)
	s_mul_i32 s2, s2, s3
	s_cmp_lg_u32 s2, 0x100
	s_cselect_b32 s2, -1, 0
	s_cmp_ge_u32 s28, s23
	s_cselect_b32 s3, -1, 0
	s_delay_alu instid0(SALU_CYCLE_1) | instskip(NEXT) | instid1(SALU_CYCLE_1)
	s_or_b32 s2, s2, s3
	s_and_b32 vcc_lo, exec_lo, s2
	s_cbranch_vccnz .LBB22_187
; %bb.1:
	s_clause 0x5
	s_load_b128 s[8:11], s[0:1], 0x8
	s_load_b32 s12, s[0:1], 0x0
	s_load_b128 s[4:7], s[0:1], 0x20
	s_load_b32 s50, s[0:1], 0x30
	s_load_b128 s[24:27], s[0:1], 0x38
	s_load_b96 s[20:22], s[0:1], 0x48
	v_bfe_u32 v12, v0, 10, 10
	v_and_b32_e32 v173, 0x3ff, v0
	s_add_nc_u64 s[16:17], s[0:1], 0x88
	s_lshl_b32 s44, ttmp9, 6
	v_and_b32_e32 v2, 31, v0
	v_lshlrev_b32_e32 v13, 6, v12
	v_add_nc_u32_e32 v3, s44, v173
	s_load_b64 s[14:15], s[0:1], 0x78
	s_mov_b32 s29, 0
	s_mov_b32 s2, ttmp9
	v_add_nc_u32_e32 v14, v13, v173
	s_mov_b32 s35, s29
	v_lshlrev_b32_e32 v200, 2, v12
	v_lshlrev_b32_e32 v22, 4, v173
	s_wait_kmcnt 0x0
	v_cmp_neq_f64_e64 s3, s[8:9], 0
	v_cmp_neq_f64_e64 s18, s[10:11], 0
	s_clause 0x1
	s_load_b64 s[30:31], s[0:1], 0x58
	s_load_b128 s[8:11], s[0:1], 0x60
	s_load_b32 s34, s[16:17], 0x0
	v_lshrrev_b32_e32 v10, 5, v14
	v_mul_lo_u32 v4, s22, v3
	s_ashr_i32 s13, s12, 31
	s_lshl_b64 s[6:7], s[6:7], 4
	s_lshr_b32 s1, s13, 26
	v_mad_co_u64_u32 v[6:7], null, s50, v10, v[2:3]
	s_add_co_i32 s1, s12, s1
	s_add_nc_u64 s[4:5], s[4:5], s[6:7]
	v_ashrrev_i32_e32 v5, 31, v4
	s_and_not1_b32 s1, s1, 63
	s_ashr_i32 s51, s50, 31
	s_lshl_b64 s[16:17], s[20:21], 4
	s_sub_co_i32 s33, s12, s1
	v_lshlrev_b64_e32 v[4:5], 4, v[4:5]
	v_ashrrev_i32_e32 v7, 31, v6
	v_lshlrev_b32_e32 v16, 2, v10
	v_add_nc_u32_e32 v11, 16, v10
	s_wait_kmcnt 0x0
	v_cmp_neq_f64_e64 s65, s[10:11], 0
	s_add_co_i32 s6, s34, -1
	s_add_nc_u64 s[10:11], s[26:27], s[16:17]
	s_mul_u64 s[26:27], s[34:35], s[12:13]
	s_wait_alu 0xfffe
	v_add_co_u32 v1, vcc_lo, s10, v4
	v_lshlrev_b64_e32 v[6:7], 4, v[6:7]
	v_cmp_neq_f64_e64 s46, s[8:9], 1.0
	s_mul_i32 s8, s50, s44
	scratch_store_b32 off, v1, off offset:12 ; 4-byte Folded Spill
	v_add_co_ci_u32_e64 v1, null, s11, v5, vcc_lo
	v_or_b32_e32 v19, 1, v16
	v_or_b32_e32 v20, 2, v16
	v_lshlrev_b32_e32 v18, 6, v10
	scratch_store_b32 off, v1, off offset:16 ; 4-byte Folded Spill
	v_add_nc_u32_e32 v15, 24, v10
	s_or_b32 s47, s3, s18
	s_cmp_eq_u32 ttmp9, s6
	v_cmp_eq_u32_e64 s20, 1, v10
	s_cselect_b32 s36, s33, 0
	v_add_nc_u32_e32 v198, 0x4700, v18
	s_cmp_lg_u32 s36, 0
	v_cmp_gt_i32_e32 vcc_lo, s36, v173
	s_cselect_b32 s35, -1, 0
	s_cmp_eq_u32 s36, 0
	v_cmp_eq_u32_e64 s0, 0, v12
	s_cselect_b32 s1, -1, 0
	s_ashr_i32 s45, s44, 31
	s_or_b32 s64, s1, vcc_lo
	s_wait_alu 0xfffe
	s_lshl_b64 s[6:7], s[44:45], 4
	s_ashr_i32 s9, s8, 31
	s_add_nc_u64 s[4:5], s[4:5], s[6:7]
	s_wait_alu 0xfffe
	s_lshl_b64 s[8:9], s[8:9], 4
	v_add_co_u32 v1, vcc_lo, s4, v6
	s_wait_alu 0xfffd
	v_add_co_ci_u32_e64 v4, null, s5, v7, vcc_lo
	s_ashr_i32 s3, ttmp9, 31
	s_wait_alu 0xfffe
	v_add_co_u32 v1, vcc_lo, v1, s8
	s_mul_u64 s[2:3], s[12:13], s[2:3]
	s_sub_co_i32 s19, s36, 32
	s_lshl_b64 s[2:3], s[2:3], 4
	scratch_store_b32 off, v1, off offset:20 ; 4-byte Folded Spill
	s_wait_alu 0xfffd
	v_add_co_ci_u32_e64 v1, null, s9, v4, vcc_lo
	v_add_nc_u32_e32 v4, 8, v10
	s_add_nc_u64 s[38:39], s[14:15], s[2:3]
	v_cmp_le_i32_e64 s4, s36, v11
	v_cmp_le_i32_e64 s16, s19, v10
	;; [unrolled: 1-line block ×5, first 2 shown]
	v_mul_i32_i24_e32 v4, 0xffffffd0, v10
	scratch_store_b32 off, v1, off offset:24 ; 4-byte Folded Spill
	v_mov_b32_e32 v1, 0
	v_lshlrev_b32_e32 v5, 4, v2
	v_cmp_le_u32_e64 s6, v16, v2
	v_cmp_eq_u32_e64 s7, v16, v2
	v_cmp_ge_u32_e64 s8, v16, v2
	v_or_b32_e32 v16, 3, v16
	v_lshl_or_b32 v17, v2, 9, v5
	v_sub_co_u32 v8, s2, 0, v2
	s_delay_alu instid0(VALU_DEP_1) | instskip(NEXT) | instid1(VALU_DEP_4)
	v_sub_co_ci_u32_e64 v9, null, 0, 0, s2
	v_cmp_le_u32_e64 s12, v16, v2
	v_cmp_eq_u32_e64 s13, v16, v2
	v_or_b32_e32 v16, 32, v2
	v_mad_u32_u24 v182, 0x210, v10, v5
	v_cmp_le_i32_e64 s2, s36, v10
	v_add_nc_u32_e32 v193, v17, v18
	v_mul_u32_u24_e32 v17, 0x840, v10
	v_cmp_le_u32_e64 s10, v20, v2
	v_cmp_eq_u32_e64 s11, v20, v2
	v_lshlrev_b32_e32 v20, 4, v10
	v_mad_co_u64_u32 v[10:11], null, s50, v200, v[173:174]
	scratch_store_b32 off, v4, off offset:28 ; 4-byte Folded Spill
	v_lshrrev_b32_e32 v4, 4, v14
	v_cmp_gt_i32_e64 s15, s36, v16
	v_and_b32_e32 v16, 48, v0
	v_cmp_le_i32_e64 s5, s36, v15
	v_cmp_le_i32_e64 s19, s19, v15
	v_and_b32_e32 v15, 15, v0
	v_lshlrev_b32_e32 v18, 6, v4
	v_ashrrev_i32_e32 v11, 31, v10
	v_add_nc_u32_e32 v0, 0x4300, v13
	v_lshlrev_b32_e32 v13, 4, v16
	s_lshl_b32 s48, s50, 5
	v_mad_u32_u24 v203, 0x10c0, v12, v22
	s_ashr_i32 s49, s48, 31
	v_mad_u32_u24 v204, 0x430, v15, v18
	v_mul_i32_i24_e32 v18, 0xffffffd0, v4
	v_mad_u32_u24 v4, 0x430, v12, v22
	v_add_co_u32 v12, vcc_lo, s48, v10
	v_mad_u32_u24 v205, 0x430, v15, v13
	s_wait_alu 0xfffd
	v_add_co_ci_u32_e64 v13, null, s49, v11, vcc_lo
	s_lshl_b32 s40, s50, 3
	s_lshl_b32 s52, s50, 4
	s_mul_i32 s42, s50, 24
	s_mul_i32 s44, s22, s44
	s_add_co_i32 s68, ttmp9, 1
	v_lshlrev_b64_e32 v[10:11], 4, v[10:11]
	s_xor_b32 s60, s64, -1
	s_ashr_i32 s37, s36, 31
	s_ashr_i32 s41, s40, 31
	;; [unrolled: 1-line block ×4, first 2 shown]
	s_wait_alu 0xfffe
	s_ashr_i32 s45, s44, 31
	s_cmp_lt_u32 s68, s34
	v_lshlrev_b64_e32 v[12:13], 4, v[12:13]
	v_cmp_gt_u32_e64 s14, 32, v14
	v_or_b32_e32 v16, 0xf0, v22
	v_cmp_gt_u32_e64 s21, 64, v14
	v_add_nc_u32_e32 v14, 64, v3
	s_cselect_b32 s61, -1, 0
	v_sub_co_u32 v211, vcc_lo, 0, v6
	s_lshl_b64 s[48:49], s[48:49], 4
	s_wait_alu 0xfffd
	v_sub_co_ci_u32_e64 v212, null, 0, v7, vcc_lo
	s_wait_alu 0xfffe
	v_add_co_u32 v6, vcc_lo, s48, v10
	v_mad_u32_u24 v194, 0x430, v15, v16
	scratch_store_b32 off, v4, off offset:32 ; 4-byte Folded Spill
	s_wait_alu 0xfffd
	v_add_co_ci_u32_e64 v7, null, s49, v11, vcc_lo
	scratch_store_b32 off, v14, off offset:36 ; 4-byte Folded Spill
	v_mad_co_i64_i32 v[14:15], null, s52, 48, v[12:13]
	s_mul_i32 s58, s50, 3
	v_or_b32_e32 v6, 8, v6
	s_ashr_i32 s59, s58, 31
	scratch_store_b32 off, v7, off offset:48 ; 4-byte Folded Spill
	s_lshl_b64 s[58:59], s[58:59], 4
	s_lshl_b32 s56, s50, 1
	scratch_store_b32 off, v6, off offset:52 ; 4-byte Folded Spill
	v_add_co_u32 v6, vcc_lo, v14, s58
	v_cndmask_b32_e64 v252, 0, 1, s47
	s_or_b32 s80, s47, s46
	s_lshl_b64 s[46:47], s[50:51], 7
	scratch_store_b32 off, v6, off offset:56 ; 4-byte Folded Spill
	s_wait_alu 0xfffd
	v_add_co_ci_u32_e64 v6, null, s59, v15, vcc_lo
	s_lshl_b64 s[66:67], s[50:51], 4
	s_lshl_b64 s[50:51], s[50:51], 5
	s_mul_i32 s81, s22, s68
	s_wait_alu 0xfffe
	s_add_nc_u64 s[70:71], s[50:51], s[48:49]
	scratch_store_b32 off, v6, off offset:60 ; 4-byte Folded Spill
	v_add_co_u32 v6, vcc_lo, s70, v10
	s_mul_u64 s[68:69], s[52:53], 48
	s_ashr_i32 s57, s56, 31
	s_add_nc_u64 s[50:51], s[68:69], s[50:51]
	scratch_store_b32 off, v6, off offset:64 ; 4-byte Folded Spill
	s_wait_alu 0xfffd
	v_add_co_ci_u32_e64 v6, null, s71, v11, vcc_lo
	s_add_nc_u64 s[68:69], s[66:67], s[48:49]
	s_lshl_b64 s[56:57], s[56:57], 4
	s_lshl_b32 s63, s22, 6
	scratch_store_b32 off, v6, off offset:68 ; 4-byte Folded Spill
	s_wait_alu 0xfffe
	v_add_co_u32 v6, vcc_lo, s50, v12
	s_wait_alu 0xfffd
	v_add_co_ci_u32_e64 v7, null, s51, v13, vcc_lo
	s_add_nc_u64 s[50:51], s[48:49], s[56:57]
	v_or_b32_e32 v6, 8, v6
	v_ashrrev_i32_e32 v4, 31, v3
	scratch_store_b32 off, v7, off offset:72 ; 4-byte Folded Spill
	v_add_co_u32 v7, vcc_lo, s68, v10
	scratch_store_b32 off, v6, off offset:76 ; 4-byte Folded Spill
	s_wait_alu 0xfffd
	v_add_co_ci_u32_e64 v6, null, s69, v11, vcc_lo
	v_lshlrev_b64_e32 v[3:4], 4, v[3:4]
	s_lshl_b64 s[74:75], s[52:53], 5
	v_mul_u32_u24_e32 v21, 0x210, v19
	scratch_store_b32 off, v6, off offset:80 ; 4-byte Folded Spill
	v_or_b32_e32 v6, 8, v7
	v_add_co_u32 v7, s22, v14, s56
	s_add_nc_u64 s[76:77], s[74:75], s[48:49]
	v_cmp_eq_u32_e64 s9, v19, v2
	scratch_store_b32 off, v6, off offset:84 ; 4-byte Folded Spill
	s_wait_alu 0xfffe
	v_add_co_u32 v6, vcc_lo, s50, v10
	s_add_nc_u64 s[78:79], s[76:77], s[58:59]
	v_mul_u32_u24_e32 v19, 33, v2
	v_add_nc_u32_e32 v183, 0x4700, v22
	v_or_b32_e32 v6, 8, v6
	scratch_store_b32 off, v7, off offset:88 ; 4-byte Folded Spill
	v_add_co_ci_u32_e64 v7, null, s57, v15, s22
	v_lshlrev_b32_e32 v196, 4, v19
	scratch_store_b32 off, v6, off offset:100 ; 4-byte Folded Spill
	v_cmp_gt_i32_e64 s1, s36, v2
	scratch_store_b32 off, v7, off offset:92 ; 4-byte Folded Spill
	s_wait_alu 0xfffd
	v_add_co_ci_u32_e64 v7, null, s51, v11, vcc_lo
	s_add_nc_u64 s[50:51], s[48:49], s[58:59]
	v_mad_u32_u24 v192, 0x210, v2, v5
	s_wait_alu 0xfffe
	v_add_co_u32 v6, vcc_lo, s50, v10
	scratch_store_b32 off, v7, off offset:96 ; 4-byte Folded Spill
	v_add_co_u32 v7, s22, v14, s66
	s_clause 0x1
	scratch_store_b32 off, v7, off offset:104
	scratch_store_b64 off, v[14:15], off offset:40
	s_wait_alu 0xf1ff
	v_add_co_ci_u32_e64 v7, null, s67, v15, s22
	v_or_b32_e32 v6, 8, v6
	v_add_nc_u32_e32 v199, v196, v20
	v_add_nc_u32_e32 v202, 0x4300, v22
	s_clause 0x2
	scratch_store_b32 off, v7, off offset:108
	scratch_store_b64 off, v[3:4], off offset:200
	scratch_store_b32 off, v6, off offset:116
	s_wait_alu 0xfffd
	v_add_co_ci_u32_e64 v7, null, s51, v11, vcc_lo
	s_lshl_b64 s[50:51], s[52:53], 4
	v_add_nc_u32_e32 v201, 0x4700, v20
	s_wait_alu 0xfffe
	s_add_nc_u64 s[72:73], s[48:49], s[50:51]
	s_add_nc_u64 s[68:69], s[68:69], s[50:51]
	v_add_co_u32 v6, vcc_lo, s72, v10
	v_add_nc_u32_e32 v251, v204, v18
	v_lshlrev_b32_e32 v2, 4, v2
	v_add_nc_u32_e32 v253, v5, v17
	s_delay_alu instid0(VALU_DEP_4)
	v_or_b32_e32 v6, 8, v6
	scratch_store_b32 off, v7, off offset:112 ; 4-byte Folded Spill
	s_wait_alu 0xfffd
	v_add_co_ci_u32_e64 v7, null, s73, v11, vcc_lo
	v_add_nc_u32_e32 v254, v5, v21
	scratch_store_b32 off, v6, off offset:124 ; 4-byte Folded Spill
	s_wait_alu 0xfffe
	v_add_co_u32 v6, vcc_lo, s68, v10
	s_sub_nc_u64 s[54:55], 0, s[44:45]
	s_add_co_i32 s62, s34, -2
	s_and_b32 s64, s0, s64
	v_or_b32_e32 v6, 8, v6
	scratch_store_b32 off, v7, off offset:120 ; 4-byte Folded Spill
	v_add_co_u32 v7, s22, s78, v10
	s_sub_nc_u64 s[44:45], 0, s[36:37]
	scratch_store_b32 off, v6, off offset:140 ; 4-byte Folded Spill
	s_or_b32 s65, s80, s65
	scratch_store_b32 off, v7, off offset:128 ; 4-byte Folded Spill
	v_add_co_ci_u32_e64 v7, null, s79, v11, s22
	s_lshl_b64 s[52:53], s[52:53], 6
	s_lshl_b64 s[54:55], s[54:55], 4
	s_clause 0x1
	scratch_store_b32 off, v2, off offset:8
	scratch_store_b32 off, v7, off offset:132
	s_wait_alu 0xfffd
	v_add_co_ci_u32_e64 v7, null, s69, v11, vcc_lo
	s_add_nc_u64 s[68:69], s[70:71], s[74:75]
	s_add_nc_u64 s[74:75], s[72:73], s[56:57]
	s_wait_alu 0xfffe
	v_add_co_u32 v6, vcc_lo, s68, v10
	s_add_nc_u64 s[56:57], s[76:77], s[56:57]
	s_wait_alu 0xfffd
	v_add_co_ci_u32_e64 v12, null, s69, v11, vcc_lo
	v_or_b32_e32 v6, 8, v6
	scratch_store_b32 off, v7, off offset:136 ; 4-byte Folded Spill
	v_add_co_u32 v7, s22, s74, v10
	scratch_store_b32 off, v6, off offset:148 ; 4-byte Folded Spill
	s_wait_alu 0xf1ff
	v_add_co_ci_u32_e64 v6, null, s75, v11, s22
	scratch_store_b32 off, v6, off offset:152 ; 4-byte Folded Spill
	v_or_b32_e32 v6, 8, v7
	v_add_co_u32 v7, s22, s76, v10
	scratch_store_b32 off, v6, off offset:156 ; 4-byte Folded Spill
	s_wait_alu 0xfffe
	v_add_co_u32 v6, vcc_lo, s56, v10
	scratch_store_b32 off, v6, off offset:160 ; 4-byte Folded Spill
	s_wait_alu 0xfffd
	v_add_co_ci_u32_e64 v6, null, s57, v11, vcc_lo
	s_add_nc_u64 s[56:57], s[70:71], s[50:51]
	scratch_store_b32 off, v6, off offset:164 ; 4-byte Folded Spill
	s_wait_alu 0xfffe
	v_add_co_u32 v6, vcc_lo, s56, v10
	scratch_store_b32 off, v6, off offset:168 ; 4-byte Folded Spill
	s_wait_alu 0xfffd
	v_add_co_ci_u32_e64 v6, null, s57, v11, vcc_lo
	s_add_nc_u64 s[56:57], s[76:77], s[66:67]
	s_lshl_b32 s66, s81, 6
	scratch_store_b32 off, v6, off offset:172 ; 4-byte Folded Spill
	s_wait_alu 0xfffe
	v_add_co_u32 v6, vcc_lo, s56, v10
	scratch_store_b32 off, v6, off offset:176 ; 4-byte Folded Spill
	s_wait_alu 0xfffd
	v_add_co_ci_u32_e64 v6, null, s57, v11, vcc_lo
	s_add_nc_u64 s[56:57], s[72:73], s[58:59]
	scratch_store_b32 off, v6, off offset:180 ; 4-byte Folded Spill
	s_wait_alu 0xfffe
	v_add_co_u32 v6, vcc_lo, s56, v10
	s_wait_alu 0xfffd
	v_add_co_ci_u32_e64 v10, null, s57, v11, vcc_lo
	s_delay_alu instid0(VALU_DEP_2)
	v_or_b32_e32 v6, 8, v6
	s_clause 0x1
	scratch_store_b32 off, v10, off offset:184
	scratch_store_b32 off, v6, off offset:188
	v_add_co_ci_u32_e64 v6, null, s77, v11, s22
	scratch_store_b32 off, v6, off offset:192 ; 4-byte Folded Spill
	v_or_b32_e32 v6, 8, v7
	scratch_store_b32 off, v6, off offset:196 ; 4-byte Folded Spill
	v_lshlrev_b64_e32 v[6:7], 4, v[8:9]
	s_clause 0x1
	scratch_store_b64 off, v[6:7], off
	scratch_store_b32 off, v12, off offset:144
	s_branch .LBB22_4
.LBB22_2:                               ;   in Loop: Header=BB22_4 Depth=1
	s_wait_alu 0xfffe
	s_or_b32 exec_lo, exec_lo, s22
.LBB22_3:                               ;   in Loop: Header=BB22_4 Depth=1
	s_add_co_i32 s28, s28, 0x10000
	s_delay_alu instid0(SALU_CYCLE_1)
	s_cmp_lt_u32 s28, s23
	s_cbranch_scc0 .LBB22_187
.LBB22_4:                               ; =>This Loop Header: Depth=1
                                        ;     Child Loop BB22_111 Depth 2
	s_and_not1_b32 vcc_lo, exec_lo, s65
	s_wait_alu 0xfffe
	s_cbranch_vccnz .LBB22_3
; %bb.5:                                ;   in Loop: Header=BB22_4 Depth=1
	v_cmp_ne_u32_e32 vcc_lo, 1, v252
	s_cbranch_vccnz .LBB22_3
; %bb.6:                                ;   in Loop: Header=BB22_4 Depth=1
	scratch_load_b32 v2, off, off offset:12 ; 4-byte Folded Reload
	s_mul_u64 s[56:57], s[30:31], s[28:29]
	s_wait_alu 0xfffe
	s_lshl_b64 s[56:57], s[56:57], 4
	s_wait_loadcnt 0x0
	s_wait_alu 0xfffe
	v_add_co_u32 v41, vcc_lo, v2, s56
	scratch_load_b32 v2, off, off offset:16 ; 4-byte Folded Reload
	s_wait_loadcnt 0x0
	s_wait_alu 0xfffd
	v_add_co_ci_u32_e64 v42, null, s57, v2, vcc_lo
	s_and_saveexec_b32 s22, s0
	s_cbranch_execz .LBB22_11
; %bb.7:                                ;   in Loop: Header=BB22_4 Depth=1
	s_and_saveexec_b32 s56, s60
	s_wait_alu 0xfffe
	s_xor_b32 s56, exec_lo, s56
; %bb.8:                                ;   in Loop: Header=BB22_4 Depth=1
	v_dual_mov_b32 v2, v1 :: v_dual_mov_b32 v3, v1
	v_mov_b32_e32 v4, v1
	ds_store_b128 v183, v[1:4]
; %bb.9:                                ;   in Loop: Header=BB22_4 Depth=1
	s_wait_alu 0xfffe
	s_and_not1_saveexec_b32 s56, s56
	s_cbranch_execz .LBB22_11
; %bb.10:                               ;   in Loop: Header=BB22_4 Depth=1
	global_load_b128 v[2:5], v[41:42], off
	s_wait_loadcnt 0x0
	ds_store_2addr_b64 v183, v[2:3], v[4:5] offset1:1
.LBB22_11:                              ;   in Loop: Header=BB22_4 Depth=1
	s_wait_alu 0xfffe
	s_or_b32 exec_lo, exec_lo, s22
	scratch_load_b32 v2, off, off offset:20 ; 4-byte Folded Reload
	s_mul_u64 s[56:57], s[24:25], s[28:29]
	s_mov_b32 s22, -1
	s_wait_alu 0xfffe
	s_lshl_b64 s[56:57], s[56:57], 4
                                        ; implicit-def: $vgpr9_vgpr10
	s_wait_loadcnt 0x0
	s_wait_alu 0xfffe
	v_add_co_u32 v5, vcc_lo, v2, s56
	scratch_load_b32 v2, off, off offset:24 ; 4-byte Folded Reload
	s_wait_loadcnt 0x0
	s_wait_alu 0xfffd
	v_add_co_ci_u32_e64 v6, null, s57, v2, vcc_lo
	s_and_b32 vcc_lo, exec_lo, s35
	s_wait_alu 0xfffe
	s_cbranch_vccz .LBB22_23
; %bb.12:                               ;   in Loop: Header=BB22_4 Depth=1
	s_and_saveexec_b32 s22, s2
	s_wait_alu 0xfffe
	s_xor_b32 s22, exec_lo, s22
; %bb.13:                               ;   in Loop: Header=BB22_4 Depth=1
	v_dual_mov_b32 v2, v1 :: v_dual_mov_b32 v3, v1
	v_mov_b32_e32 v4, v1
	ds_store_b128 v182, v[1:4]
; %bb.14:                               ;   in Loop: Header=BB22_4 Depth=1
	s_wait_alu 0xfffe
	s_or_saveexec_b32 s22, s22
	scratch_load_b64 v[2:3], off, off       ; 8-byte Folded Reload
	s_lshl_b64 s[56:57], s[36:37], 4
	s_wait_loadcnt 0x0
	v_add_co_u32 v2, vcc_lo, v5, v2
	s_wait_alu 0xfffd
	v_add_co_ci_u32_e64 v3, null, v6, v3, vcc_lo
	s_wait_alu 0xfffe
	s_delay_alu instid0(VALU_DEP_2) | instskip(SKIP_1) | instid1(VALU_DEP_2)
	v_add_co_u32 v2, vcc_lo, v2, s56
	s_wait_alu 0xfffd
	v_add_co_ci_u32_e64 v3, null, s57, v3, vcc_lo
	s_delay_alu instid0(VALU_DEP_2) | instskip(SKIP_1) | instid1(VALU_DEP_2)
	v_add_co_u32 v2, vcc_lo, v2, -16
	s_wait_alu 0xfffd
	v_add_co_ci_u32_e64 v3, null, -1, v3, vcc_lo
	s_delay_alu instid0(VALU_DEP_2) | instskip(NEXT) | instid1(VALU_DEP_2)
	v_cndmask_b32_e64 v7, v2, v5, s1
	v_cndmask_b32_e64 v8, v3, v6, s1
	s_xor_b32 exec_lo, exec_lo, s22
	s_cbranch_execnz .LBB22_169
; %bb.15:                               ;   in Loop: Header=BB22_4 Depth=1
	s_or_b32 exec_lo, exec_lo, s22
	s_and_saveexec_b32 s22, s3
	s_wait_alu 0xfffe
	s_xor_b32 s22, exec_lo, s22
	s_cbranch_execnz .LBB22_170
.LBB22_16:                              ;   in Loop: Header=BB22_4 Depth=1
	s_wait_alu 0xfffe
	s_and_not1_saveexec_b32 s22, s22
	s_cbranch_execnz .LBB22_171
.LBB22_17:                              ;   in Loop: Header=BB22_4 Depth=1
	s_wait_alu 0xfffe
	s_or_b32 exec_lo, exec_lo, s22
	s_and_saveexec_b32 s22, s4
	s_wait_alu 0xfffe
	s_xor_b32 s22, exec_lo, s22
	s_cbranch_execnz .LBB22_172
.LBB22_18:                              ;   in Loop: Header=BB22_4 Depth=1
	s_wait_alu 0xfffe
	s_and_not1_saveexec_b32 s22, s22
	s_cbranch_execnz .LBB22_173
.LBB22_19:                              ;   in Loop: Header=BB22_4 Depth=1
	s_wait_alu 0xfffe
	s_or_b32 exec_lo, exec_lo, s22
	s_and_saveexec_b32 s22, s5
	s_wait_alu 0xfffe
	s_xor_b32 s22, exec_lo, s22
	s_cbranch_execnz .LBB22_174
.LBB22_20:                              ;   in Loop: Header=BB22_4 Depth=1
	s_wait_alu 0xfffe
	s_and_not1_saveexec_b32 s22, s22
	s_cbranch_execz .LBB22_22
.LBB22_21:                              ;   in Loop: Header=BB22_4 Depth=1
	s_lshl_b64 s[56:57], s[42:43], 4
	s_wait_alu 0xfffe
	v_add_co_u32 v2, vcc_lo, v7, s56
	s_wait_alu 0xfffd
	v_add_co_ci_u32_e64 v3, null, s57, v8, vcc_lo
	global_load_b128 v[9:12], v[2:3], off
	v_add_nc_u32_e32 v2, 0x3180, v182
	s_wait_loadcnt 0x0
	ds_store_2addr_b64 v2, v[9:10], v[11:12] offset1:1
.LBB22_22:                              ;   in Loop: Header=BB22_4 Depth=1
	s_wait_alu 0xfffe
	s_or_b32 exec_lo, exec_lo, s22
	scratch_load_b32 v2, off, off offset:8  ; 4-byte Folded Reload
	s_lshl_b64 s[56:57], s[44:45], 4
	s_mov_b32 s22, 0
	s_wait_loadcnt 0x0
	v_add_co_u32 v2, vcc_lo, v7, v2
	s_wait_alu 0xfffd
	v_add_co_ci_u32_e64 v3, null, 0, v8, vcc_lo
	s_wait_alu 0xfffe
	s_delay_alu instid0(VALU_DEP_2) | instskip(SKIP_1) | instid1(VALU_DEP_2)
	v_add_co_u32 v2, vcc_lo, v2, s56
	s_wait_alu 0xfffd
	v_add_co_ci_u32_e64 v3, null, s57, v3, vcc_lo
	s_delay_alu instid0(VALU_DEP_2) | instskip(SKIP_1) | instid1(VALU_DEP_2)
	v_add_co_u32 v2, vcc_lo, v2, 16
	s_wait_alu 0xfffd
	v_add_co_ci_u32_e64 v3, null, 0, v3, vcc_lo
	s_delay_alu instid0(VALU_DEP_2) | instskip(NEXT) | instid1(VALU_DEP_2)
	v_cndmask_b32_e64 v9, v2, v5, s1
	v_cndmask_b32_e64 v10, v3, v6, s1
.LBB22_23:                              ;   in Loop: Header=BB22_4 Depth=1
	s_and_b32 vcc_lo, exec_lo, s22
	s_wait_alu 0xfffe
	s_cbranch_vccz .LBB22_25
; %bb.24:                               ;   in Loop: Header=BB22_4 Depth=1
	s_lshl_b64 s[56:57], s[40:41], 4
	s_wait_alu 0xfffe
	v_add_co_u32 v2, vcc_lo, v5, s56
	s_wait_alu 0xfffd
	v_add_co_ci_u32_e64 v3, null, s57, v6, vcc_lo
	s_delay_alu instid0(VALU_DEP_2) | instskip(SKIP_1) | instid1(VALU_DEP_2)
	v_add_co_u32 v7, vcc_lo, v2, s46
	s_wait_alu 0xfffd
	v_add_co_ci_u32_e64 v8, null, s47, v3, vcc_lo
	s_delay_alu instid0(VALU_DEP_2) | instskip(SKIP_1) | instid1(VALU_DEP_2)
	v_add_co_u32 v9, vcc_lo, v7, s46
	s_wait_alu 0xfffd
	v_add_co_ci_u32_e64 v10, null, s47, v8, vcc_lo
	s_clause 0x3
	global_load_b128 v[11:14], v[5:6], off
	global_load_b128 v[15:18], v[2:3], off
	;; [unrolled: 1-line block ×4, first 2 shown]
	v_add_nc_u32_e32 v2, 0x1080, v182
	v_dual_mov_b32 v10, v6 :: v_dual_mov_b32 v9, v5
	s_wait_loadcnt 0x3
	ds_store_2addr_b64 v182, v[11:12], v[13:14] offset1:1
	s_wait_loadcnt 0x2
	ds_store_2addr_b64 v2, v[15:16], v[17:18] offset1:1
	v_add_nc_u32_e32 v2, 0x2100, v182
	s_wait_loadcnt 0x1
	ds_store_2addr_b64 v2, v[19:20], v[21:22] offset1:1
	v_add_nc_u32_e32 v2, 0x3180, v182
	s_wait_loadcnt 0x0
	ds_store_2addr_b64 v2, v[23:24], v[25:26] offset1:1
.LBB22_25:                              ;   in Loop: Header=BB22_4 Depth=1
	s_mov_b32 s22, 0
	s_wait_storecnt_dscnt 0x0
	s_barrier_signal -1
	s_barrier_wait -1
	global_inv scope:SCOPE_SE
	s_and_saveexec_b32 s56, s6
	s_wait_alu 0xfffe
	s_xor_b32 s56, exec_lo, s56
; %bb.26:                               ;   in Loop: Header=BB22_4 Depth=1
	s_and_b32 s22, s7, exec_lo
; %bb.27:                               ;   in Loop: Header=BB22_4 Depth=1
	s_wait_alu 0xfffe
	s_or_saveexec_b32 s56, s56
	v_mov_b32_e32 v4, 0
	v_dual_mov_b32 v5, 0 :: v_dual_mov_b32 v6, v192
	s_wait_alu 0xfffe
	s_xor_b32 exec_lo, exec_lo, s56
	s_cbranch_execz .LBB22_29
; %bb.28:                               ;   in Loop: Header=BB22_4 Depth=1
	ds_load_b128 v[2:5], v253
	v_mov_b32_e32 v6, v193
	s_or_b32 s22, s22, exec_lo
	s_wait_dscnt 0x0
	v_xor_b32_e32 v5, 0x80000000, v5
	ds_store_b64 v193, v[2:3]
.LBB22_29:                              ;   in Loop: Header=BB22_4 Depth=1
	s_or_b32 exec_lo, exec_lo, s56
	s_wait_alu 0xfffe
	s_and_saveexec_b32 s56, s22
; %bb.30:                               ;   in Loop: Header=BB22_4 Depth=1
	ds_store_b64 v6, v[4:5] offset:8
; %bb.31:                               ;   in Loop: Header=BB22_4 Depth=1
	s_wait_alu 0xfffe
	s_or_b32 exec_lo, exec_lo, s56
	s_mov_b32 s22, 0
                                        ; implicit-def: $vgpr4_vgpr5
	s_and_saveexec_b32 s56, s8
	s_wait_alu 0xfffe
	s_xor_b32 s56, exec_lo, s56
	s_cbranch_execnz .LBB22_165
; %bb.32:                               ;   in Loop: Header=BB22_4 Depth=1
	s_wait_alu 0xfffe
	s_or_saveexec_b32 s56, s56
	v_add_nc_u32_e32 v2, 16, v193
	s_wait_alu 0xfffe
	s_xor_b32 exec_lo, exec_lo, s56
	s_cbranch_execnz .LBB22_166
.LBB22_33:                              ;   in Loop: Header=BB22_4 Depth=1
	s_or_b32 exec_lo, exec_lo, s56
	s_and_saveexec_b32 s56, s22
.LBB22_34:                              ;   in Loop: Header=BB22_4 Depth=1
	ds_store_b64 v2, v[4:5] offset:8
.LBB22_35:                              ;   in Loop: Header=BB22_4 Depth=1
	s_wait_alu 0xfffe
	s_or_b32 exec_lo, exec_lo, s56
	s_mov_b32 s22, 0
	s_and_saveexec_b32 s56, s10
	s_wait_alu 0xfffe
	s_xor_b32 s56, exec_lo, s56
; %bb.36:                               ;   in Loop: Header=BB22_4 Depth=1
	s_and_b32 s22, s11, exec_lo
; %bb.37:                               ;   in Loop: Header=BB22_4 Depth=1
	s_wait_alu 0xfffe
	s_or_saveexec_b32 s56, s56
	v_mov_b32_e32 v4, 0
	v_dual_mov_b32 v5, 0 :: v_dual_mov_b32 v6, v192
	s_wait_alu 0xfffe
	s_xor_b32 exec_lo, exec_lo, s56
	s_cbranch_execz .LBB22_39
; %bb.38:                               ;   in Loop: Header=BB22_4 Depth=1
	ds_load_b128 v[2:5], v254 offset:528
	v_add_nc_u32_e32 v7, 32, v193
	s_or_b32 s22, s22, exec_lo
	s_delay_alu instid0(VALU_DEP_1)
	v_mov_b32_e32 v6, v7
	s_wait_dscnt 0x0
	v_xor_b32_e32 v5, 0x80000000, v5
	ds_store_b64 v7, v[2:3]
.LBB22_39:                              ;   in Loop: Header=BB22_4 Depth=1
	s_or_b32 exec_lo, exec_lo, s56
	s_wait_alu 0xfffe
	s_and_saveexec_b32 s56, s22
; %bb.40:                               ;   in Loop: Header=BB22_4 Depth=1
	ds_store_b64 v6, v[4:5] offset:8
; %bb.41:                               ;   in Loop: Header=BB22_4 Depth=1
	s_wait_alu 0xfffe
	s_or_b32 exec_lo, exec_lo, s56
	s_mov_b32 s22, 0
	s_and_saveexec_b32 s56, s12
	s_wait_alu 0xfffe
	s_xor_b32 s56, exec_lo, s56
; %bb.42:                               ;   in Loop: Header=BB22_4 Depth=1
	s_and_b32 s22, s13, exec_lo
; %bb.43:                               ;   in Loop: Header=BB22_4 Depth=1
	s_wait_alu 0xfffe
	s_or_saveexec_b32 s56, s56
	v_mov_b32_e32 v4, 0
	v_dual_mov_b32 v5, 0 :: v_dual_mov_b32 v6, v192
	s_wait_alu 0xfffe
	s_xor_b32 exec_lo, exec_lo, s56
	s_cbranch_execz .LBB22_45
; %bb.44:                               ;   in Loop: Header=BB22_4 Depth=1
	ds_load_b128 v[2:5], v254 offset:1056
	v_add_nc_u32_e32 v7, 48, v193
	s_or_b32 s22, s22, exec_lo
	s_delay_alu instid0(VALU_DEP_1)
	v_mov_b32_e32 v6, v7
	s_wait_dscnt 0x0
	v_xor_b32_e32 v5, 0x80000000, v5
	ds_store_b64 v7, v[2:3]
.LBB22_45:                              ;   in Loop: Header=BB22_4 Depth=1
	s_or_b32 exec_lo, exec_lo, s56
	s_wait_alu 0xfffe
	s_and_saveexec_b32 s56, s22
; %bb.46:                               ;   in Loop: Header=BB22_4 Depth=1
	ds_store_b64 v6, v[4:5] offset:8
; %bb.47:                               ;   in Loop: Header=BB22_4 Depth=1
	s_wait_alu 0xfffe
	s_or_b32 exec_lo, exec_lo, s56
	s_wait_loadcnt_dscnt 0x0
	s_barrier_signal -1
	s_barrier_wait -1
	global_inv scope:SCOPE_SE
	ds_load_b128 v[2:5], v253
	ds_load_b128 v[11:14], v198
	ds_load_b128 v[15:18], v198 offset:16
	ds_load_b128 v[19:22], v254 offset:1056
	s_wait_dscnt 0x2
	v_mul_f64_e32 v[27:28], v[13:14], v[4:5]
	v_mul_f64_e32 v[29:30], v[11:12], v[4:5]
	ds_load_b128 v[4:7], v254
	ds_load_b128 v[23:26], v254 offset:528
	s_wait_dscnt 0x1
	v_mul_f64_e32 v[31:32], v[17:18], v[6:7]
	v_mul_f64_e32 v[6:7], v[15:16], v[6:7]
	v_fma_f64 v[33:34], v[11:12], v[2:3], -v[27:28]
	v_fma_f64 v[2:3], v[13:14], v[2:3], v[29:30]
	ds_load_b128 v[11:14], v198 offset:32
	ds_load_b128 v[27:30], v198 offset:48
	s_wait_loadcnt_dscnt 0x0
	s_barrier_signal -1
	s_barrier_wait -1
	global_inv scope:SCOPE_SE
	v_mul_f64_e32 v[35:36], v[13:14], v[25:26]
	v_mul_f64_e32 v[25:26], v[11:12], v[25:26]
	v_fma_f64 v[15:16], v[15:16], v[4:5], -v[31:32]
	v_fma_f64 v[4:5], v[17:18], v[4:5], v[6:7]
	v_mul_f64_e32 v[17:18], v[29:30], v[21:22]
	v_mul_f64_e32 v[21:22], v[27:28], v[21:22]
	v_add_f64_e32 v[6:7], 0, v[33:34]
	v_add_f64_e32 v[2:3], 0, v[2:3]
	v_fma_f64 v[11:12], v[11:12], v[23:24], -v[35:36]
	v_fma_f64 v[13:14], v[13:14], v[23:24], v[25:26]
	s_delay_alu instid0(VALU_DEP_4) | instskip(NEXT) | instid1(VALU_DEP_4)
	v_add_f64_e32 v[6:7], v[6:7], v[15:16]
	v_add_f64_e32 v[2:3], v[2:3], v[4:5]
	v_fma_f64 v[4:5], v[27:28], v[19:20], -v[17:18]
	v_fma_f64 v[15:16], v[29:30], v[19:20], v[21:22]
	s_delay_alu instid0(VALU_DEP_4) | instskip(NEXT) | instid1(VALU_DEP_4)
	v_add_f64_e32 v[6:7], v[6:7], v[11:12]
	v_add_f64_e32 v[2:3], v[2:3], v[13:14]
	s_delay_alu instid0(VALU_DEP_2) | instskip(NEXT) | instid1(VALU_DEP_2)
	v_add_f64_e32 v[11:12], v[6:7], v[4:5]
	v_add_f64_e32 v[13:14], v[2:3], v[15:16]
	v_mov_b32_e32 v5, 0
	v_dual_mov_b32 v6, 0 :: v_dual_mov_b32 v7, 0
	v_mov_b32_e32 v8, 0
	ds_store_b128 v199, v[11:14]
	s_wait_loadcnt_dscnt 0x0
	s_barrier_signal -1
	s_barrier_wait -1
	global_inv scope:SCOPE_SE
	s_and_saveexec_b32 s22, s14
	s_cbranch_execz .LBB22_49
; %bb.48:                               ;   in Loop: Header=BB22_4 Depth=1
	ds_load_b128 v[2:5], v196
	ds_load_b128 v[11:14], v196 offset:16
	s_wait_dscnt 0x0
	v_add_f64_e32 v[6:7], v[11:12], v[2:3]
	v_add_f64_e32 v[15:16], v[13:14], v[4:5]
	ds_load_b128 v[2:5], v196 offset:32
	ds_load_b128 v[11:14], v196 offset:48
	s_wait_dscnt 0x1
	v_add_f64_e32 v[2:3], v[6:7], v[2:3]
	v_add_f64_e32 v[4:5], v[15:16], v[4:5]
	s_wait_dscnt 0x0
	s_delay_alu instid0(VALU_DEP_2) | instskip(NEXT) | instid1(VALU_DEP_2)
	v_add_f64_e32 v[6:7], v[2:3], v[11:12]
	v_add_f64_e32 v[15:16], v[4:5], v[13:14]
	ds_load_b128 v[2:5], v196 offset:64
	ds_load_b128 v[11:14], v196 offset:80
	s_wait_dscnt 0x1
	v_add_f64_e32 v[2:3], v[6:7], v[2:3]
	v_add_f64_e32 v[4:5], v[15:16], v[4:5]
	s_wait_dscnt 0x0
	s_delay_alu instid0(VALU_DEP_2) | instskip(NEXT) | instid1(VALU_DEP_2)
	;; [unrolled: 9-line block ×3, first 2 shown]
	v_add_f64_e32 v[5:6], v[2:3], v[11:12]
	v_add_f64_e32 v[7:8], v[7:8], v[13:14]
.LBB22_49:                              ;   in Loop: Header=BB22_4 Depth=1
	s_wait_alu 0xfffe
	s_or_b32 exec_lo, exec_lo, s22
	v_add_co_u32 v15, vcc_lo, v9, s48
	s_wait_alu 0xfffd
	v_add_co_ci_u32_e64 v16, null, s49, v10, vcc_lo
	s_mov_b32 s22, -1
	v_add_co_u32 v9, vcc_lo, 0x200, v15
	s_wait_alu 0xfffd
	v_add_co_ci_u32_e64 v10, null, 0, v16, vcc_lo
	s_and_b32 vcc_lo, exec_lo, s35
	s_wait_loadcnt 0x0
	s_barrier_signal -1
	s_barrier_wait -1
	global_inv scope:SCOPE_SE
                                        ; implicit-def: $vgpr13_vgpr14
	s_wait_alu 0xfffe
	s_cbranch_vccz .LBB22_61
; %bb.50:                               ;   in Loop: Header=BB22_4 Depth=1
	s_and_saveexec_b32 s22, s16
	s_wait_alu 0xfffe
	s_xor_b32 s22, exec_lo, s22
; %bb.51:                               ;   in Loop: Header=BB22_4 Depth=1
	v_dual_mov_b32 v2, v1 :: v_dual_mov_b32 v3, v1
	v_mov_b32_e32 v4, v1
	ds_store_b128 v182, v[1:4]
; %bb.52:                               ;   in Loop: Header=BB22_4 Depth=1
	s_wait_alu 0xfffe
	s_or_saveexec_b32 s22, s22
	scratch_load_b64 v[2:3], off, off       ; 8-byte Folded Reload
	s_lshl_b64 s[56:57], s[36:37], 4
	s_wait_loadcnt 0x0
	v_add_co_u32 v2, vcc_lo, v15, v2
	s_wait_alu 0xfffd
	v_add_co_ci_u32_e64 v3, null, v16, v3, vcc_lo
	s_wait_alu 0xfffe
	s_delay_alu instid0(VALU_DEP_2) | instskip(SKIP_1) | instid1(VALU_DEP_2)
	v_add_co_u32 v2, vcc_lo, v2, s56
	s_wait_alu 0xfffd
	v_add_co_ci_u32_e64 v3, null, s57, v3, vcc_lo
	s_delay_alu instid0(VALU_DEP_2) | instskip(SKIP_1) | instid1(VALU_DEP_2)
	v_add_co_u32 v2, vcc_lo, v2, -16
	s_wait_alu 0xfffd
	v_add_co_ci_u32_e64 v3, null, -1, v3, vcc_lo
	s_delay_alu instid0(VALU_DEP_2) | instskip(NEXT) | instid1(VALU_DEP_2)
	v_cndmask_b32_e64 v11, v2, v9, s15
	v_cndmask_b32_e64 v12, v3, v10, s15
	s_xor_b32 exec_lo, exec_lo, s22
	s_cbranch_execnz .LBB22_175
; %bb.53:                               ;   in Loop: Header=BB22_4 Depth=1
	s_or_b32 exec_lo, exec_lo, s22
	s_and_saveexec_b32 s22, s17
	s_wait_alu 0xfffe
	s_xor_b32 s22, exec_lo, s22
	s_cbranch_execnz .LBB22_176
.LBB22_54:                              ;   in Loop: Header=BB22_4 Depth=1
	s_wait_alu 0xfffe
	s_and_not1_saveexec_b32 s22, s22
	s_cbranch_execnz .LBB22_177
.LBB22_55:                              ;   in Loop: Header=BB22_4 Depth=1
	s_wait_alu 0xfffe
	s_or_b32 exec_lo, exec_lo, s22
	s_and_saveexec_b32 s22, s18
	s_wait_alu 0xfffe
	s_xor_b32 s22, exec_lo, s22
	s_cbranch_execnz .LBB22_178
.LBB22_56:                              ;   in Loop: Header=BB22_4 Depth=1
	s_wait_alu 0xfffe
	s_and_not1_saveexec_b32 s22, s22
	s_cbranch_execnz .LBB22_179
.LBB22_57:                              ;   in Loop: Header=BB22_4 Depth=1
	s_wait_alu 0xfffe
	s_or_b32 exec_lo, exec_lo, s22
	s_and_saveexec_b32 s22, s19
	s_wait_alu 0xfffe
	s_xor_b32 s22, exec_lo, s22
	s_cbranch_execnz .LBB22_180
.LBB22_58:                              ;   in Loop: Header=BB22_4 Depth=1
	s_wait_alu 0xfffe
	s_and_not1_saveexec_b32 s22, s22
	s_cbranch_execz .LBB22_60
.LBB22_59:                              ;   in Loop: Header=BB22_4 Depth=1
	s_lshl_b64 s[56:57], s[42:43], 4
	s_wait_alu 0xfffe
	v_add_co_u32 v2, vcc_lo, v11, s56
	s_wait_alu 0xfffd
	v_add_co_ci_u32_e64 v3, null, s57, v12, vcc_lo
	global_load_b128 v[17:20], v[2:3], off
	v_add_nc_u32_e32 v2, 0x3180, v182
	s_wait_loadcnt 0x0
	ds_store_2addr_b64 v2, v[17:18], v[19:20] offset1:1
.LBB22_60:                              ;   in Loop: Header=BB22_4 Depth=1
	s_wait_alu 0xfffe
	s_or_b32 exec_lo, exec_lo, s22
	scratch_load_b32 v2, off, off offset:8  ; 4-byte Folded Reload
	s_lshl_b64 s[56:57], s[44:45], 4
	s_mov_b32 s22, 0
	s_wait_loadcnt 0x0
	v_add_co_u32 v2, vcc_lo, v11, v2
	s_wait_alu 0xfffd
	v_add_co_ci_u32_e64 v3, null, 0, v12, vcc_lo
	s_wait_alu 0xfffe
	s_delay_alu instid0(VALU_DEP_2) | instskip(SKIP_1) | instid1(VALU_DEP_2)
	v_add_co_u32 v2, vcc_lo, v2, s56
	s_wait_alu 0xfffd
	v_add_co_ci_u32_e64 v3, null, s57, v3, vcc_lo
	s_delay_alu instid0(VALU_DEP_2) | instskip(SKIP_1) | instid1(VALU_DEP_2)
	v_add_co_u32 v2, vcc_lo, 0x210, v2
	s_wait_alu 0xfffd
	v_add_co_ci_u32_e64 v3, null, 0, v3, vcc_lo
	s_delay_alu instid0(VALU_DEP_2) | instskip(NEXT) | instid1(VALU_DEP_2)
	v_cndmask_b32_e64 v13, v2, v9, s15
	v_cndmask_b32_e64 v14, v3, v10, s15
.LBB22_61:                              ;   in Loop: Header=BB22_4 Depth=1
	s_and_b32 vcc_lo, exec_lo, s22
	s_wait_alu 0xfffe
	s_cbranch_vccz .LBB22_63
; %bb.62:                               ;   in Loop: Header=BB22_4 Depth=1
	s_lshl_b64 s[56:57], s[40:41], 4
	s_wait_alu 0xfffe
	v_add_co_u32 v2, vcc_lo, v15, s56
	s_wait_alu 0xfffd
	v_add_co_ci_u32_e64 v3, null, s57, v16, vcc_lo
	s_delay_alu instid0(VALU_DEP_2) | instskip(SKIP_1) | instid1(VALU_DEP_2)
	v_add_co_u32 v11, vcc_lo, v2, s46
	s_wait_alu 0xfffd
	v_add_co_ci_u32_e64 v12, null, s47, v3, vcc_lo
	s_delay_alu instid0(VALU_DEP_2) | instskip(SKIP_1) | instid1(VALU_DEP_2)
	v_add_co_u32 v13, vcc_lo, v11, s46
	s_wait_alu 0xfffd
	v_add_co_ci_u32_e64 v14, null, s47, v12, vcc_lo
	s_clause 0x3
	global_load_b128 v[15:18], v[9:10], off
	global_load_b128 v[19:22], v[2:3], off offset:512
	global_load_b128 v[23:26], v[11:12], off offset:512
	;; [unrolled: 1-line block ×3, first 2 shown]
	v_add_nc_u32_e32 v2, 0x1080, v182
	v_dual_mov_b32 v14, v10 :: v_dual_mov_b32 v13, v9
	s_wait_loadcnt 0x3
	ds_store_2addr_b64 v182, v[15:16], v[17:18] offset1:1
	s_wait_loadcnt 0x2
	ds_store_2addr_b64 v2, v[19:20], v[21:22] offset1:1
	v_add_nc_u32_e32 v2, 0x2100, v182
	s_wait_loadcnt 0x1
	ds_store_2addr_b64 v2, v[23:24], v[25:26] offset1:1
	v_add_nc_u32_e32 v2, 0x3180, v182
	s_wait_loadcnt 0x0
	ds_store_2addr_b64 v2, v[27:28], v[29:30] offset1:1
.LBB22_63:                              ;   in Loop: Header=BB22_4 Depth=1
	s_mov_b32 s22, 0
	s_wait_loadcnt_dscnt 0x0
	s_barrier_signal -1
	s_barrier_wait -1
	global_inv scope:SCOPE_SE
	s_and_saveexec_b32 s56, s6
	s_wait_alu 0xfffe
	s_xor_b32 s56, exec_lo, s56
; %bb.64:                               ;   in Loop: Header=BB22_4 Depth=1
	s_and_b32 s22, s7, exec_lo
; %bb.65:                               ;   in Loop: Header=BB22_4 Depth=1
	s_wait_alu 0xfffe
	s_or_saveexec_b32 s56, s56
	v_dual_mov_b32 v11, 0 :: v_dual_mov_b32 v2, v192
	v_mov_b32_e32 v12, 0
	s_wait_alu 0xfffe
	s_xor_b32 exec_lo, exec_lo, s56
	s_cbranch_execz .LBB22_67
; %bb.66:                               ;   in Loop: Header=BB22_4 Depth=1
	ds_load_b128 v[9:12], v253
	v_mov_b32_e32 v2, v193
	s_or_b32 s22, s22, exec_lo
	s_wait_dscnt 0x0
	v_xor_b32_e32 v12, 0x80000000, v12
	ds_store_b64 v193, v[9:10]
.LBB22_67:                              ;   in Loop: Header=BB22_4 Depth=1
	s_or_b32 exec_lo, exec_lo, s56
	s_wait_alu 0xfffe
	s_and_saveexec_b32 s56, s22
; %bb.68:                               ;   in Loop: Header=BB22_4 Depth=1
	ds_store_b64 v2, v[11:12] offset:8
; %bb.69:                               ;   in Loop: Header=BB22_4 Depth=1
	s_wait_alu 0xfffe
	s_or_b32 exec_lo, exec_lo, s56
	s_mov_b32 s22, 0
                                        ; implicit-def: $vgpr11_vgpr12
	s_and_saveexec_b32 s56, s8
	s_wait_alu 0xfffe
	s_xor_b32 s56, exec_lo, s56
	s_cbranch_execnz .LBB22_167
; %bb.70:                               ;   in Loop: Header=BB22_4 Depth=1
	s_wait_alu 0xfffe
	s_or_saveexec_b32 s56, s56
	v_add_nc_u32_e32 v2, 16, v193
	s_wait_alu 0xfffe
	s_xor_b32 exec_lo, exec_lo, s56
	s_cbranch_execnz .LBB22_168
.LBB22_71:                              ;   in Loop: Header=BB22_4 Depth=1
	s_or_b32 exec_lo, exec_lo, s56
	s_and_saveexec_b32 s56, s22
.LBB22_72:                              ;   in Loop: Header=BB22_4 Depth=1
	ds_store_b64 v2, v[11:12] offset:8
.LBB22_73:                              ;   in Loop: Header=BB22_4 Depth=1
	s_wait_alu 0xfffe
	s_or_b32 exec_lo, exec_lo, s56
	s_mov_b32 s22, 0
	s_and_saveexec_b32 s56, s10
	s_wait_alu 0xfffe
	s_xor_b32 s56, exec_lo, s56
; %bb.74:                               ;   in Loop: Header=BB22_4 Depth=1
	s_and_b32 s22, s11, exec_lo
; %bb.75:                               ;   in Loop: Header=BB22_4 Depth=1
	s_wait_alu 0xfffe
	s_or_saveexec_b32 s56, s56
	v_dual_mov_b32 v11, 0 :: v_dual_mov_b32 v2, v192
	v_mov_b32_e32 v12, 0
	s_wait_alu 0xfffe
	s_xor_b32 exec_lo, exec_lo, s56
	s_cbranch_execz .LBB22_77
; %bb.76:                               ;   in Loop: Header=BB22_4 Depth=1
	ds_load_b128 v[9:12], v254 offset:528
	v_add_nc_u32_e32 v3, 32, v193
	s_or_b32 s22, s22, exec_lo
	s_delay_alu instid0(VALU_DEP_1)
	v_mov_b32_e32 v2, v3
	s_wait_dscnt 0x0
	v_xor_b32_e32 v12, 0x80000000, v12
	ds_store_b64 v3, v[9:10]
.LBB22_77:                              ;   in Loop: Header=BB22_4 Depth=1
	s_or_b32 exec_lo, exec_lo, s56
	s_wait_alu 0xfffe
	s_and_saveexec_b32 s56, s22
; %bb.78:                               ;   in Loop: Header=BB22_4 Depth=1
	ds_store_b64 v2, v[11:12] offset:8
; %bb.79:                               ;   in Loop: Header=BB22_4 Depth=1
	s_wait_alu 0xfffe
	s_or_b32 exec_lo, exec_lo, s56
	s_mov_b32 s22, 0
	s_and_saveexec_b32 s56, s12
	s_wait_alu 0xfffe
	s_xor_b32 s56, exec_lo, s56
; %bb.80:                               ;   in Loop: Header=BB22_4 Depth=1
	s_and_b32 s22, s13, exec_lo
; %bb.81:                               ;   in Loop: Header=BB22_4 Depth=1
	s_wait_alu 0xfffe
	s_or_saveexec_b32 s56, s56
	v_dual_mov_b32 v11, 0 :: v_dual_mov_b32 v2, v192
	v_mov_b32_e32 v12, 0
	s_wait_alu 0xfffe
	s_xor_b32 exec_lo, exec_lo, s56
	s_cbranch_execz .LBB22_83
; %bb.82:                               ;   in Loop: Header=BB22_4 Depth=1
	ds_load_b128 v[9:12], v254 offset:1056
	v_add_nc_u32_e32 v3, 48, v193
	s_or_b32 s22, s22, exec_lo
	s_delay_alu instid0(VALU_DEP_1)
	v_mov_b32_e32 v2, v3
	s_wait_dscnt 0x0
	v_xor_b32_e32 v12, 0x80000000, v12
	ds_store_b64 v3, v[9:10]
.LBB22_83:                              ;   in Loop: Header=BB22_4 Depth=1
	s_or_b32 exec_lo, exec_lo, s56
	s_wait_alu 0xfffe
	s_and_saveexec_b32 s56, s22
; %bb.84:                               ;   in Loop: Header=BB22_4 Depth=1
	ds_store_b64 v2, v[11:12] offset:8
; %bb.85:                               ;   in Loop: Header=BB22_4 Depth=1
	s_wait_alu 0xfffe
	s_or_b32 exec_lo, exec_lo, s56
	s_wait_loadcnt_dscnt 0x0
	s_barrier_signal -1
	s_barrier_wait -1
	global_inv scope:SCOPE_SE
	ds_load_b128 v[9:12], v253
	ds_load_b128 v[15:18], v198 offset:512
	ds_load_b128 v[19:22], v198 offset:528
	ds_load_b128 v[23:26], v254 offset:1056
	ds_load_b128 v[27:30], v254
	ds_load_b128 v[31:34], v254 offset:528
	s_wait_dscnt 0x4
	v_mul_f64_e32 v[2:3], v[17:18], v[11:12]
	v_mul_f64_e32 v[11:12], v[15:16], v[11:12]
	s_wait_dscnt 0x1
	v_mul_f64_e32 v[35:36], v[21:22], v[29:30]
	v_mul_f64_e32 v[29:30], v[19:20], v[29:30]
	s_delay_alu instid0(VALU_DEP_4) | instskip(NEXT) | instid1(VALU_DEP_4)
	v_fma_f64 v[2:3], v[15:16], v[9:10], -v[2:3]
	v_fma_f64 v[37:38], v[17:18], v[9:10], v[11:12]
	ds_load_b128 v[9:12], v198 offset:544
	ds_load_b128 v[15:18], v198 offset:560
	v_fma_f64 v[19:20], v[19:20], v[27:28], -v[35:36]
	v_fma_f64 v[21:22], v[21:22], v[27:28], v[29:30]
	s_wait_loadcnt_dscnt 0x0
	s_barrier_signal -1
	s_barrier_wait -1
	global_inv scope:SCOPE_SE
	v_mul_f64_e32 v[39:40], v[11:12], v[33:34]
	v_mul_f64_e32 v[33:34], v[9:10], v[33:34]
	;; [unrolled: 1-line block ×4, first 2 shown]
	v_add_f64_e32 v[2:3], 0, v[2:3]
	v_add_f64_e32 v[27:28], 0, v[37:38]
	v_fma_f64 v[9:10], v[9:10], v[31:32], -v[39:40]
	v_fma_f64 v[11:12], v[11:12], v[31:32], v[33:34]
	v_fma_f64 v[15:16], v[15:16], v[23:24], -v[29:30]
	v_fma_f64 v[17:18], v[17:18], v[23:24], v[25:26]
	v_add_f64_e32 v[2:3], v[2:3], v[19:20]
	v_add_f64_e32 v[19:20], v[27:28], v[21:22]
	s_delay_alu instid0(VALU_DEP_2) | instskip(NEXT) | instid1(VALU_DEP_2)
	v_add_f64_e32 v[2:3], v[2:3], v[9:10]
	v_add_f64_e32 v[11:12], v[19:20], v[11:12]
	s_delay_alu instid0(VALU_DEP_2) | instskip(NEXT) | instid1(VALU_DEP_2)
	v_add_f64_e32 v[9:10], v[2:3], v[15:16]
	v_add_f64_e32 v[11:12], v[11:12], v[17:18]
	ds_store_b128 v199, v[9:12]
	s_wait_loadcnt_dscnt 0x0
	s_barrier_signal -1
	s_barrier_wait -1
	global_inv scope:SCOPE_SE
	s_and_saveexec_b32 s22, s20
	s_cbranch_execz .LBB22_87
; %bb.86:                               ;   in Loop: Header=BB22_4 Depth=1
	ds_load_b128 v[2:5], v196
	ds_load_b128 v[6:9], v196 offset:16
	s_wait_dscnt 0x0
	v_add_f64_e32 v[10:11], v[6:7], v[2:3]
	v_add_f64_e32 v[15:16], v[8:9], v[4:5]
	ds_load_b128 v[2:5], v196 offset:32
	ds_load_b128 v[6:9], v196 offset:48
	s_wait_dscnt 0x1
	v_add_f64_e32 v[2:3], v[10:11], v[2:3]
	v_add_f64_e32 v[4:5], v[15:16], v[4:5]
	s_wait_dscnt 0x0
	s_delay_alu instid0(VALU_DEP_2) | instskip(NEXT) | instid1(VALU_DEP_2)
	v_add_f64_e32 v[10:11], v[2:3], v[6:7]
	v_add_f64_e32 v[15:16], v[4:5], v[8:9]
	ds_load_b128 v[2:5], v196 offset:64
	ds_load_b128 v[6:9], v196 offset:80
	s_wait_dscnt 0x1
	v_add_f64_e32 v[2:3], v[10:11], v[2:3]
	v_add_f64_e32 v[4:5], v[15:16], v[4:5]
	s_wait_dscnt 0x0
	s_delay_alu instid0(VALU_DEP_2) | instskip(NEXT) | instid1(VALU_DEP_2)
	;; [unrolled: 9-line block ×3, first 2 shown]
	v_add_f64_e32 v[5:6], v[2:3], v[6:7]
	v_add_f64_e32 v[7:8], v[10:11], v[8:9]
.LBB22_87:                              ;   in Loop: Header=BB22_4 Depth=1
	s_wait_alu 0xfffe
	s_or_b32 exec_lo, exec_lo, s22
	v_add_co_u32 v9, vcc_lo, 0xfffffe00, v13
	s_wait_alu 0xfffd
	v_add_co_ci_u32_e64 v10, null, -1, v14, vcc_lo
	s_and_b32 vcc_lo, exec_lo, s35
	s_mov_b32 s22, -1
	s_wait_loadcnt 0x0
	s_barrier_signal -1
	s_barrier_wait -1
	global_inv scope:SCOPE_SE
                                        ; implicit-def: $vgpr2_vgpr3
	s_wait_alu 0xfffe
	s_cbranch_vccz .LBB22_99
; %bb.88:                               ;   in Loop: Header=BB22_4 Depth=1
	s_and_saveexec_b32 s22, s16
	s_wait_alu 0xfffe
	s_xor_b32 s22, exec_lo, s22
; %bb.89:                               ;   in Loop: Header=BB22_4 Depth=1
	v_dual_mov_b32 v2, v1 :: v_dual_mov_b32 v3, v1
	v_mov_b32_e32 v4, v1
	ds_store_b128 v182, v[1:4]
; %bb.90:                               ;   in Loop: Header=BB22_4 Depth=1
	s_wait_alu 0xfffe
	s_or_saveexec_b32 s22, s22
	scratch_load_b64 v[2:3], off, off       ; 8-byte Folded Reload
	s_lshl_b64 s[56:57], s[36:37], 4
	s_wait_loadcnt 0x0
	v_add_co_u32 v2, vcc_lo, v13, v2
	s_wait_alu 0xfffd
	v_add_co_ci_u32_e64 v3, null, v14, v3, vcc_lo
	s_wait_alu 0xfffe
	s_delay_alu instid0(VALU_DEP_2) | instskip(SKIP_1) | instid1(VALU_DEP_2)
	v_add_co_u32 v2, vcc_lo, v2, s56
	s_wait_alu 0xfffd
	v_add_co_ci_u32_e64 v3, null, s57, v3, vcc_lo
	s_delay_alu instid0(VALU_DEP_2) | instskip(SKIP_1) | instid1(VALU_DEP_2)
	v_add_co_u32 v2, vcc_lo, 0xfffffdf0, v2
	s_wait_alu 0xfffd
	v_add_co_ci_u32_e64 v3, null, -1, v3, vcc_lo
	s_delay_alu instid0(VALU_DEP_2) | instskip(NEXT) | instid1(VALU_DEP_2)
	v_cndmask_b32_e64 v11, v2, v9, s1
	v_cndmask_b32_e64 v12, v3, v10, s1
	s_xor_b32 exec_lo, exec_lo, s22
	s_cbranch_execnz .LBB22_181
; %bb.91:                               ;   in Loop: Header=BB22_4 Depth=1
	s_or_b32 exec_lo, exec_lo, s22
	s_and_saveexec_b32 s22, s17
	s_wait_alu 0xfffe
	s_xor_b32 s22, exec_lo, s22
	s_cbranch_execnz .LBB22_182
.LBB22_92:                              ;   in Loop: Header=BB22_4 Depth=1
	s_wait_alu 0xfffe
	s_and_not1_saveexec_b32 s22, s22
	s_cbranch_execnz .LBB22_183
.LBB22_93:                              ;   in Loop: Header=BB22_4 Depth=1
	s_wait_alu 0xfffe
	s_or_b32 exec_lo, exec_lo, s22
	s_and_saveexec_b32 s22, s18
	s_wait_alu 0xfffe
	s_xor_b32 s22, exec_lo, s22
	s_cbranch_execnz .LBB22_184
.LBB22_94:                              ;   in Loop: Header=BB22_4 Depth=1
	s_wait_alu 0xfffe
	s_and_not1_saveexec_b32 s22, s22
	s_cbranch_execnz .LBB22_185
.LBB22_95:                              ;   in Loop: Header=BB22_4 Depth=1
	s_wait_alu 0xfffe
	s_or_b32 exec_lo, exec_lo, s22
	s_and_saveexec_b32 s22, s19
	s_wait_alu 0xfffe
	s_xor_b32 s22, exec_lo, s22
	s_cbranch_execnz .LBB22_186
.LBB22_96:                              ;   in Loop: Header=BB22_4 Depth=1
	s_wait_alu 0xfffe
	s_and_not1_saveexec_b32 s22, s22
	s_cbranch_execz .LBB22_98
.LBB22_97:                              ;   in Loop: Header=BB22_4 Depth=1
	s_lshl_b64 s[56:57], s[42:43], 4
	s_wait_alu 0xfffe
	v_add_co_u32 v2, vcc_lo, v11, s56
	s_wait_alu 0xfffd
	v_add_co_ci_u32_e64 v3, null, s57, v12, vcc_lo
	global_load_b128 v[15:18], v[2:3], off
	v_add_nc_u32_e32 v2, 0x3180, v182
	s_wait_loadcnt 0x0
	ds_store_2addr_b64 v2, v[15:16], v[17:18] offset1:1
.LBB22_98:                              ;   in Loop: Header=BB22_4 Depth=1
	s_wait_alu 0xfffe
	s_or_b32 exec_lo, exec_lo, s22
	scratch_load_b32 v2, off, off offset:8  ; 4-byte Folded Reload
	s_lshl_b64 s[56:57], s[44:45], 4
	s_mov_b32 s22, 0
	s_wait_loadcnt 0x0
	v_add_co_u32 v2, vcc_lo, v11, v2
	s_wait_alu 0xfffd
	v_add_co_ci_u32_e64 v3, null, 0, v12, vcc_lo
	s_wait_alu 0xfffe
	s_delay_alu instid0(VALU_DEP_2) | instskip(SKIP_1) | instid1(VALU_DEP_2)
	v_add_co_u32 v2, vcc_lo, v2, s56
	s_wait_alu 0xfffd
	v_add_co_ci_u32_e64 v3, null, s57, v3, vcc_lo
	s_delay_alu instid0(VALU_DEP_2) | instskip(SKIP_1) | instid1(VALU_DEP_2)
	v_add_co_u32 v2, vcc_lo, v2, 16
	s_wait_alu 0xfffd
	v_add_co_ci_u32_e64 v3, null, 0, v3, vcc_lo
	s_delay_alu instid0(VALU_DEP_2) | instskip(NEXT) | instid1(VALU_DEP_2)
	v_cndmask_b32_e64 v2, v2, v9, s1
	v_cndmask_b32_e64 v3, v3, v10, s1
.LBB22_99:                              ;   in Loop: Header=BB22_4 Depth=1
	s_and_b32 vcc_lo, exec_lo, s22
	s_wait_alu 0xfffe
	s_cbranch_vccz .LBB22_101
; %bb.100:                              ;   in Loop: Header=BB22_4 Depth=1
	s_lshl_b64 s[56:57], s[40:41], 4
	v_add_nc_u32_e32 v4, 0x1080, v182
	s_wait_alu 0xfffe
	v_add_co_u32 v2, vcc_lo, v13, s56
	s_wait_alu 0xfffd
	v_add_co_ci_u32_e64 v3, null, s57, v14, vcc_lo
	s_delay_alu instid0(VALU_DEP_2) | instskip(SKIP_1) | instid1(VALU_DEP_2)
	v_add_co_u32 v19, vcc_lo, v2, s46
	s_wait_alu 0xfffd
	v_add_co_ci_u32_e64 v20, null, s47, v3, vcc_lo
	s_delay_alu instid0(VALU_DEP_2) | instskip(SKIP_1) | instid1(VALU_DEP_2)
	v_add_co_u32 v23, vcc_lo, v19, s46
	s_wait_alu 0xfffd
	v_add_co_ci_u32_e64 v24, null, s47, v20, vcc_lo
	s_clause 0x3
	global_load_b128 v[11:14], v[9:10], off
	global_load_b128 v[15:18], v[2:3], off offset:-512
	global_load_b128 v[19:22], v[19:20], off offset:-512
	;; [unrolled: 1-line block ×3, first 2 shown]
	v_dual_mov_b32 v2, v9 :: v_dual_mov_b32 v3, v10
	s_wait_loadcnt 0x3
	ds_store_2addr_b64 v182, v[11:12], v[13:14] offset1:1
	s_wait_loadcnt 0x2
	ds_store_2addr_b64 v4, v[15:16], v[17:18] offset1:1
	v_add_nc_u32_e32 v4, 0x2100, v182
	s_wait_loadcnt 0x1
	ds_store_2addr_b64 v4, v[19:20], v[21:22] offset1:1
	v_add_nc_u32_e32 v4, 0x3180, v182
	s_wait_loadcnt 0x0
	ds_store_2addr_b64 v4, v[23:24], v[25:26] offset1:1
.LBB22_101:                             ;   in Loop: Header=BB22_4 Depth=1
	s_wait_loadcnt_dscnt 0x0
	scratch_load_b32 v9, off, off offset:28 ; 4-byte Folded Reload
	s_barrier_signal -1
	s_barrier_wait -1
	s_wait_loadcnt 0x0
	global_inv scope:SCOPE_SE
	v_add_nc_u32_e32 v4, v193, v9
	v_add_nc_u32_e32 v13, v198, v9
	ds_load_b128 v[9:12], v4
	ds_load_b128 v[13:16], v13
	ds_load_b128 v[17:20], v201 offset:128
	ds_load_b128 v[21:24], v199 offset:128
	;; [unrolled: 1-line block ×4, first 2 shown]
	s_wait_dscnt 0x2
	v_mul_f64_e32 v[35:36], v[23:24], v[19:20]
	v_mul_f64_e32 v[33:34], v[11:12], v[15:16]
	;; [unrolled: 1-line block ×4, first 2 shown]
	s_delay_alu instid0(VALU_DEP_4) | instskip(NEXT) | instid1(VALU_DEP_4)
	v_fma_f64 v[17:18], v[21:22], v[17:18], v[35:36]
	v_fma_f64 v[33:34], v[9:10], v[13:14], v[33:34]
	s_delay_alu instid0(VALU_DEP_4)
	v_fma_f64 v[37:38], v[9:10], v[15:16], -v[11:12]
	ds_load_b128 v[9:12], v201 offset:256
	ds_load_b128 v[13:16], v201 offset:384
	v_fma_f64 v[19:20], v[21:22], v[19:20], -v[23:24]
	s_wait_dscnt 0x1
	v_mul_f64_e32 v[39:40], v[27:28], v[11:12]
	v_mul_f64_e32 v[27:28], v[27:28], v[9:10]
	v_add_f64_e32 v[21:22], 0, v[33:34]
	v_add_f64_e32 v[23:24], 0, v[37:38]
	s_wait_dscnt 0x0
	v_mul_f64_e32 v[33:34], v[31:32], v[15:16]
	v_mul_f64_e32 v[31:32], v[31:32], v[13:14]
	v_fma_f64 v[9:10], v[25:26], v[9:10], v[39:40]
	v_fma_f64 v[11:12], v[25:26], v[11:12], -v[27:28]
	v_add_f64_e32 v[17:18], v[21:22], v[17:18]
	v_add_f64_e32 v[19:20], v[23:24], v[19:20]
	v_fma_f64 v[13:14], v[29:30], v[13:14], v[33:34]
	v_fma_f64 v[15:16], v[29:30], v[15:16], -v[31:32]
	s_delay_alu instid0(VALU_DEP_4) | instskip(NEXT) | instid1(VALU_DEP_4)
	v_add_f64_e32 v[9:10], v[17:18], v[9:10]
	v_add_f64_e32 v[11:12], v[19:20], v[11:12]
	s_delay_alu instid0(VALU_DEP_2) | instskip(NEXT) | instid1(VALU_DEP_2)
	v_add_f64_e32 v[43:44], v[9:10], v[13:14]
	v_add_f64_e32 v[45:46], v[11:12], v[15:16]
	ds_load_b128 v[33:36], v198 offset:512
	ds_load_b128 v[25:28], v198 offset:528
	;; [unrolled: 1-line block ×4, first 2 shown]
	ds_load_b128 v[29:32], v254
	ds_load_b128 v[21:24], v254 offset:528
	ds_load_b128 v[37:40], v253
	ds_load_b128 v[17:20], v254 offset:1056
	s_wait_loadcnt_dscnt 0x0
	s_barrier_signal -1
	s_barrier_wait -1
	global_inv scope:SCOPE_SE
	ds_store_b128 v199, v[43:46]
	s_wait_loadcnt_dscnt 0x0
	s_barrier_signal -1
	s_barrier_wait -1
	global_inv scope:SCOPE_SE
	s_and_saveexec_b32 s22, s20
	s_cbranch_execz .LBB22_103
; %bb.102:                              ;   in Loop: Header=BB22_4 Depth=1
	ds_load_b128 v[43:46], v196
	ds_load_b128 v[47:50], v196 offset:16
	s_wait_dscnt 0x1
	v_add_f64_e32 v[4:5], v[5:6], v[43:44]
	v_add_f64_e32 v[6:7], v[7:8], v[45:46]
	s_wait_dscnt 0x0
	s_delay_alu instid0(VALU_DEP_2) | instskip(NEXT) | instid1(VALU_DEP_2)
	v_add_f64_e32 v[47:48], v[4:5], v[47:48]
	v_add_f64_e32 v[49:50], v[6:7], v[49:50]
	ds_load_b128 v[4:7], v196 offset:32
	ds_load_b128 v[43:46], v196 offset:48
	s_wait_dscnt 0x1
	v_add_f64_e32 v[4:5], v[47:48], v[4:5]
	v_add_f64_e32 v[6:7], v[49:50], v[6:7]
	s_wait_dscnt 0x0
	s_delay_alu instid0(VALU_DEP_2) | instskip(NEXT) | instid1(VALU_DEP_2)
	v_add_f64_e32 v[47:48], v[4:5], v[43:44]
	v_add_f64_e32 v[49:50], v[6:7], v[45:46]
	ds_load_b128 v[4:7], v196 offset:64
	;; [unrolled: 9-line block ×3, first 2 shown]
	ds_load_b128 v[43:46], v196 offset:112
	s_wait_dscnt 0x1
	v_add_f64_e32 v[4:5], v[47:48], v[4:5]
	v_add_f64_e32 v[7:8], v[49:50], v[6:7]
	s_wait_dscnt 0x0
	s_delay_alu instid0(VALU_DEP_2) | instskip(NEXT) | instid1(VALU_DEP_2)
	v_add_f64_e32 v[5:6], v[4:5], v[43:44]
	v_add_f64_e32 v[7:8], v[7:8], v[45:46]
.LBB22_103:                             ;   in Loop: Header=BB22_4 Depth=1
	s_wait_alu 0xfffe
	s_or_b32 exec_lo, exec_lo, s22
	v_mul_f64_e32 v[43:44], v[35:36], v[39:40]
	v_mul_f64_e32 v[39:40], v[33:34], v[39:40]
	;; [unrolled: 1-line block ×4, first 2 shown]
	s_wait_loadcnt 0x0
	s_barrier_signal -1
	s_barrier_wait -1
	global_inv scope:SCOPE_SE
	v_fma_f64 v[33:34], v[33:34], v[37:38], -v[43:44]
	v_fma_f64 v[35:36], v[35:36], v[37:38], v[39:40]
	v_mul_f64_e32 v[37:38], v[15:16], v[23:24]
	v_mul_f64_e32 v[23:24], v[13:14], v[23:24]
	v_fma_f64 v[25:26], v[25:26], v[29:30], -v[45:46]
	v_fma_f64 v[27:28], v[27:28], v[29:30], v[31:32]
	v_add_f64_e32 v[29:30], 0, v[33:34]
	v_add_f64_e32 v[31:32], 0, v[35:36]
	v_mul_f64_e32 v[33:34], v[11:12], v[19:20]
	v_mul_f64_e32 v[19:20], v[9:10], v[19:20]
	v_fma_f64 v[13:14], v[13:14], v[21:22], -v[37:38]
	v_fma_f64 v[15:16], v[15:16], v[21:22], v[23:24]
	v_add_f64_e32 v[21:22], v[29:30], v[25:26]
	v_add_f64_e32 v[23:24], v[31:32], v[27:28]
	v_fma_f64 v[9:10], v[9:10], v[17:18], -v[33:34]
	v_fma_f64 v[11:12], v[11:12], v[17:18], v[19:20]
	s_delay_alu instid0(VALU_DEP_4) | instskip(NEXT) | instid1(VALU_DEP_4)
	v_add_f64_e32 v[13:14], v[21:22], v[13:14]
	v_add_f64_e32 v[15:16], v[23:24], v[15:16]
	s_delay_alu instid0(VALU_DEP_2) | instskip(NEXT) | instid1(VALU_DEP_2)
	v_add_f64_e32 v[9:10], v[13:14], v[9:10]
	v_add_f64_e32 v[11:12], v[15:16], v[11:12]
	ds_store_b128 v199, v[9:12]
	s_wait_loadcnt_dscnt 0x0
	s_barrier_signal -1
	s_barrier_wait -1
	global_inv scope:SCOPE_SE
	s_and_saveexec_b32 s22, s14
	s_cbranch_execz .LBB22_105
; %bb.104:                              ;   in Loop: Header=BB22_4 Depth=1
	ds_load_b128 v[9:12], v196
	ds_load_b128 v[13:16], v196 offset:16
	s_wait_dscnt 0x1
	v_add_f64_e32 v[4:5], v[5:6], v[9:10]
	v_add_f64_e32 v[6:7], v[7:8], v[11:12]
	s_wait_dscnt 0x0
	s_delay_alu instid0(VALU_DEP_2) | instskip(NEXT) | instid1(VALU_DEP_2)
	v_add_f64_e32 v[12:13], v[4:5], v[13:14]
	v_add_f64_e32 v[14:15], v[6:7], v[15:16]
	ds_load_b128 v[4:7], v196 offset:32
	ds_load_b128 v[8:11], v196 offset:48
	s_wait_dscnt 0x1
	v_add_f64_e32 v[4:5], v[12:13], v[4:5]
	v_add_f64_e32 v[6:7], v[14:15], v[6:7]
	s_wait_dscnt 0x0
	s_delay_alu instid0(VALU_DEP_2) | instskip(NEXT) | instid1(VALU_DEP_2)
	v_add_f64_e32 v[12:13], v[4:5], v[8:9]
	v_add_f64_e32 v[14:15], v[6:7], v[10:11]
	ds_load_b128 v[4:7], v196 offset:64
	;; [unrolled: 9-line block ×3, first 2 shown]
	ds_load_b128 v[8:11], v196 offset:112
	s_wait_dscnt 0x1
	v_add_f64_e32 v[4:5], v[12:13], v[4:5]
	v_add_f64_e32 v[12:13], v[14:15], v[6:7]
	s_wait_dscnt 0x0
	s_delay_alu instid0(VALU_DEP_2) | instskip(NEXT) | instid1(VALU_DEP_2)
	v_add_f64_e32 v[5:6], v[4:5], v[8:9]
	v_add_f64_e32 v[7:8], v[12:13], v[10:11]
.LBB22_105:                             ;   in Loop: Header=BB22_4 Depth=1
	s_wait_alu 0xfffe
	s_or_b32 exec_lo, exec_lo, s22
	s_mul_u64 s[56:57], s[26:27], s[28:29]
	s_and_not1_b32 vcc_lo, exec_lo, s61
	s_wait_alu 0xfffe
	s_lshl_b64 s[56:57], s[56:57], 4
	s_wait_loadcnt 0x0
	s_wait_alu 0xfffe
	s_add_nc_u64 s[56:57], s[38:39], s[56:57]
	s_barrier_signal -1
	s_barrier_wait -1
	global_inv scope:SCOPE_SE
	s_cbranch_vccnz .LBB22_163
; %bb.106:                              ;   in Loop: Header=BB22_4 Depth=1
	scratch_load_b32 v4, off, off offset:52 ; 4-byte Folded Reload
	v_add_co_u32 v255, vcc_lo, v41, s54
	s_wait_alu 0xfffd
	v_add_co_ci_u32_e64 v210, null, s55, v42, vcc_lo
	s_mov_b32 s67, ttmp9
	s_mov_b32 s58, s66
	s_clause 0x1
	scratch_load_b64 v[9:10], off, off offset:40
	scratch_load_b32 v180, off, off offset:36
	s_wait_loadcnt 0x2
	v_add_co_u32 v213, vcc_lo, v2, v4
	scratch_load_b32 v4, off, off offset:48 ; 4-byte Folded Reload
	s_wait_loadcnt 0x0
	s_wait_alu 0xfffd
	v_add_co_ci_u32_e64 v214, null, v3, v4, vcc_lo
	scratch_load_b32 v4, off, off offset:56 ; 4-byte Folded Reload
	s_wait_loadcnt 0x0
	v_add_co_u32 v215, vcc_lo, v2, v4
	scratch_load_b32 v4, off, off offset:60 ; 4-byte Folded Reload
	s_wait_loadcnt 0x0
	s_wait_alu 0xfffd
	v_add_co_ci_u32_e64 v216, null, v3, v4, vcc_lo
	scratch_load_b32 v4, off, off offset:64 ; 4-byte Folded Reload
	;; [unrolled: 7-line block ×9, first 2 shown]
	v_add_co_u32 v231, vcc_lo, v2, v9
	s_wait_alu 0xfffd
	v_add_co_ci_u32_e64 v232, null, v3, v10, vcc_lo
	s_wait_loadcnt 0x0
	v_add_co_u32 v233, vcc_lo, v2, v4
	scratch_load_b32 v4, off, off offset:120 ; 4-byte Folded Reload
	s_wait_loadcnt 0x0
	s_wait_alu 0xfffd
	v_add_co_ci_u32_e64 v234, null, v3, v4, vcc_lo
	scratch_load_b32 v4, off, off offset:128 ; 4-byte Folded Reload
	s_wait_loadcnt 0x0
	v_add_co_u32 v235, vcc_lo, v2, v4
	scratch_load_b32 v4, off, off offset:132 ; 4-byte Folded Reload
	s_wait_loadcnt 0x0
	s_wait_alu 0xfffd
	v_add_co_ci_u32_e64 v236, null, v3, v4, vcc_lo
	scratch_load_b32 v4, off, off offset:140 ; 4-byte Folded Reload
	;; [unrolled: 7-line block ×9, first 2 shown]
	s_wait_loadcnt 0x0
	v_add_co_u32 v195, vcc_lo, v2, v4
	scratch_load_b32 v2, off, off offset:192 ; 4-byte Folded Reload
	s_wait_loadcnt 0x0
	s_wait_alu 0xfffd
	v_add_co_ci_u32_e64 v197, null, v3, v2, vcc_lo
	s_wait_alu 0xfffe
	s_cmp_eq_u32 s62, s67
	s_cselect_b32 s68, s33, 0
	s_and_saveexec_b32 s22, s0
	s_cbranch_execz .LBB22_111
.LBB22_107:                             ;   in Loop: Header=BB22_4 Depth=1
	s_wait_alu 0xfffe
	v_cmp_le_i32_e32 vcc_lo, s68, v173
	s_cmp_lg_u32 s68, 0
	s_cselect_b32 s59, -1, 0
	s_wait_alu 0xfffe
	s_and_b32 s59, s59, vcc_lo
	s_wait_alu 0xfffe
	s_and_saveexec_b32 s69, s59
	s_wait_alu 0xfffe
	s_xor_b32 s59, exec_lo, s69
; %bb.108:                              ;   in Loop: Header=BB22_4 Depth=1
	v_dual_mov_b32 v2, v1 :: v_dual_mov_b32 v3, v1
	v_mov_b32_e32 v4, v1
	ds_store_b128 v202, v[1:4]
; %bb.109:                              ;   in Loop: Header=BB22_4 Depth=1
	s_wait_alu 0xfffe
	s_and_not1_saveexec_b32 s59, s59
	s_cbranch_execz .LBB22_111
; %bb.110:                              ;   in Loop: Header=BB22_4 Depth=1
	s_ashr_i32 s59, s58, 31
	s_wait_alu 0xfffe
	s_lshl_b64 s[70:71], s[58:59], 4
	s_wait_alu 0xfffe
	v_add_co_u32 v2, vcc_lo, v255, s70
	s_wait_alu 0xfffd
	v_add_co_ci_u32_e64 v3, null, s71, v210, vcc_lo
	global_load_b128 v[9:12], v[2:3], off
	s_wait_loadcnt 0x0
	ds_store_2addr_b64 v202, v[9:10], v[11:12] offset1:1
.LBB22_111:                             ;   Parent Loop BB22_4 Depth=1
                                        ; =>  This Inner Loop Header: Depth=2
	s_wait_alu 0xfffe
	s_or_b32 exec_lo, exec_lo, s22
	s_cmp_eq_u32 s68, 0
	v_add_co_u32 v2, vcc_lo, v213, v211
	s_cselect_b32 s59, -1, 0
	s_cmp_lg_u32 s68, 0
	s_wait_alu 0xfffd
	v_add_co_ci_u32_e64 v3, null, v214, v212, vcc_lo
	s_cselect_b32 s22, -1, 0
	s_wait_dscnt 0x0
	s_wait_alu 0xfffe
	s_and_b32 vcc_lo, exec_lo, s22
	s_barrier_signal -1
	s_barrier_wait -1
	global_inv scope:SCOPE_SE
	s_wait_alu 0xfffe
	s_cbranch_vccz .LBB22_119
; %bb.112:                              ;   in Loop: Header=BB22_111 Depth=2
	v_mov_b32_e32 v9, 0
	v_dual_mov_b32 v10, 0 :: v_dual_mov_b32 v13, 0
	v_dual_mov_b32 v15, 0 :: v_dual_mov_b32 v14, 0
	v_mov_b32_e32 v16, 0
	s_mov_b32 s69, exec_lo
	v_cmpx_gt_i32_e64 s68, v200
	s_cbranch_execz .LBB22_114
; %bb.113:                              ;   in Loop: Header=BB22_111 Depth=2
	global_load_b128 v[13:16], v[2:3], off offset:-8
.LBB22_114:                             ;   in Loop: Header=BB22_111 Depth=2
	s_wait_alu 0xfffe
	s_or_b32 exec_lo, exec_lo, s69
	v_mov_b32_e32 v11, 0
	v_or_b32_e32 v4, 1, v200
	v_mov_b32_e32 v12, 0
	s_mov_b32 s69, exec_lo
	s_delay_alu instid0(VALU_DEP_2)
	v_cmpx_gt_i32_e64 s68, v4
	s_cbranch_execz .LBB22_116
; %bb.115:                              ;   in Loop: Header=BB22_111 Depth=2
	v_add_co_u32 v9, vcc_lo, v221, v211
	s_wait_alu 0xfffd
	v_add_co_ci_u32_e64 v10, null, v222, v212, vcc_lo
	global_load_b128 v[9:12], v[9:10], off offset:-8
.LBB22_116:                             ;   in Loop: Header=BB22_111 Depth=2
	s_wait_alu 0xfffe
	s_or_b32 exec_lo, exec_lo, s69
	v_mov_b32_e32 v17, 0
	v_dual_mov_b32 v18, 0 :: v_dual_mov_b32 v19, 0
	v_or_b32_e32 v4, 2, v200
	v_mov_b32_e32 v20, 0
	s_mov_b32 s69, exec_lo
	s_delay_alu instid0(VALU_DEP_2)
	v_cmpx_gt_i32_e64 s68, v4
	s_cbranch_execz .LBB22_118
; %bb.117:                              ;   in Loop: Header=BB22_111 Depth=2
	v_add_co_u32 v17, vcc_lo, v225, v211
	s_wait_alu 0xfffd
	v_add_co_ci_u32_e64 v18, null, v226, v212, vcc_lo
	global_load_b128 v[17:20], v[17:18], off offset:-8
.LBB22_118:                             ;   in Loop: Header=BB22_111 Depth=2
	s_wait_alu 0xfffe
	s_or_b32 exec_lo, exec_lo, s69
	v_or_b32_e32 v4, 3, v200
	s_delay_alu instid0(VALU_DEP_1)
	v_cmp_gt_i32_e64 s69, s68, v4
	s_branch .LBB22_121
.LBB22_119:                             ;   in Loop: Header=BB22_111 Depth=2
	s_mov_b32 s69, 0
                                        ; implicit-def: $vgpr19_vgpr20
                                        ; implicit-def: $vgpr11_vgpr12
                                        ; implicit-def: $vgpr15_vgpr16
	s_cbranch_execz .LBB22_121
; %bb.120:                              ;   in Loop: Header=BB22_111 Depth=2
	s_wait_loadcnt 0x0
	v_add_co_u32 v9, vcc_lo, v221, v211
	s_wait_alu 0xfffd
	v_add_co_ci_u32_e64 v10, null, v222, v212, vcc_lo
	v_add_co_u32 v17, vcc_lo, v217, v211
	s_wait_alu 0xfffd
	v_add_co_ci_u32_e64 v18, null, v218, v212, vcc_lo
	global_load_b128 v[13:16], v[2:3], off offset:-8
	global_load_b128 v[9:12], v[9:10], off offset:-8
	global_load_b128 v[17:20], v[17:18], off
	s_wait_alu 0xfffe
	s_or_b32 s69, s69, exec_lo
.LBB22_121:                             ;   in Loop: Header=BB22_111 Depth=2
	v_mov_b32_e32 v21, 0
	v_dual_mov_b32 v22, 0 :: v_dual_mov_b32 v23, 0
	v_mov_b32_e32 v24, 0
	s_wait_alu 0xfffe
	s_and_saveexec_b32 s70, s69
	s_cbranch_execz .LBB22_123
; %bb.122:                              ;   in Loop: Header=BB22_111 Depth=2
	v_add_co_u32 v2, vcc_lo, v229, v211
	s_wait_alu 0xfffd
	v_add_co_ci_u32_e64 v3, null, v230, v212, vcc_lo
	global_load_b128 v[21:24], v[2:3], off offset:-8
.LBB22_123:                             ;   in Loop: Header=BB22_111 Depth=2
	s_wait_alu 0xfffe
	s_or_b32 exec_lo, exec_lo, s70
	ds_load_b128 v[29:32], v183
	ds_load_b128 v[25:28], v0
	v_cndmask_b32_e64 v4, 0, 1, s22
	s_wait_loadcnt_dscnt 0x1
	v_mul_f64_e32 v[2:3], v[15:16], v[31:32]
	v_mul_f64_e32 v[33:34], v[15:16], v[29:30]
	;; [unrolled: 1-line block ×8, first 2 shown]
	v_fma_f64 v[41:42], v[13:14], v[29:30], v[2:3]
	v_fma_f64 v[43:44], v[13:14], v[31:32], -v[33:34]
	v_fma_f64 v[45:46], v[9:10], v[29:30], v[35:36]
	v_fma_f64 v[47:48], v[9:10], v[31:32], -v[37:38]
	;; [unrolled: 2-line block ×4, first 2 shown]
	ds_load_b128 v[37:40], v0 offset:16
	ds_load_b128 v[33:36], v0 offset:32
	;; [unrolled: 1-line block ×3, first 2 shown]
	v_add_co_u32 v2, vcc_lo, v233, v211
	s_wait_alu 0xfffd
	v_add_co_ci_u32_e64 v3, null, v234, v212, vcc_lo
	s_and_not1_b32 vcc_lo, exec_lo, s22
	ds_store_b128 v203, v[41:44]
	ds_store_b128 v203, v[45:48] offset:1072
	ds_store_b128 v203, v[49:52] offset:2144
	;; [unrolled: 1-line block ×3, first 2 shown]
	s_wait_dscnt 0x0
	s_barrier_signal -1
	s_barrier_wait -1
	global_inv scope:SCOPE_SE
	ds_load_b128 v[97:100], v204
	ds_load_b128 v[93:96], v204 offset:16
	ds_load_b128 v[89:92], v204 offset:32
	;; [unrolled: 1-line block ×3, first 2 shown]
	s_wait_loadcnt_dscnt 0x0
	s_barrier_signal -1
	s_barrier_wait -1
	global_inv scope:SCOPE_SE
	s_wait_alu 0xfffe
	s_cbranch_vccnz .LBB22_131
; %bb.124:                              ;   in Loop: Header=BB22_111 Depth=2
	v_mov_b32_e32 v41, 0
	v_mov_b32_e32 v45, 0
	;; [unrolled: 1-line block ×3, first 2 shown]
	v_dual_mov_b32 v42, 0 :: v_dual_add_nc_u32 v43, 16, v200
	v_mov_b32_e32 v46, 0
	v_mov_b32_e32 v48, 0
	s_mov_b32 s22, exec_lo
	s_delay_alu instid0(VALU_DEP_3)
	v_cmpx_gt_i32_e64 s68, v43
	s_cbranch_execz .LBB22_126
; %bb.125:                              ;   in Loop: Header=BB22_111 Depth=2
	global_load_b128 v[45:48], v[2:3], off offset:-8
.LBB22_126:                             ;   in Loop: Header=BB22_111 Depth=2
	s_wait_alu 0xfffe
	s_or_b32 exec_lo, exec_lo, s22
	v_mov_b32_e32 v43, 0
	v_dual_mov_b32 v44, 0 :: v_dual_add_nc_u32 v49, 17, v200
	s_mov_b32 s22, exec_lo
	s_delay_alu instid0(VALU_DEP_1)
	v_cmpx_gt_i32_e64 s68, v49
	s_cbranch_execz .LBB22_128
; %bb.127:                              ;   in Loop: Header=BB22_111 Depth=2
	v_add_co_u32 v41, vcc_lo, v237, v211
	s_wait_alu 0xfffd
	v_add_co_ci_u32_e64 v42, null, v238, v212, vcc_lo
	global_load_b128 v[41:44], v[41:42], off offset:-8
.LBB22_128:                             ;   in Loop: Header=BB22_111 Depth=2
	s_wait_alu 0xfffe
	s_or_b32 exec_lo, exec_lo, s22
	v_mov_b32_e32 v49, 0
	v_mov_b32_e32 v51, 0
	v_dual_mov_b32 v50, 0 :: v_dual_add_nc_u32 v53, 18, v200
	v_mov_b32_e32 v52, 0
	s_mov_b32 s22, exec_lo
	s_delay_alu instid0(VALU_DEP_2)
	v_cmpx_gt_i32_e64 s68, v53
	s_cbranch_execz .LBB22_130
; %bb.129:                              ;   in Loop: Header=BB22_111 Depth=2
	v_add_co_u32 v49, vcc_lo, v241, v211
	s_wait_alu 0xfffd
	v_add_co_ci_u32_e64 v50, null, v242, v212, vcc_lo
	global_load_b128 v[49:52], v[49:50], off offset:-8
.LBB22_130:                             ;   in Loop: Header=BB22_111 Depth=2
	s_wait_alu 0xfffe
	s_or_b32 exec_lo, exec_lo, s22
	v_add_nc_u32_e32 v53, 19, v200
	s_delay_alu instid0(VALU_DEP_1)
	v_cmp_gt_i32_e64 s22, s68, v53
	s_branch .LBB22_133
.LBB22_131:                             ;   in Loop: Header=BB22_111 Depth=2
	s_mov_b32 s22, 0
                                        ; implicit-def: $vgpr51_vgpr52
                                        ; implicit-def: $vgpr43_vgpr44
                                        ; implicit-def: $vgpr47_vgpr48
	s_cbranch_execz .LBB22_133
; %bb.132:                              ;   in Loop: Header=BB22_111 Depth=2
	s_wait_loadcnt 0x0
	v_add_co_u32 v41, vcc_lo, v237, v211
	s_wait_alu 0xfffd
	v_add_co_ci_u32_e64 v42, null, v238, v212, vcc_lo
	v_add_co_u32 v49, vcc_lo, v245, v211
	s_wait_alu 0xfffd
	v_add_co_ci_u32_e64 v50, null, v246, v212, vcc_lo
	global_load_b128 v[45:48], v[2:3], off offset:-8
	global_load_b128 v[41:44], v[41:42], off offset:-8
	global_load_b128 v[49:52], v[49:50], off
	s_wait_alu 0xfffe
	s_or_b32 s22, s22, exec_lo
.LBB22_133:                             ;   in Loop: Header=BB22_111 Depth=2
	v_mov_b32_e32 v53, 0
	v_dual_mov_b32 v54, 0 :: v_dual_mov_b32 v55, 0
	v_mov_b32_e32 v56, 0
	s_wait_alu 0xfffe
	s_and_saveexec_b32 s69, s22
	s_cbranch_execz .LBB22_135
; %bb.134:                              ;   in Loop: Header=BB22_111 Depth=2
	v_add_co_u32 v2, vcc_lo, v249, v211
	s_wait_alu 0xfffd
	v_add_co_ci_u32_e64 v3, null, v250, v212, vcc_lo
	global_load_b128 v[53:56], v[2:3], off offset:-8
.LBB22_135:                             ;   in Loop: Header=BB22_111 Depth=2
	s_wait_alu 0xfffe
	s_or_b32 exec_lo, exec_lo, s69
	ds_load_b128 v[61:64], v183
	ds_load_b128 v[57:60], v0 offset:256
	v_cmp_ne_u32_e32 vcc_lo, 1, v4
	s_and_b32 vcc_lo, exec_lo, vcc_lo
	s_wait_loadcnt_dscnt 0x1
	v_mul_f64_e32 v[2:3], v[47:48], v[63:64]
	v_mul_f64_e32 v[65:66], v[47:48], v[61:62]
	;; [unrolled: 1-line block ×8, first 2 shown]
	v_fma_f64 v[73:74], v[45:46], v[61:62], v[2:3]
	v_fma_f64 v[75:76], v[45:46], v[63:64], -v[65:66]
	v_fma_f64 v[77:78], v[41:42], v[61:62], v[67:68]
	v_fma_f64 v[79:80], v[41:42], v[63:64], -v[69:70]
	;; [unrolled: 2-line block ×4, first 2 shown]
	ds_load_b128 v[69:72], v0 offset:272
	ds_load_b128 v[65:68], v0 offset:288
	;; [unrolled: 1-line block ×3, first 2 shown]
	v_add_co_u32 v2, s22, v195, v211
	s_wait_alu 0xf1ff
	v_add_co_ci_u32_e64 v3, null, v197, v212, s22
	ds_store_b128 v203, v[73:76]
	ds_store_b128 v203, v[77:80] offset:1072
	ds_store_b128 v203, v[81:84] offset:2144
	ds_store_b128 v203, v[101:104] offset:3216
	s_wait_dscnt 0x0
	s_barrier_signal -1
	s_barrier_wait -1
	global_inv scope:SCOPE_SE
	ds_load_b128 v[145:148], v204
	ds_load_b128 v[141:144], v204 offset:16
	ds_load_b128 v[137:140], v204 offset:32
	;; [unrolled: 1-line block ×3, first 2 shown]
	s_wait_loadcnt_dscnt 0x0
	s_barrier_signal -1
	s_barrier_wait -1
	global_inv scope:SCOPE_SE
	s_wait_alu 0xfffe
	s_cbranch_vccnz .LBB22_143
; %bb.136:                              ;   in Loop: Header=BB22_111 Depth=2
	v_mov_b32_e32 v73, 0
	v_mov_b32_e32 v77, 0
	;; [unrolled: 1-line block ×3, first 2 shown]
	v_dual_mov_b32 v74, 0 :: v_dual_add_nc_u32 v75, 32, v200
	v_mov_b32_e32 v78, 0
	v_mov_b32_e32 v80, 0
	s_mov_b32 s22, exec_lo
	s_delay_alu instid0(VALU_DEP_3)
	v_cmpx_gt_i32_e64 s68, v75
	s_cbranch_execz .LBB22_138
; %bb.137:                              ;   in Loop: Header=BB22_111 Depth=2
	global_load_b128 v[77:80], v[2:3], off offset:-8
.LBB22_138:                             ;   in Loop: Header=BB22_111 Depth=2
	s_wait_alu 0xfffe
	s_or_b32 exec_lo, exec_lo, s22
	v_mov_b32_e32 v75, 0
	v_dual_mov_b32 v76, 0 :: v_dual_add_nc_u32 v81, 33, v200
	s_mov_b32 s22, exec_lo
	s_delay_alu instid0(VALU_DEP_1)
	v_cmpx_gt_i32_e64 s68, v81
	s_cbranch_execz .LBB22_140
; %bb.139:                              ;   in Loop: Header=BB22_111 Depth=2
	v_add_co_u32 v73, vcc_lo, v247, v211
	s_wait_alu 0xfffd
	v_add_co_ci_u32_e64 v74, null, v248, v212, vcc_lo
	global_load_b128 v[73:76], v[73:74], off
.LBB22_140:                             ;   in Loop: Header=BB22_111 Depth=2
	s_wait_alu 0xfffe
	s_or_b32 exec_lo, exec_lo, s22
	v_mov_b32_e32 v81, 0
	v_mov_b32_e32 v83, 0
	v_dual_mov_b32 v82, 0 :: v_dual_add_nc_u32 v101, 34, v200
	v_mov_b32_e32 v84, 0
	s_mov_b32 s22, exec_lo
	s_delay_alu instid0(VALU_DEP_2)
	v_cmpx_gt_i32_e64 s68, v101
	s_cbranch_execz .LBB22_142
; %bb.141:                              ;   in Loop: Header=BB22_111 Depth=2
	v_add_co_u32 v81, vcc_lo, v243, v211
	s_wait_alu 0xfffd
	v_add_co_ci_u32_e64 v82, null, v244, v212, vcc_lo
	global_load_b128 v[81:84], v[81:82], off
.LBB22_142:                             ;   in Loop: Header=BB22_111 Depth=2
	s_wait_alu 0xfffe
	s_or_b32 exec_lo, exec_lo, s22
	v_add_nc_u32_e32 v101, 35, v200
	s_delay_alu instid0(VALU_DEP_1)
	v_cmp_gt_i32_e64 s22, s68, v101
	s_branch .LBB22_145
.LBB22_143:                             ;   in Loop: Header=BB22_111 Depth=2
	s_mov_b32 s22, 0
                                        ; implicit-def: $vgpr83_vgpr84
                                        ; implicit-def: $vgpr75_vgpr76
                                        ; implicit-def: $vgpr79_vgpr80
	s_cbranch_execz .LBB22_145
; %bb.144:                              ;   in Loop: Header=BB22_111 Depth=2
	s_wait_loadcnt 0x0
	v_add_co_u32 v73, vcc_lo, v247, v211
	s_wait_alu 0xfffd
	v_add_co_ci_u32_e64 v74, null, v248, v212, vcc_lo
	v_add_co_u32 v81, vcc_lo, v239, v211
	s_wait_alu 0xfffd
	v_add_co_ci_u32_e64 v82, null, v240, v212, vcc_lo
	global_load_b128 v[77:80], v[2:3], off offset:-8
	global_load_b128 v[73:76], v[73:74], off
	global_load_b128 v[81:84], v[81:82], off offset:-8
	s_wait_alu 0xfffe
	s_or_b32 s22, s22, exec_lo
.LBB22_145:                             ;   in Loop: Header=BB22_111 Depth=2
	v_mov_b32_e32 v101, 0
	v_dual_mov_b32 v102, 0 :: v_dual_mov_b32 v103, 0
	v_mov_b32_e32 v104, 0
	s_wait_alu 0xfffe
	s_and_saveexec_b32 s69, s22
	s_cbranch_execz .LBB22_147
; %bb.146:                              ;   in Loop: Header=BB22_111 Depth=2
	v_add_co_u32 v2, vcc_lo, v235, v211
	s_wait_alu 0xfffd
	v_add_co_ci_u32_e64 v3, null, v236, v212, vcc_lo
	global_load_b128 v[101:104], v[2:3], off
.LBB22_147:                             ;   in Loop: Header=BB22_111 Depth=2
	s_wait_alu 0xfffe
	s_or_b32 exec_lo, exec_lo, s69
	ds_load_b128 v[109:112], v183
	ds_load_b128 v[105:108], v0 offset:512
	v_cmp_ne_u32_e32 vcc_lo, 1, v4
	s_and_b32 vcc_lo, exec_lo, vcc_lo
	s_wait_loadcnt_dscnt 0x1
	v_mul_f64_e32 v[2:3], v[79:80], v[111:112]
	v_mul_f64_e32 v[121:122], v[83:84], v[109:110]
	;; [unrolled: 1-line block ×5, first 2 shown]
	v_fma_f64 v[113:114], v[77:78], v[109:110], v[2:3]
	v_mul_f64_e32 v[2:3], v[83:84], v[111:112]
	v_fma_f64 v[127:128], v[81:82], v[111:112], -v[121:122]
	v_mul_f64_e32 v[121:122], v[103:104], v[109:110]
	v_fma_f64 v[115:116], v[77:78], v[111:112], -v[115:116]
	v_fma_f64 v[117:118], v[73:74], v[109:110], v[117:118]
	v_fma_f64 v[119:120], v[73:74], v[111:112], -v[119:120]
	ds_store_b128 v203, v[113:116]
	ds_store_b128 v203, v[117:120] offset:1072
	v_fma_f64 v[125:126], v[81:82], v[109:110], v[2:3]
	v_mul_f64_e32 v[2:3], v[103:104], v[111:112]
	v_fma_f64 v[131:132], v[101:102], v[111:112], -v[121:122]
	ds_load_b128 v[121:124], v0 offset:528
	ds_load_b128 v[113:116], v0 offset:544
	v_fma_f64 v[129:130], v[101:102], v[109:110], v[2:3]
	ds_store_b128 v203, v[125:128] offset:2144
	ds_load_b128 v[109:112], v0 offset:560
	v_add_co_u32 v2, s22, v231, v211
	s_wait_alu 0xf1ff
	v_add_co_ci_u32_e64 v3, null, v232, v212, s22
	ds_store_b128 v203, v[129:132] offset:3216
	s_wait_dscnt 0x0
	s_barrier_signal -1
	s_barrier_wait -1
	global_inv scope:SCOPE_SE
	ds_load_b128 v[169:172], v204
	ds_load_b128 v[165:168], v204 offset:16
	ds_load_b128 v[161:164], v204 offset:32
	;; [unrolled: 1-line block ×3, first 2 shown]
	s_wait_loadcnt_dscnt 0x0
	s_barrier_signal -1
	s_barrier_wait -1
	global_inv scope:SCOPE_SE
	s_wait_alu 0xfffe
	s_cbranch_vccnz .LBB22_155
; %bb.148:                              ;   in Loop: Header=BB22_111 Depth=2
	v_dual_mov_b32 v117, 0 :: v_dual_add_nc_u32 v4, 48, v200
	v_dual_mov_b32 v118, 0 :: v_dual_mov_b32 v125, 0
	v_dual_mov_b32 v126, 0 :: v_dual_mov_b32 v127, 0
	v_mov_b32_e32 v128, 0
	s_mov_b32 s22, exec_lo
	v_cmpx_gt_i32_e64 s68, v4
	s_cbranch_execz .LBB22_150
; %bb.149:                              ;   in Loop: Header=BB22_111 Depth=2
	global_load_b128 v[125:128], v[2:3], off
.LBB22_150:                             ;   in Loop: Header=BB22_111 Depth=2
	s_wait_alu 0xfffe
	s_or_b32 exec_lo, exec_lo, s22
	v_dual_mov_b32 v119, 0 :: v_dual_add_nc_u32 v4, 49, v200
	v_mov_b32_e32 v120, 0
	s_mov_b32 s22, exec_lo
	s_delay_alu instid0(VALU_DEP_2)
	v_cmpx_gt_i32_e64 s68, v4
	s_cbranch_execz .LBB22_152
; %bb.151:                              ;   in Loop: Header=BB22_111 Depth=2
	v_add_co_u32 v117, vcc_lo, v227, v211
	s_wait_alu 0xfffd
	v_add_co_ci_u32_e64 v118, null, v228, v212, vcc_lo
	global_load_b128 v[117:120], v[117:118], off
.LBB22_152:                             ;   in Loop: Header=BB22_111 Depth=2
	s_wait_alu 0xfffe
	s_or_b32 exec_lo, exec_lo, s22
	v_dual_mov_b32 v129, 0 :: v_dual_add_nc_u32 v4, 50, v200
	v_dual_mov_b32 v130, 0 :: v_dual_mov_b32 v131, 0
	v_mov_b32_e32 v132, 0
	s_mov_b32 s22, exec_lo
	s_delay_alu instid0(VALU_DEP_3)
	v_cmpx_gt_i32_e64 s68, v4
	s_cbranch_execz .LBB22_154
; %bb.153:                              ;   in Loop: Header=BB22_111 Depth=2
	v_add_co_u32 v129, vcc_lo, v223, v211
	s_wait_alu 0xfffd
	v_add_co_ci_u32_e64 v130, null, v224, v212, vcc_lo
	global_load_b128 v[129:132], v[129:130], off
.LBB22_154:                             ;   in Loop: Header=BB22_111 Depth=2
	s_wait_alu 0xfffe
	s_or_b32 exec_lo, exec_lo, s22
	v_add_nc_u32_e32 v4, 51, v200
	s_delay_alu instid0(VALU_DEP_1)
	v_cmp_gt_i32_e64 s22, s68, v4
	s_branch .LBB22_157
.LBB22_155:                             ;   in Loop: Header=BB22_111 Depth=2
	s_mov_b32 s22, 0
                                        ; implicit-def: $vgpr131_vgpr132
                                        ; implicit-def: $vgpr119_vgpr120
                                        ; implicit-def: $vgpr127_vgpr128
	s_cbranch_execz .LBB22_157
; %bb.156:                              ;   in Loop: Header=BB22_111 Depth=2
	s_wait_loadcnt 0x0
	v_add_co_u32 v117, vcc_lo, v227, v211
	s_wait_alu 0xfffd
	v_add_co_ci_u32_e64 v118, null, v228, v212, vcc_lo
	v_add_co_u32 v129, vcc_lo, v219, v211
	s_wait_alu 0xfffd
	v_add_co_ci_u32_e64 v130, null, v220, v212, vcc_lo
	global_load_b128 v[125:128], v[2:3], off
	global_load_b128 v[117:120], v[117:118], off
	global_load_b128 v[129:132], v[129:130], off offset:-8
	s_wait_alu 0xfffe
	s_or_b32 s22, s22, exec_lo
.LBB22_157:                             ;   in Loop: Header=BB22_111 Depth=2
	v_mov_b32_e32 v149, 0
	v_dual_mov_b32 v150, 0 :: v_dual_mov_b32 v151, 0
	v_mov_b32_e32 v152, 0
	s_wait_alu 0xfffe
	s_and_saveexec_b32 s69, s22
	s_cbranch_execz .LBB22_159
; %bb.158:                              ;   in Loop: Header=BB22_111 Depth=2
	v_add_co_u32 v2, vcc_lo, v215, v211
	s_wait_alu 0xfffd
	v_add_co_ci_u32_e64 v3, null, v216, v212, vcc_lo
	global_load_b128 v[149:152], v[2:3], off
.LBB22_159:                             ;   in Loop: Header=BB22_111 Depth=2
	s_wait_alu 0xfffe
	s_or_b32 exec_lo, exec_lo, s69
	ds_load_b128 v[184:187], v183
	ds_load_b128 v[153:156], v0 offset:768
	v_cmp_gt_i32_e32 vcc_lo, s68, v173
	s_or_b32 s22, s59, vcc_lo
	s_wait_alu 0xfffe
	s_and_b32 s59, s21, s22
	s_wait_loadcnt_dscnt 0x1
	v_mul_f64_e32 v[2:3], v[127:128], v[186:187]
	v_mul_f64_e32 v[176:177], v[127:128], v[184:185]
	;; [unrolled: 1-line block ×5, first 2 shown]
	v_fma_f64 v[174:175], v[125:126], v[184:185], v[2:3]
	v_mul_f64_e32 v[2:3], v[119:120], v[186:187]
	v_fma_f64 v[176:177], v[125:126], v[186:187], -v[176:177]
	v_fma_f64 v[190:191], v[117:118], v[186:187], -v[190:191]
	;; [unrolled: 1-line block ×3, first 2 shown]
	s_delay_alu instid0(VALU_DEP_4) | instskip(SKIP_1) | instid1(VALU_DEP_1)
	v_fma_f64 v[188:189], v[117:118], v[184:185], v[2:3]
	v_mul_f64_e32 v[2:3], v[131:132], v[186:187]
	v_fma_f64 v[206:207], v[129:130], v[184:185], v[2:3]
	v_mul_f64_e32 v[2:3], v[151:152], v[186:187]
	v_fma_f64 v[186:187], v[149:150], v[186:187], -v[178:179]
	s_delay_alu instid0(VALU_DEP_2)
	v_fma_f64 v[184:185], v[149:150], v[184:185], v[2:3]
	v_add_f64_e32 v[2:3], 0, v[169:170]
	v_add_f64_e32 v[169:170], 0, v[171:172]
	ds_store_b128 v203, v[174:177]
	ds_store_b128 v203, v[188:191] offset:1072
	ds_store_b128 v203, v[206:209] offset:2144
	;; [unrolled: 1-line block ×3, first 2 shown]
	v_add_f64_e32 v[2:3], v[2:3], v[165:166]
	v_add_f64_e32 v[165:166], v[169:170], v[167:168]
	s_delay_alu instid0(VALU_DEP_2) | instskip(NEXT) | instid1(VALU_DEP_2)
	v_add_f64_e32 v[2:3], v[2:3], v[161:162]
	v_add_f64_e32 v[161:162], v[165:166], v[163:164]
	s_delay_alu instid0(VALU_DEP_2) | instskip(SKIP_2) | instid1(VALU_DEP_4)
	v_add_f64_e32 v[157:158], v[2:3], v[157:158]
	v_add_f64_e32 v[2:3], 0, v[97:98]
	;; [unrolled: 1-line block ×4, first 2 shown]
	s_delay_alu instid0(VALU_DEP_3) | instskip(NEXT) | instid1(VALU_DEP_3)
	v_add_f64_e32 v[2:3], v[2:3], v[93:94]
	v_add_f64_e32 v[93:94], v[97:98], v[95:96]
	s_delay_alu instid0(VALU_DEP_2) | instskip(NEXT) | instid1(VALU_DEP_2)
	v_add_f64_e32 v[2:3], v[2:3], v[89:90]
	v_add_f64_e32 v[89:90], v[93:94], v[91:92]
	s_delay_alu instid0(VALU_DEP_2) | instskip(SKIP_2) | instid1(VALU_DEP_4)
	v_add_f64_e32 v[97:98], v[2:3], v[85:86]
	v_add_f64_e32 v[85:86], 0, v[147:148]
	;; [unrolled: 1-line block ×4, first 2 shown]
	s_delay_alu instid0(VALU_DEP_3) | instskip(NEXT) | instid1(VALU_DEP_3)
	v_add_f64_e32 v[85:86], v[85:86], v[143:144]
	v_add_f64_e32 v[2:3], v[2:3], v[141:142]
	s_delay_alu instid0(VALU_DEP_2) | instskip(NEXT) | instid1(VALU_DEP_2)
	v_add_f64_e32 v[85:86], v[85:86], v[139:140]
	v_add_f64_e32 v[2:3], v[2:3], v[137:138]
	s_delay_alu instid0(VALU_DEP_2)
	v_add_f64_e32 v[135:136], v[85:86], v[135:136]
	ds_load_b128 v[93:96], v0 offset:784
	ds_load_b128 v[89:92], v0 offset:800
	;; [unrolled: 1-line block ×3, first 2 shown]
	s_wait_dscnt 0x0
	s_barrier_signal -1
	s_barrier_wait -1
	global_inv scope:SCOPE_SE
	ds_load_b128 v[137:140], v204
	ds_load_b128 v[141:144], v204 offset:16
	v_add_f64_e32 v[133:134], v[2:3], v[133:134]
	s_wait_dscnt 0x1
	v_add_f64_e32 v[2:3], 0, v[137:138]
	v_add_f64_e32 v[137:138], 0, v[139:140]
	s_wait_dscnt 0x0
	s_delay_alu instid0(VALU_DEP_2) | instskip(NEXT) | instid1(VALU_DEP_2)
	v_add_f64_e32 v[2:3], v[2:3], v[141:142]
	v_add_f64_e32 v[145:146], v[137:138], v[143:144]
	ds_load_b128 v[137:140], v204 offset:32
	ds_load_b128 v[141:144], v204 offset:48
	s_wait_loadcnt_dscnt 0x0
	s_barrier_signal -1
	s_barrier_wait -1
	global_inv scope:SCOPE_SE
	ds_store_b128 v251, v[97:100]
	ds_store_b128 v251, v[133:136] offset:256
	ds_store_b128 v251, v[157:160] offset:512
	v_add_f64_e32 v[2:3], v[2:3], v[137:138]
	v_add_f64_e32 v[139:140], v[145:146], v[139:140]
	s_delay_alu instid0(VALU_DEP_2) | instskip(NEXT) | instid1(VALU_DEP_2)
	v_add_f64_e32 v[137:138], v[2:3], v[141:142]
	v_add_f64_e32 v[139:140], v[139:140], v[143:144]
	ds_store_b128 v251, v[137:140] offset:768
	s_wait_loadcnt_dscnt 0x0
	s_barrier_signal -1
	s_barrier_wait -1
	global_inv scope:SCOPE_SE
	s_wait_alu 0xfffe
	s_and_saveexec_b32 s22, s59
	s_cbranch_execz .LBB22_161
; %bb.160:                              ;   in Loop: Header=BB22_111 Depth=2
	ds_load_b128 v[97:100], v205
	ds_load_b128 v[133:136], v205 offset:16
	v_ashrrev_i32_e32 v181, 31, v180
	s_wait_dscnt 0x0
	v_add_f64_e32 v[2:3], v[133:134], v[97:98]
	v_add_f64_e32 v[137:138], v[135:136], v[99:100]
	ds_load_b128 v[97:100], v205 offset:32
	ds_load_b128 v[133:136], v205 offset:48
	s_wait_dscnt 0x1
	v_add_f64_e32 v[2:3], v[2:3], v[97:98]
	v_add_f64_e32 v[97:98], v[137:138], v[99:100]
	s_wait_dscnt 0x0
	s_delay_alu instid0(VALU_DEP_2) | instskip(NEXT) | instid1(VALU_DEP_2)
	v_add_f64_e32 v[2:3], v[2:3], v[133:134]
	v_add_f64_e32 v[137:138], v[97:98], v[135:136]
	ds_load_b128 v[97:100], v205 offset:64
	ds_load_b128 v[133:136], v205 offset:80
	s_wait_dscnt 0x1
	v_add_f64_e32 v[2:3], v[2:3], v[97:98]
	v_add_f64_e32 v[97:98], v[137:138], v[99:100]
	s_wait_dscnt 0x0
	s_delay_alu instid0(VALU_DEP_2) | instskip(NEXT) | instid1(VALU_DEP_2)
	v_add_f64_e32 v[2:3], v[2:3], v[133:134]
	v_add_f64_e32 v[137:138], v[97:98], v[135:136]
	ds_load_b128 v[97:100], v205 offset:96
	ds_load_b128 v[133:136], v205 offset:112
	s_wait_dscnt 0x1
	v_add_f64_e32 v[2:3], v[2:3], v[97:98]
	v_add_f64_e32 v[97:98], v[137:138], v[99:100]
	s_wait_dscnt 0x0
	s_delay_alu instid0(VALU_DEP_2) | instskip(NEXT) | instid1(VALU_DEP_2)
	v_add_f64_e32 v[2:3], v[2:3], v[133:134]
	v_add_f64_e32 v[137:138], v[97:98], v[135:136]
	ds_load_b128 v[97:100], v205 offset:128
	ds_load_b128 v[133:136], v205 offset:144
	s_wait_dscnt 0x1
	v_add_f64_e32 v[2:3], v[2:3], v[97:98]
	v_add_f64_e32 v[97:98], v[137:138], v[99:100]
	s_wait_dscnt 0x0
	s_delay_alu instid0(VALU_DEP_2) | instskip(NEXT) | instid1(VALU_DEP_2)
	v_add_f64_e32 v[2:3], v[2:3], v[133:134]
	v_add_f64_e32 v[137:138], v[97:98], v[135:136]
	ds_load_b128 v[97:100], v205 offset:160
	ds_load_b128 v[133:136], v205 offset:176
	s_wait_dscnt 0x1
	v_add_f64_e32 v[2:3], v[2:3], v[97:98]
	v_add_f64_e32 v[97:98], v[137:138], v[99:100]
	s_wait_dscnt 0x0
	s_delay_alu instid0(VALU_DEP_2) | instskip(NEXT) | instid1(VALU_DEP_2)
	v_add_f64_e32 v[2:3], v[2:3], v[133:134]
	v_add_f64_e32 v[137:138], v[97:98], v[135:136]
	ds_load_b128 v[97:100], v205 offset:192
	ds_load_b128 v[133:136], v205 offset:208
	s_wait_dscnt 0x1
	v_add_f64_e32 v[2:3], v[2:3], v[97:98]
	v_add_f64_e32 v[97:98], v[137:138], v[99:100]
	s_wait_dscnt 0x0
	s_delay_alu instid0(VALU_DEP_2) | instskip(NEXT) | instid1(VALU_DEP_2)
	v_add_f64_e32 v[2:3], v[2:3], v[133:134]
	v_add_f64_e32 v[137:138], v[97:98], v[135:136]
	ds_load_b128 v[97:100], v205 offset:224
	ds_load_b128 v[133:136], v194
	s_wait_dscnt 0x1
	v_add_f64_e32 v[2:3], v[2:3], v[97:98]
	v_add_f64_e32 v[99:100], v[137:138], v[99:100]
	s_wait_dscnt 0x0
	s_delay_alu instid0(VALU_DEP_2) | instskip(NEXT) | instid1(VALU_DEP_2)
	v_add_f64_e32 v[97:98], v[2:3], v[133:134]
	v_add_f64_e32 v[99:100], v[99:100], v[135:136]
	v_lshlrev_b64_e32 v[2:3], 4, v[180:181]
	s_delay_alu instid0(VALU_DEP_1) | instskip(SKIP_1) | instid1(VALU_DEP_2)
	v_add_co_u32 v2, vcc_lo, s56, v2
	s_wait_alu 0xfffd
	v_add_co_ci_u32_e64 v3, null, s57, v3, vcc_lo
	global_store_b128 v[2:3], v[97:100], off
.LBB22_161:                             ;   in Loop: Header=BB22_111 Depth=2
	s_wait_alu 0xfffe
	s_or_b32 exec_lo, exec_lo, s22
	v_mul_f64_e32 v[2:3], v[15:16], v[27:28]
	v_add_co_u32 v213, vcc_lo, v213, s52
	s_wait_alu 0xfffd
	v_add_co_ci_u32_e64 v214, null, s53, v214, vcc_lo
	v_add_co_u32 v215, vcc_lo, v215, s52
	s_wait_alu 0xfffd
	v_add_co_ci_u32_e64 v216, null, s53, v216, vcc_lo
	;; [unrolled: 3-line block ×9, first 2 shown]
	v_add_co_u32 v231, vcc_lo, v231, s52
	v_fma_f64 v[2:3], v[13:14], v[25:26], -v[2:3]
	v_mul_f64_e32 v[13:14], v[13:14], v[27:28]
	v_mul_f64_e32 v[27:28], v[43:44], v[71:72]
	s_wait_alu 0xfffd
	v_add_co_ci_u32_e64 v232, null, s53, v232, vcc_lo
	v_add_co_u32 v233, vcc_lo, v233, s52
	s_wait_alu 0xfffd
	v_add_co_ci_u32_e64 v234, null, s53, v234, vcc_lo
	v_add_co_u32 v235, vcc_lo, v235, s52
	;; [unrolled: 3-line block ×9, first 2 shown]
	v_fma_f64 v[13:14], v[15:16], v[25:26], v[13:14]
	v_mul_f64_e32 v[15:16], v[11:12], v[39:40]
	v_add_f64_e32 v[2:3], v[5:6], v[2:3]
	v_mul_f64_e32 v[25:26], v[45:46], v[59:60]
	v_fma_f64 v[27:28], v[41:42], v[69:70], -v[27:28]
	s_wait_alu 0xfffd
	v_add_co_ci_u32_e64 v250, null, s53, v250, vcc_lo
	v_add_co_u32 v195, vcc_lo, v195, s52
	v_add_nc_u32_e32 v180, 64, v180
	s_wait_alu 0xfffd
	v_add_co_ci_u32_e64 v197, null, s53, v197, vcc_lo
	s_add_co_i32 s59, s67, 2
	s_add_co_i32 s22, s67, 1
	;; [unrolled: 1-line block ×3, first 2 shown]
	s_wait_alu 0xfffe
	s_cmp_ge_u32 s59, s34
	s_wait_loadcnt 0x0
	s_wait_storecnt 0x0
	s_barrier_signal -1
	s_barrier_wait -1
	global_inv scope:SCOPE_SE
	v_add_f64_e32 v[4:5], v[7:8], v[13:14]
	v_fma_f64 v[15:16], v[9:10], v[37:38], -v[15:16]
	v_mul_f64_e32 v[9:10], v[9:10], v[39:40]
	v_fma_f64 v[25:26], v[47:48], v[57:58], v[25:26]
	v_mul_f64_e32 v[39:40], v[79:80], v[107:108]
	s_delay_alu instid0(VALU_DEP_4) | instskip(NEXT) | instid1(VALU_DEP_4)
	v_add_f64_e32 v[2:3], v[2:3], v[15:16]
	v_fma_f64 v[9:10], v[11:12], v[37:38], v[9:10]
	v_mul_f64_e32 v[11:12], v[19:20], v[35:36]
	v_mul_f64_e32 v[37:38], v[53:54], v[63:64]
	v_fma_f64 v[39:40], v[77:78], v[105:106], -v[39:40]
	s_delay_alu instid0(VALU_DEP_4) | instskip(NEXT) | instid1(VALU_DEP_4)
	v_add_f64_e32 v[4:5], v[4:5], v[9:10]
	v_fma_f64 v[11:12], v[17:18], v[33:34], -v[11:12]
	v_mul_f64_e32 v[17:18], v[17:18], v[35:36]
	v_mul_f64_e32 v[35:36], v[55:56], v[63:64]
	v_fma_f64 v[37:38], v[55:56], v[61:62], v[37:38]
	v_mul_f64_e32 v[55:56], v[127:128], v[155:156]
	v_mul_f64_e32 v[63:64], v[131:132], v[91:92]
	v_add_f64_e32 v[2:3], v[2:3], v[11:12]
	v_fma_f64 v[17:18], v[19:20], v[33:34], v[17:18]
	v_mul_f64_e32 v[19:20], v[23:24], v[31:32]
	v_mul_f64_e32 v[33:34], v[49:50], v[67:68]
	v_fma_f64 v[35:36], v[53:54], v[61:62], -v[35:36]
	v_mul_f64_e32 v[53:54], v[101:102], v[111:112]
	v_fma_f64 v[55:56], v[125:126], v[153:154], -v[55:56]
	;; [unrolled: 2-line block ×3, first 2 shown]
	v_add_f64_e32 v[4:5], v[4:5], v[17:18]
	v_fma_f64 v[19:20], v[21:22], v[29:30], -v[19:20]
	v_mul_f64_e32 v[21:22], v[21:22], v[31:32]
	v_mul_f64_e32 v[31:32], v[51:52], v[67:68]
	v_fma_f64 v[33:34], v[51:52], v[65:66], v[33:34]
	v_mul_f64_e32 v[51:52], v[103:104], v[111:112]
	v_fma_f64 v[53:54], v[103:104], v[109:110], v[53:54]
	v_fma_f64 v[61:62], v[119:120], v[93:94], v[61:62]
	v_mul_f64_e32 v[67:68], v[151:152], v[87:88]
	v_add_f64_e32 v[2:3], v[2:3], v[19:20]
	v_fma_f64 v[21:22], v[23:24], v[29:30], v[21:22]
	v_mul_f64_e32 v[23:24], v[47:48], v[59:60]
	v_mul_f64_e32 v[29:30], v[41:42], v[71:72]
	v_fma_f64 v[31:32], v[49:50], v[65:66], -v[31:32]
	v_mul_f64_e32 v[41:42], v[77:78], v[107:108]
	v_mul_f64_e32 v[47:48], v[83:84], v[115:116]
	;; [unrolled: 1-line block ×3, first 2 shown]
	v_fma_f64 v[51:52], v[101:102], v[109:110], -v[51:52]
	v_mul_f64_e32 v[59:60], v[119:120], v[95:96]
	v_mul_f64_e32 v[65:66], v[129:130], v[91:92]
	v_fma_f64 v[67:68], v[149:150], v[85:86], -v[67:68]
	v_add_f64_e32 v[4:5], v[4:5], v[21:22]
	v_fma_f64 v[23:24], v[45:46], v[57:58], -v[23:24]
	v_fma_f64 v[29:30], v[43:44], v[69:70], v[29:30]
	v_mul_f64_e32 v[43:44], v[75:76], v[123:124]
	v_fma_f64 v[41:42], v[79:80], v[105:106], v[41:42]
	v_mul_f64_e32 v[45:46], v[73:74], v[123:124]
	v_fma_f64 v[47:48], v[81:82], v[113:114], -v[47:48]
	v_fma_f64 v[49:50], v[83:84], v[113:114], v[49:50]
	v_mul_f64_e32 v[57:58], v[125:126], v[155:156]
	v_fma_f64 v[59:60], v[117:118], v[93:94], -v[59:60]
	v_fma_f64 v[65:66], v[131:132], v[89:90], v[65:66]
	v_mul_f64_e32 v[69:70], v[149:150], v[87:88]
	v_add_f64_e32 v[4:5], v[4:5], v[25:26]
	v_add_f64_e32 v[2:3], v[2:3], v[23:24]
	v_fma_f64 v[43:44], v[73:74], v[121:122], -v[43:44]
	v_fma_f64 v[45:46], v[75:76], v[121:122], v[45:46]
	v_fma_f64 v[57:58], v[127:128], v[153:154], v[57:58]
	;; [unrolled: 1-line block ×3, first 2 shown]
	v_add_f64_e32 v[4:5], v[4:5], v[29:30]
	v_add_f64_e32 v[2:3], v[2:3], v[27:28]
	s_delay_alu instid0(VALU_DEP_2) | instskip(NEXT) | instid1(VALU_DEP_2)
	v_add_f64_e32 v[4:5], v[4:5], v[33:34]
	v_add_f64_e32 v[2:3], v[2:3], v[31:32]
	s_delay_alu instid0(VALU_DEP_2) | instskip(NEXT) | instid1(VALU_DEP_2)
	;; [unrolled: 3-line block ×10, first 2 shown]
	v_add_f64_e32 v[7:8], v[7:8], v[69:70]
	v_add_f64_e32 v[5:6], v[2:3], v[67:68]
	s_cbranch_scc1 .LBB22_163
; %bb.162:                              ;   in Loop: Header=BB22_111 Depth=2
	s_mov_b32 s67, s22
	s_wait_alu 0xfffe
	s_cmp_eq_u32 s62, s67
	s_cselect_b32 s68, s33, 0
	s_and_saveexec_b32 s22, s0
	s_cbranch_execnz .LBB22_107
	s_branch .LBB22_111
.LBB22_163:                             ;   in Loop: Header=BB22_4 Depth=1
	scratch_load_b32 v2, off, off offset:32 ; 4-byte Folded Reload
	s_wait_loadcnt 0x0
	ds_store_b128 v2, v[5:8]
	s_wait_dscnt 0x0
	s_barrier_signal -1
	s_barrier_wait -1
	global_inv scope:SCOPE_SE
	s_and_saveexec_b32 s22, s64
	s_cbranch_execz .LBB22_2
; %bb.164:                              ;   in Loop: Header=BB22_4 Depth=1
	v_lshlrev_b32_e32 v14, 4, v173
	ds_load_b128 v[2:5], v14 offset:1072
	ds_load_b128 v[6:9], v14
	s_wait_dscnt 0x0
	v_add_f64_e32 v[10:11], v[2:3], v[6:7]
	v_add_f64_e32 v[12:13], v[4:5], v[8:9]
	ds_load_b128 v[2:5], v14 offset:2144
	ds_load_b128 v[6:9], v14 offset:3216
	s_wait_dscnt 0x1
	v_add_f64_e32 v[2:3], v[10:11], v[2:3]
	v_add_f64_e32 v[4:5], v[12:13], v[4:5]
	s_wait_dscnt 0x0
	s_delay_alu instid0(VALU_DEP_2)
	v_add_f64_e32 v[2:3], v[2:3], v[6:7]
	scratch_load_b64 v[6:7], off, off offset:200 ; 8-byte Folded Reload
	v_add_f64_e32 v[4:5], v[4:5], v[8:9]
	s_wait_loadcnt 0x0
	s_wait_alu 0xfffe
	v_add_co_u32 v6, vcc_lo, s56, v6
	s_wait_alu 0xfffd
	v_add_co_ci_u32_e64 v7, null, s57, v7, vcc_lo
	global_store_b128 v[6:7], v[2:5], off
	s_branch .LBB22_2
.LBB22_165:                             ;   in Loop: Header=BB22_4 Depth=1
	ds_load_b128 v[2:5], v254
	v_add_nc_u32_e32 v6, 16, v193
	s_mov_b32 s22, exec_lo
	s_wait_dscnt 0x0
	v_xor_b32_e32 v5, 0x80000000, v5
	ds_store_b64 v6, v[2:3]
	s_wait_alu 0xfffe
	s_or_saveexec_b32 s56, s56
	v_add_nc_u32_e32 v2, 16, v193
	s_wait_alu 0xfffe
	s_xor_b32 exec_lo, exec_lo, s56
	s_cbranch_execz .LBB22_33
.LBB22_166:                             ;   in Loop: Header=BB22_4 Depth=1
	v_mov_b32_e32 v4, 0
	v_dual_mov_b32 v5, 0 :: v_dual_mov_b32 v2, v192
	s_and_not1_b32 s22, s22, exec_lo
	s_and_b32 s57, s9, exec_lo
	s_wait_alu 0xfffe
	s_or_b32 s22, s22, s57
	s_or_b32 exec_lo, exec_lo, s56
	s_wait_alu 0xfffe
	s_and_saveexec_b32 s56, s22
	s_cbranch_execnz .LBB22_34
	s_branch .LBB22_35
.LBB22_167:                             ;   in Loop: Header=BB22_4 Depth=1
	ds_load_b128 v[9:12], v254
	v_add_nc_u32_e32 v2, 16, v193
	s_mov_b32 s22, exec_lo
	s_wait_dscnt 0x0
	v_xor_b32_e32 v12, 0x80000000, v12
	ds_store_b64 v2, v[9:10]
	s_wait_alu 0xfffe
	s_or_saveexec_b32 s56, s56
	v_add_nc_u32_e32 v2, 16, v193
	s_wait_alu 0xfffe
	s_xor_b32 exec_lo, exec_lo, s56
	s_cbranch_execz .LBB22_71
.LBB22_168:                             ;   in Loop: Header=BB22_4 Depth=1
	v_dual_mov_b32 v11, 0 :: v_dual_mov_b32 v2, v192
	v_mov_b32_e32 v12, 0
	s_and_not1_b32 s22, s22, exec_lo
	s_and_b32 s57, s9, exec_lo
	s_wait_alu 0xfffe
	s_or_b32 s22, s22, s57
	s_or_b32 exec_lo, exec_lo, s56
	s_wait_alu 0xfffe
	s_and_saveexec_b32 s56, s22
	s_cbranch_execnz .LBB22_72
	s_branch .LBB22_73
.LBB22_169:                             ;   in Loop: Header=BB22_4 Depth=1
	global_load_b128 v[9:12], v[7:8], off
	s_wait_loadcnt 0x0
	ds_store_2addr_b64 v182, v[9:10], v[11:12] offset1:1
	s_or_b32 exec_lo, exec_lo, s22
	s_and_saveexec_b32 s22, s3
	s_wait_alu 0xfffe
	s_xor_b32 s22, exec_lo, s22
	s_cbranch_execz .LBB22_16
.LBB22_170:                             ;   in Loop: Header=BB22_4 Depth=1
	v_dual_mov_b32 v2, v1 :: v_dual_mov_b32 v3, v1
	v_dual_mov_b32 v4, v1 :: v_dual_add_nc_u32 v9, 0x1080, v182
	ds_store_b128 v9, v[1:4]
	s_wait_alu 0xfffe
	s_and_not1_saveexec_b32 s22, s22
	s_cbranch_execz .LBB22_17
.LBB22_171:                             ;   in Loop: Header=BB22_4 Depth=1
	s_lshl_b64 s[56:57], s[40:41], 4
	s_wait_alu 0xfffe
	v_add_co_u32 v2, vcc_lo, v7, s56
	s_wait_alu 0xfffd
	v_add_co_ci_u32_e64 v3, null, s57, v8, vcc_lo
	global_load_b128 v[9:12], v[2:3], off
	v_add_nc_u32_e32 v2, 0x1080, v182
	s_wait_loadcnt 0x0
	ds_store_2addr_b64 v2, v[9:10], v[11:12] offset1:1
	s_or_b32 exec_lo, exec_lo, s22
	s_and_saveexec_b32 s22, s4
	s_wait_alu 0xfffe
	s_xor_b32 s22, exec_lo, s22
	s_cbranch_execz .LBB22_18
.LBB22_172:                             ;   in Loop: Header=BB22_4 Depth=1
	v_dual_mov_b32 v2, v1 :: v_dual_mov_b32 v3, v1
	v_dual_mov_b32 v4, v1 :: v_dual_add_nc_u32 v9, 0x2100, v182
	ds_store_b128 v9, v[1:4]
	s_wait_alu 0xfffe
	s_and_not1_saveexec_b32 s22, s22
	s_cbranch_execz .LBB22_19
.LBB22_173:                             ;   in Loop: Header=BB22_4 Depth=1
	v_add_co_u32 v2, vcc_lo, v7, s50
	s_wait_alu 0xfffd
	v_add_co_ci_u32_e64 v3, null, s51, v8, vcc_lo
	global_load_b128 v[9:12], v[2:3], off
	v_add_nc_u32_e32 v2, 0x2100, v182
	s_wait_loadcnt 0x0
	ds_store_2addr_b64 v2, v[9:10], v[11:12] offset1:1
	s_wait_alu 0xfffe
	s_or_b32 exec_lo, exec_lo, s22
	s_and_saveexec_b32 s22, s5
	s_wait_alu 0xfffe
	s_xor_b32 s22, exec_lo, s22
	s_cbranch_execz .LBB22_20
.LBB22_174:                             ;   in Loop: Header=BB22_4 Depth=1
	v_dual_mov_b32 v2, v1 :: v_dual_mov_b32 v3, v1
	v_dual_mov_b32 v4, v1 :: v_dual_add_nc_u32 v9, 0x3180, v182
	ds_store_b128 v9, v[1:4]
	s_wait_alu 0xfffe
	s_and_not1_saveexec_b32 s22, s22
	s_cbranch_execnz .LBB22_21
	s_branch .LBB22_22
.LBB22_175:                             ;   in Loop: Header=BB22_4 Depth=1
	global_load_b128 v[17:20], v[11:12], off
	s_wait_loadcnt 0x0
	ds_store_2addr_b64 v182, v[17:18], v[19:20] offset1:1
	s_or_b32 exec_lo, exec_lo, s22
	s_and_saveexec_b32 s22, s17
	s_wait_alu 0xfffe
	s_xor_b32 s22, exec_lo, s22
	s_cbranch_execz .LBB22_54
.LBB22_176:                             ;   in Loop: Header=BB22_4 Depth=1
	v_dual_mov_b32 v2, v1 :: v_dual_mov_b32 v3, v1
	v_dual_mov_b32 v4, v1 :: v_dual_add_nc_u32 v13, 0x1080, v182
	ds_store_b128 v13, v[1:4]
	s_wait_alu 0xfffe
	s_and_not1_saveexec_b32 s22, s22
	s_cbranch_execz .LBB22_55
.LBB22_177:                             ;   in Loop: Header=BB22_4 Depth=1
	s_lshl_b64 s[56:57], s[40:41], 4
	s_wait_alu 0xfffe
	v_add_co_u32 v2, vcc_lo, v11, s56
	s_wait_alu 0xfffd
	v_add_co_ci_u32_e64 v3, null, s57, v12, vcc_lo
	global_load_b128 v[17:20], v[2:3], off
	v_add_nc_u32_e32 v2, 0x1080, v182
	s_wait_loadcnt 0x0
	ds_store_2addr_b64 v2, v[17:18], v[19:20] offset1:1
	s_or_b32 exec_lo, exec_lo, s22
	s_and_saveexec_b32 s22, s18
	s_wait_alu 0xfffe
	s_xor_b32 s22, exec_lo, s22
	s_cbranch_execz .LBB22_56
.LBB22_178:                             ;   in Loop: Header=BB22_4 Depth=1
	v_dual_mov_b32 v2, v1 :: v_dual_mov_b32 v3, v1
	v_dual_mov_b32 v4, v1 :: v_dual_add_nc_u32 v13, 0x2100, v182
	ds_store_b128 v13, v[1:4]
	s_wait_alu 0xfffe
	s_and_not1_saveexec_b32 s22, s22
	s_cbranch_execz .LBB22_57
.LBB22_179:                             ;   in Loop: Header=BB22_4 Depth=1
	v_add_co_u32 v2, vcc_lo, v11, s50
	s_wait_alu 0xfffd
	v_add_co_ci_u32_e64 v3, null, s51, v12, vcc_lo
	global_load_b128 v[17:20], v[2:3], off
	v_add_nc_u32_e32 v2, 0x2100, v182
	s_wait_loadcnt 0x0
	ds_store_2addr_b64 v2, v[17:18], v[19:20] offset1:1
	s_wait_alu 0xfffe
	s_or_b32 exec_lo, exec_lo, s22
	s_and_saveexec_b32 s22, s19
	s_wait_alu 0xfffe
	s_xor_b32 s22, exec_lo, s22
	s_cbranch_execz .LBB22_58
.LBB22_180:                             ;   in Loop: Header=BB22_4 Depth=1
	v_dual_mov_b32 v2, v1 :: v_dual_mov_b32 v3, v1
	v_dual_mov_b32 v4, v1 :: v_dual_add_nc_u32 v13, 0x3180, v182
	ds_store_b128 v13, v[1:4]
	s_wait_alu 0xfffe
	s_and_not1_saveexec_b32 s22, s22
	s_cbranch_execnz .LBB22_59
	s_branch .LBB22_60
.LBB22_181:                             ;   in Loop: Header=BB22_4 Depth=1
	global_load_b128 v[15:18], v[11:12], off
	s_wait_loadcnt 0x0
	ds_store_2addr_b64 v182, v[15:16], v[17:18] offset1:1
	s_or_b32 exec_lo, exec_lo, s22
	s_and_saveexec_b32 s22, s17
	s_wait_alu 0xfffe
	s_xor_b32 s22, exec_lo, s22
	s_cbranch_execz .LBB22_92
.LBB22_182:                             ;   in Loop: Header=BB22_4 Depth=1
	v_dual_mov_b32 v2, v1 :: v_dual_mov_b32 v3, v1
	v_dual_mov_b32 v4, v1 :: v_dual_add_nc_u32 v15, 0x1080, v182
	ds_store_b128 v15, v[1:4]
	s_wait_alu 0xfffe
	s_and_not1_saveexec_b32 s22, s22
	s_cbranch_execz .LBB22_93
.LBB22_183:                             ;   in Loop: Header=BB22_4 Depth=1
	s_lshl_b64 s[56:57], s[40:41], 4
	s_wait_alu 0xfffe
	v_add_co_u32 v2, vcc_lo, v11, s56
	s_wait_alu 0xfffd
	v_add_co_ci_u32_e64 v3, null, s57, v12, vcc_lo
	global_load_b128 v[15:18], v[2:3], off
	v_add_nc_u32_e32 v2, 0x1080, v182
	s_wait_loadcnt 0x0
	ds_store_2addr_b64 v2, v[15:16], v[17:18] offset1:1
	s_or_b32 exec_lo, exec_lo, s22
	s_and_saveexec_b32 s22, s18
	s_wait_alu 0xfffe
	s_xor_b32 s22, exec_lo, s22
	s_cbranch_execz .LBB22_94
.LBB22_184:                             ;   in Loop: Header=BB22_4 Depth=1
	v_dual_mov_b32 v2, v1 :: v_dual_mov_b32 v3, v1
	v_dual_mov_b32 v4, v1 :: v_dual_add_nc_u32 v15, 0x2100, v182
	ds_store_b128 v15, v[1:4]
	s_wait_alu 0xfffe
	s_and_not1_saveexec_b32 s22, s22
	s_cbranch_execz .LBB22_95
.LBB22_185:                             ;   in Loop: Header=BB22_4 Depth=1
	v_add_co_u32 v2, vcc_lo, v11, s50
	s_wait_alu 0xfffd
	v_add_co_ci_u32_e64 v3, null, s51, v12, vcc_lo
	global_load_b128 v[15:18], v[2:3], off
	v_add_nc_u32_e32 v2, 0x2100, v182
	s_wait_loadcnt 0x0
	ds_store_2addr_b64 v2, v[15:16], v[17:18] offset1:1
	s_wait_alu 0xfffe
	s_or_b32 exec_lo, exec_lo, s22
	s_and_saveexec_b32 s22, s19
	s_wait_alu 0xfffe
	s_xor_b32 s22, exec_lo, s22
	s_cbranch_execz .LBB22_96
.LBB22_186:                             ;   in Loop: Header=BB22_4 Depth=1
	v_dual_mov_b32 v2, v1 :: v_dual_mov_b32 v3, v1
	v_dual_mov_b32 v4, v1 :: v_dual_add_nc_u32 v15, 0x3180, v182
	ds_store_b128 v15, v[1:4]
	s_wait_alu 0xfffe
	s_and_not1_saveexec_b32 s22, s22
	s_cbranch_execnz .LBB22_97
	s_branch .LBB22_98
.LBB22_187:
	s_nop 0
	s_sendmsg sendmsg(MSG_DEALLOC_VGPRS)
	s_endpgm
	.section	.rodata,"a",@progbits
	.p2align	6, 0x0
	.amdhsa_kernel _ZL26rocblas_hemvn_kernel_upperILb1ELi64ELi4ELi33ELi32ELi16Ei19rocblas_complex_numIdEPKS1_PS1_EviT6_lT7_lT5_lS6_lS7_lS5_lT8_i
		.amdhsa_group_segment_fixed_size 19200
		.amdhsa_private_segment_fixed_size 212
		.amdhsa_kernarg_size 392
		.amdhsa_user_sgpr_count 2
		.amdhsa_user_sgpr_dispatch_ptr 0
		.amdhsa_user_sgpr_queue_ptr 0
		.amdhsa_user_sgpr_kernarg_segment_ptr 1
		.amdhsa_user_sgpr_dispatch_id 0
		.amdhsa_user_sgpr_private_segment_size 0
		.amdhsa_wavefront_size32 1
		.amdhsa_uses_dynamic_stack 0
		.amdhsa_enable_private_segment 1
		.amdhsa_system_sgpr_workgroup_id_x 1
		.amdhsa_system_sgpr_workgroup_id_y 0
		.amdhsa_system_sgpr_workgroup_id_z 1
		.amdhsa_system_sgpr_workgroup_info 0
		.amdhsa_system_vgpr_workitem_id 1
		.amdhsa_next_free_vgpr 256
		.amdhsa_next_free_sgpr 82
		.amdhsa_reserve_vcc 1
		.amdhsa_float_round_mode_32 0
		.amdhsa_float_round_mode_16_64 0
		.amdhsa_float_denorm_mode_32 3
		.amdhsa_float_denorm_mode_16_64 3
		.amdhsa_fp16_overflow 0
		.amdhsa_workgroup_processor_mode 1
		.amdhsa_memory_ordered 1
		.amdhsa_forward_progress 1
		.amdhsa_inst_pref_size 116
		.amdhsa_round_robin_scheduling 0
		.amdhsa_exception_fp_ieee_invalid_op 0
		.amdhsa_exception_fp_denorm_src 0
		.amdhsa_exception_fp_ieee_div_zero 0
		.amdhsa_exception_fp_ieee_overflow 0
		.amdhsa_exception_fp_ieee_underflow 0
		.amdhsa_exception_fp_ieee_inexact 0
		.amdhsa_exception_int_div_zero 0
	.end_amdhsa_kernel
	.section	.text._ZL26rocblas_hemvn_kernel_upperILb1ELi64ELi4ELi33ELi32ELi16Ei19rocblas_complex_numIdEPKS1_PS1_EviT6_lT7_lT5_lS6_lS7_lS5_lT8_i,"axG",@progbits,_ZL26rocblas_hemvn_kernel_upperILb1ELi64ELi4ELi33ELi32ELi16Ei19rocblas_complex_numIdEPKS1_PS1_EviT6_lT7_lT5_lS6_lS7_lS5_lT8_i,comdat
.Lfunc_end22:
	.size	_ZL26rocblas_hemvn_kernel_upperILb1ELi64ELi4ELi33ELi32ELi16Ei19rocblas_complex_numIdEPKS1_PS1_EviT6_lT7_lT5_lS6_lS7_lS5_lT8_i, .Lfunc_end22-_ZL26rocblas_hemvn_kernel_upperILb1ELi64ELi4ELi33ELi32ELi16Ei19rocblas_complex_numIdEPKS1_PS1_EviT6_lT7_lT5_lS6_lS7_lS5_lT8_i
                                        ; -- End function
	.set _ZL26rocblas_hemvn_kernel_upperILb1ELi64ELi4ELi33ELi32ELi16Ei19rocblas_complex_numIdEPKS1_PS1_EviT6_lT7_lT5_lS6_lS7_lS5_lT8_i.num_vgpr, 256
	.set _ZL26rocblas_hemvn_kernel_upperILb1ELi64ELi4ELi33ELi32ELi16Ei19rocblas_complex_numIdEPKS1_PS1_EviT6_lT7_lT5_lS6_lS7_lS5_lT8_i.num_agpr, 0
	.set _ZL26rocblas_hemvn_kernel_upperILb1ELi64ELi4ELi33ELi32ELi16Ei19rocblas_complex_numIdEPKS1_PS1_EviT6_lT7_lT5_lS6_lS7_lS5_lT8_i.numbered_sgpr, 82
	.set _ZL26rocblas_hemvn_kernel_upperILb1ELi64ELi4ELi33ELi32ELi16Ei19rocblas_complex_numIdEPKS1_PS1_EviT6_lT7_lT5_lS6_lS7_lS5_lT8_i.num_named_barrier, 0
	.set _ZL26rocblas_hemvn_kernel_upperILb1ELi64ELi4ELi33ELi32ELi16Ei19rocblas_complex_numIdEPKS1_PS1_EviT6_lT7_lT5_lS6_lS7_lS5_lT8_i.private_seg_size, 212
	.set _ZL26rocblas_hemvn_kernel_upperILb1ELi64ELi4ELi33ELi32ELi16Ei19rocblas_complex_numIdEPKS1_PS1_EviT6_lT7_lT5_lS6_lS7_lS5_lT8_i.uses_vcc, 1
	.set _ZL26rocblas_hemvn_kernel_upperILb1ELi64ELi4ELi33ELi32ELi16Ei19rocblas_complex_numIdEPKS1_PS1_EviT6_lT7_lT5_lS6_lS7_lS5_lT8_i.uses_flat_scratch, 1
	.set _ZL26rocblas_hemvn_kernel_upperILb1ELi64ELi4ELi33ELi32ELi16Ei19rocblas_complex_numIdEPKS1_PS1_EviT6_lT7_lT5_lS6_lS7_lS5_lT8_i.has_dyn_sized_stack, 0
	.set _ZL26rocblas_hemvn_kernel_upperILb1ELi64ELi4ELi33ELi32ELi16Ei19rocblas_complex_numIdEPKS1_PS1_EviT6_lT7_lT5_lS6_lS7_lS5_lT8_i.has_recursion, 0
	.set _ZL26rocblas_hemvn_kernel_upperILb1ELi64ELi4ELi33ELi32ELi16Ei19rocblas_complex_numIdEPKS1_PS1_EviT6_lT7_lT5_lS6_lS7_lS5_lT8_i.has_indirect_call, 0
	.section	.AMDGPU.csdata,"",@progbits
; Kernel info:
; codeLenInByte = 14820
; TotalNumSgprs: 84
; NumVgprs: 256
; ScratchSize: 212
; MemoryBound: 1
; FloatMode: 240
; IeeeMode: 1
; LDSByteSize: 19200 bytes/workgroup (compile time only)
; SGPRBlocks: 0
; VGPRBlocks: 31
; NumSGPRsForWavesPerEU: 84
; NumVGPRsForWavesPerEU: 256
; Occupancy: 5
; WaveLimiterHint : 1
; COMPUTE_PGM_RSRC2:SCRATCH_EN: 1
; COMPUTE_PGM_RSRC2:USER_SGPR: 2
; COMPUTE_PGM_RSRC2:TRAP_HANDLER: 0
; COMPUTE_PGM_RSRC2:TGID_X_EN: 1
; COMPUTE_PGM_RSRC2:TGID_Y_EN: 0
; COMPUTE_PGM_RSRC2:TGID_Z_EN: 1
; COMPUTE_PGM_RSRC2:TIDIG_COMP_CNT: 1
	.section	.text._ZL36rocblas_hemvn_kernel_upper_block_sumILi64Ei19rocblas_complex_numIdEPS1_S1_EviT1_lS3_lT2_lT0_lPT3_i,"axG",@progbits,_ZL36rocblas_hemvn_kernel_upper_block_sumILi64Ei19rocblas_complex_numIdEPS1_S1_EviT1_lS3_lT2_lT0_lPT3_i,comdat
	.globl	_ZL36rocblas_hemvn_kernel_upper_block_sumILi64Ei19rocblas_complex_numIdEPS1_S1_EviT1_lS3_lT2_lT0_lPT3_i ; -- Begin function _ZL36rocblas_hemvn_kernel_upper_block_sumILi64Ei19rocblas_complex_numIdEPS1_S1_EviT1_lS3_lT2_lT0_lPT3_i
	.p2align	8
	.type	_ZL36rocblas_hemvn_kernel_upper_block_sumILi64Ei19rocblas_complex_numIdEPS1_S1_EviT1_lS3_lT2_lT0_lPT3_i,@function
_ZL36rocblas_hemvn_kernel_upper_block_sumILi64Ei19rocblas_complex_numIdEPS1_S1_EviT1_lS3_lT2_lT0_lPT3_i: ; @_ZL36rocblas_hemvn_kernel_upper_block_sumILi64Ei19rocblas_complex_numIdEPS1_S1_EviT1_lS3_lT2_lT0_lPT3_i
; %bb.0:
	s_load_b32 s22, s[0:1], 0x60
	s_lshr_b32 s2, ttmp7, 16
	s_wait_kmcnt 0x0
	s_cmp_ge_u32 s2, s22
	s_cbranch_scc1 .LBB23_24
; %bb.1:
	s_clause 0x5
	s_load_b128 s[4:7], s[0:1], 0x8
	s_load_b128 s[8:11], s[0:1], 0x20
	s_load_b128 s[24:27], s[0:1], 0x38
	s_load_b32 s18, s[0:1], 0x0
	s_load_b32 s19, s[0:1], 0x48
	s_load_b128 s[12:15], s[0:1], 0x50
	v_lshl_or_b32 v0, ttmp9, 6, v0
	s_add_nc_u64 s[16:17], s[0:1], 0x68
	s_delay_alu instid0(VALU_DEP_1) | instskip(NEXT) | instid1(VALU_DEP_1)
	v_ashrrev_i32_e32 v1, 31, v0
	v_lshlrev_b64_e32 v[1:2], 4, v[0:1]
	s_wait_kmcnt 0x0
	s_lshl_b64 s[20:21], s[26:27], 4
	v_cmp_neq_f64_e64 s3, s[4:5], 0
	v_cmp_neq_f64_e64 s23, s[6:7], 0
	;; [unrolled: 1-line block ×4, first 2 shown]
	v_cmp_neq_f64_e64 s30, s[8:9], 1.0
	v_cmp_gt_i32_e64 s0, s18, v0
	v_mul_lo_u32 v0, s19, v0
	v_add_co_u32 v1, vcc_lo, s14, v1
	s_delay_alu instid0(VALU_DEP_1)
	v_add_co_ci_u32_e64 v2, null, s15, v2, vcc_lo
	s_add_nc_u64 s[14:15], s[24:25], s[20:21]
	v_add_co_u32 v4, vcc_lo, v1, 8
	v_ashrrev_i32_e32 v1, 31, v0
	s_ashr_i32 s19, s18, 31
	s_wait_alu 0xfffd
	v_add_co_ci_u32_e64 v5, null, 0, v2, vcc_lo
	s_delay_alu instid0(VALU_DEP_2)
	v_lshlrev_b64_e32 v[6:7], 4, v[0:1]
	s_or_b32 s3, s3, s23
	s_or_b32 s20, s29, s28
	s_xor_b32 s1, s3, -1
	s_xor_b32 s23, s20, -1
	s_cmp_gt_i32 ttmp9, -1
	v_cndmask_b32_e64 v10, 0, 1, s20
	s_cselect_b32 s24, -1, 0
	s_or_b32 s3, s3, s30
	s_add_co_i32 s26, ttmp9, 1
	s_or_b32 s25, s3, s28
	s_wait_alu 0xfffe
	s_lshl_b64 s[18:19], s[18:19], 4
	s_mov_b32 s3, 0
	s_branch .LBB23_4
.LBB23_2:                               ;   in Loop: Header=BB23_4 Depth=1
	s_or_b32 exec_lo, exec_lo, s28
.LBB23_3:                               ;   in Loop: Header=BB23_4 Depth=1
	s_add_co_i32 s2, s2, 0x10000
	s_wait_alu 0xfffe
	s_cmp_lt_u32 s2, s22
	s_cbranch_scc0 .LBB23_24
.LBB23_4:                               ; =>This Loop Header: Depth=1
                                        ;     Child Loop BB23_15 Depth 2
	s_and_not1_b32 vcc_lo, exec_lo, s25
	s_wait_alu 0xfffe
	s_cbranch_vccnz .LBB23_3
; %bb.5:                                ;   in Loop: Header=BB23_4 Depth=1
	s_mul_u64 s[20:21], s[12:13], s[2:3]
	s_and_not1_b32 vcc_lo, exec_lo, s1
	s_wait_alu 0xfffe
	s_lshl_b64 s[20:21], s[20:21], 4
	s_wait_alu 0xfffe
	s_add_nc_u64 s[20:21], s[14:15], s[20:21]
	s_cbranch_vccnz .LBB23_10
; %bb.6:                                ;   in Loop: Header=BB23_4 Depth=1
	s_mov_b32 s28, 0
	s_mov_b32 s27, 0
                                        ; implicit-def: $vgpr2_vgpr3
	s_and_saveexec_b32 s29, s0
	s_cbranch_execz .LBB23_11
; %bb.7:                                ;   in Loop: Header=BB23_4 Depth=1
	v_cmp_ne_u32_e32 vcc_lo, 1, v10
	v_mov_b32_e32 v2, 0
	v_dual_mov_b32 v3, 0 :: v_dual_mov_b32 v0, 0
	v_mov_b32_e32 v1, 0
	s_cbranch_vccnz .LBB23_9
; %bb.8:                                ;   in Loop: Header=BB23_4 Depth=1
	s_wait_alu 0xfffe
	v_add_co_u32 v0, vcc_lo, s20, v6
	s_wait_alu 0xfffd
	v_add_co_ci_u32_e64 v1, null, s21, v7, vcc_lo
	global_load_b128 v[11:14], v[0:1], off
	s_wait_loadcnt 0x0
	v_mul_f64_e32 v[0:1], s[10:11], v[13:14]
	v_mul_f64_e32 v[2:3], s[8:9], v[13:14]
	s_delay_alu instid0(VALU_DEP_2) | instskip(NEXT) | instid1(VALU_DEP_2)
	v_fma_f64 v[0:1], s[8:9], v[11:12], -v[0:1]
	v_fma_f64 v[2:3], s[10:11], v[11:12], v[2:3]
.LBB23_9:                               ;   in Loop: Header=BB23_4 Depth=1
	s_mov_b32 s27, exec_lo
	s_or_b32 exec_lo, exec_lo, s29
	s_delay_alu instid0(SALU_CYCLE_1)
	s_and_b32 vcc_lo, exec_lo, s28
	s_wait_alu 0xfffe
	s_cbranch_vccnz .LBB23_12
	s_branch .LBB23_22
.LBB23_10:                              ;   in Loop: Header=BB23_4 Depth=1
	s_mov_b32 s27, 0
                                        ; implicit-def: $vgpr2_vgpr3
	s_cbranch_execnz .LBB23_12
	s_branch .LBB23_22
.LBB23_11:                              ;   in Loop: Header=BB23_4 Depth=1
	s_or_b32 exec_lo, exec_lo, s29
	s_delay_alu instid0(SALU_CYCLE_1)
	s_and_b32 vcc_lo, exec_lo, s28
	s_wait_alu 0xfffe
	s_cbranch_vccz .LBB23_22
.LBB23_12:                              ;   in Loop: Header=BB23_4 Depth=1
                                        ; implicit-def: $vgpr2_vgpr3
	s_and_saveexec_b32 s28, s0
	s_cbranch_execz .LBB23_21
; %bb.13:                               ;   in Loop: Header=BB23_4 Depth=1
	v_mov_b32_e32 v0, 0
	v_dual_mov_b32 v1, 0 :: v_dual_mov_b32 v2, 0
	v_mov_b32_e32 v3, 0
	s_and_not1_b32 vcc_lo, exec_lo, s24
	s_wait_alu 0xfffe
	s_cbranch_vccnz .LBB23_16
; %bb.14:                               ;   in Loop: Header=BB23_4 Depth=1
	s_load_b32 s30, s[16:17], 0x0
	s_mov_b32 s31, s3
	v_mov_b32_e32 v2, 0
	s_mov_b32 s29, s26
	v_mov_b32_e32 v3, 0
	s_wait_kmcnt 0x0
	s_wait_alu 0xfffe
	s_mul_u64 s[30:31], s[18:19], s[30:31]
	s_wait_alu 0xfffe
	v_mad_co_u64_u32 v[8:9], null, s30, s2, v[4:5]
	s_delay_alu instid0(VALU_DEP_1) | instskip(NEXT) | instid1(VALU_DEP_1)
	v_mov_b32_e32 v0, v9
	v_mad_co_u64_u32 v[11:12], null, s31, s2, v[0:1]
	v_mov_b32_e32 v0, 0
	v_mov_b32_e32 v1, 0
	s_delay_alu instid0(VALU_DEP_3)
	v_mov_b32_e32 v9, v11
.LBB23_15:                              ;   Parent Loop BB23_4 Depth=1
                                        ; =>  This Inner Loop Header: Depth=2
	global_load_b128 v[11:14], v[8:9], off offset:-8
	v_add_co_u32 v8, vcc_lo, v8, s18
	s_wait_alu 0xfffd
	v_add_co_ci_u32_e64 v9, null, s19, v9, vcc_lo
	s_add_co_i32 s29, s29, -1
	s_delay_alu instid0(SALU_CYCLE_1)
	s_cmp_eq_u32 s29, 0
	s_wait_loadcnt 0x0
	v_add_f64_e32 v[2:3], v[2:3], v[11:12]
	v_add_f64_e32 v[0:1], v[0:1], v[13:14]
	s_cbranch_scc0 .LBB23_15
.LBB23_16:                              ;   in Loop: Header=BB23_4 Depth=1
	s_delay_alu instid0(VALU_DEP_1) | instskip(SKIP_3) | instid1(VALU_DEP_2)
	v_mul_f64_e32 v[8:9], s[6:7], v[0:1]
	v_mul_f64_e32 v[11:12], s[4:5], v[0:1]
	s_and_b32 vcc_lo, exec_lo, s23
	s_mov_b32 s29, -1
	v_fma_f64 v[0:1], s[4:5], v[2:3], -v[8:9]
	s_delay_alu instid0(VALU_DEP_2)
	v_fma_f64 v[2:3], s[6:7], v[2:3], v[11:12]
	s_wait_alu 0xfffe
	s_cbranch_vccz .LBB23_18
; %bb.17:                               ;   in Loop: Header=BB23_4 Depth=1
	s_mov_b32 s29, 0
.LBB23_18:                              ;   in Loop: Header=BB23_4 Depth=1
	s_delay_alu instid0(SALU_CYCLE_1)
	s_and_not1_b32 vcc_lo, exec_lo, s29
	s_wait_alu 0xfffe
	s_cbranch_vccnz .LBB23_20
; %bb.19:                               ;   in Loop: Header=BB23_4 Depth=1
	v_add_co_u32 v8, vcc_lo, s20, v6
	s_wait_alu 0xfffd
	v_add_co_ci_u32_e64 v9, null, s21, v7, vcc_lo
	global_load_b128 v[11:14], v[8:9], off
	s_wait_loadcnt 0x0
	v_mul_f64_e32 v[8:9], s[10:11], v[13:14]
	v_mul_f64_e32 v[13:14], s[8:9], v[13:14]
	s_delay_alu instid0(VALU_DEP_2) | instskip(NEXT) | instid1(VALU_DEP_2)
	v_fma_f64 v[8:9], s[8:9], v[11:12], -v[8:9]
	v_fma_f64 v[11:12], s[10:11], v[11:12], v[13:14]
	s_delay_alu instid0(VALU_DEP_2) | instskip(NEXT) | instid1(VALU_DEP_2)
	v_add_f64_e32 v[0:1], v[0:1], v[8:9]
	v_add_f64_e32 v[2:3], v[2:3], v[11:12]
.LBB23_20:                              ;   in Loop: Header=BB23_4 Depth=1
	s_or_b32 s27, s27, exec_lo
.LBB23_21:                              ;   in Loop: Header=BB23_4 Depth=1
	s_or_b32 exec_lo, exec_lo, s28
.LBB23_22:                              ;   in Loop: Header=BB23_4 Depth=1
	s_and_saveexec_b32 s28, s27
	s_cbranch_execz .LBB23_2
; %bb.23:                               ;   in Loop: Header=BB23_4 Depth=1
	s_wait_alu 0xfffe
	v_add_co_u32 v8, vcc_lo, s20, v6
	s_wait_alu 0xfffd
	v_add_co_ci_u32_e64 v9, null, s21, v7, vcc_lo
	global_store_b128 v[8:9], v[0:3], off
	s_branch .LBB23_2
.LBB23_24:
	s_endpgm
	.section	.rodata,"a",@progbits
	.p2align	6, 0x0
	.amdhsa_kernel _ZL36rocblas_hemvn_kernel_upper_block_sumILi64Ei19rocblas_complex_numIdEPS1_S1_EviT1_lS3_lT2_lT0_lPT3_i
		.amdhsa_group_segment_fixed_size 0
		.amdhsa_private_segment_fixed_size 0
		.amdhsa_kernarg_size 360
		.amdhsa_user_sgpr_count 2
		.amdhsa_user_sgpr_dispatch_ptr 0
		.amdhsa_user_sgpr_queue_ptr 0
		.amdhsa_user_sgpr_kernarg_segment_ptr 1
		.amdhsa_user_sgpr_dispatch_id 0
		.amdhsa_user_sgpr_private_segment_size 0
		.amdhsa_wavefront_size32 1
		.amdhsa_uses_dynamic_stack 0
		.amdhsa_enable_private_segment 0
		.amdhsa_system_sgpr_workgroup_id_x 1
		.amdhsa_system_sgpr_workgroup_id_y 0
		.amdhsa_system_sgpr_workgroup_id_z 1
		.amdhsa_system_sgpr_workgroup_info 0
		.amdhsa_system_vgpr_workitem_id 0
		.amdhsa_next_free_vgpr 15
		.amdhsa_next_free_sgpr 32
		.amdhsa_reserve_vcc 1
		.amdhsa_float_round_mode_32 0
		.amdhsa_float_round_mode_16_64 0
		.amdhsa_float_denorm_mode_32 3
		.amdhsa_float_denorm_mode_16_64 3
		.amdhsa_fp16_overflow 0
		.amdhsa_workgroup_processor_mode 1
		.amdhsa_memory_ordered 1
		.amdhsa_forward_progress 1
		.amdhsa_inst_pref_size 8
		.amdhsa_round_robin_scheduling 0
		.amdhsa_exception_fp_ieee_invalid_op 0
		.amdhsa_exception_fp_denorm_src 0
		.amdhsa_exception_fp_ieee_div_zero 0
		.amdhsa_exception_fp_ieee_overflow 0
		.amdhsa_exception_fp_ieee_underflow 0
		.amdhsa_exception_fp_ieee_inexact 0
		.amdhsa_exception_int_div_zero 0
	.end_amdhsa_kernel
	.section	.text._ZL36rocblas_hemvn_kernel_upper_block_sumILi64Ei19rocblas_complex_numIdEPS1_S1_EviT1_lS3_lT2_lT0_lPT3_i,"axG",@progbits,_ZL36rocblas_hemvn_kernel_upper_block_sumILi64Ei19rocblas_complex_numIdEPS1_S1_EviT1_lS3_lT2_lT0_lPT3_i,comdat
.Lfunc_end23:
	.size	_ZL36rocblas_hemvn_kernel_upper_block_sumILi64Ei19rocblas_complex_numIdEPS1_S1_EviT1_lS3_lT2_lT0_lPT3_i, .Lfunc_end23-_ZL36rocblas_hemvn_kernel_upper_block_sumILi64Ei19rocblas_complex_numIdEPS1_S1_EviT1_lS3_lT2_lT0_lPT3_i
                                        ; -- End function
	.set _ZL36rocblas_hemvn_kernel_upper_block_sumILi64Ei19rocblas_complex_numIdEPS1_S1_EviT1_lS3_lT2_lT0_lPT3_i.num_vgpr, 15
	.set _ZL36rocblas_hemvn_kernel_upper_block_sumILi64Ei19rocblas_complex_numIdEPS1_S1_EviT1_lS3_lT2_lT0_lPT3_i.num_agpr, 0
	.set _ZL36rocblas_hemvn_kernel_upper_block_sumILi64Ei19rocblas_complex_numIdEPS1_S1_EviT1_lS3_lT2_lT0_lPT3_i.numbered_sgpr, 32
	.set _ZL36rocblas_hemvn_kernel_upper_block_sumILi64Ei19rocblas_complex_numIdEPS1_S1_EviT1_lS3_lT2_lT0_lPT3_i.num_named_barrier, 0
	.set _ZL36rocblas_hemvn_kernel_upper_block_sumILi64Ei19rocblas_complex_numIdEPS1_S1_EviT1_lS3_lT2_lT0_lPT3_i.private_seg_size, 0
	.set _ZL36rocblas_hemvn_kernel_upper_block_sumILi64Ei19rocblas_complex_numIdEPS1_S1_EviT1_lS3_lT2_lT0_lPT3_i.uses_vcc, 1
	.set _ZL36rocblas_hemvn_kernel_upper_block_sumILi64Ei19rocblas_complex_numIdEPS1_S1_EviT1_lS3_lT2_lT0_lPT3_i.uses_flat_scratch, 0
	.set _ZL36rocblas_hemvn_kernel_upper_block_sumILi64Ei19rocblas_complex_numIdEPS1_S1_EviT1_lS3_lT2_lT0_lPT3_i.has_dyn_sized_stack, 0
	.set _ZL36rocblas_hemvn_kernel_upper_block_sumILi64Ei19rocblas_complex_numIdEPS1_S1_EviT1_lS3_lT2_lT0_lPT3_i.has_recursion, 0
	.set _ZL36rocblas_hemvn_kernel_upper_block_sumILi64Ei19rocblas_complex_numIdEPS1_S1_EviT1_lS3_lT2_lT0_lPT3_i.has_indirect_call, 0
	.section	.AMDGPU.csdata,"",@progbits
; Kernel info:
; codeLenInByte = 900
; TotalNumSgprs: 34
; NumVgprs: 15
; ScratchSize: 0
; MemoryBound: 0
; FloatMode: 240
; IeeeMode: 1
; LDSByteSize: 0 bytes/workgroup (compile time only)
; SGPRBlocks: 0
; VGPRBlocks: 1
; NumSGPRsForWavesPerEU: 34
; NumVGPRsForWavesPerEU: 15
; Occupancy: 16
; WaveLimiterHint : 1
; COMPUTE_PGM_RSRC2:SCRATCH_EN: 0
; COMPUTE_PGM_RSRC2:USER_SGPR: 2
; COMPUTE_PGM_RSRC2:TRAP_HANDLER: 0
; COMPUTE_PGM_RSRC2:TGID_X_EN: 1
; COMPUTE_PGM_RSRC2:TGID_Y_EN: 0
; COMPUTE_PGM_RSRC2:TGID_Z_EN: 1
; COMPUTE_PGM_RSRC2:TIDIG_COMP_CNT: 0
	.section	.text._ZL26rocblas_hemvn_kernel_lowerILb1ELi64ELi4ELi33ELi32ELi16ElPK19rocblas_complex_numIdES3_PS1_EviT6_lT7_lT5_lS6_lS7_lS5_lT8_i,"axG",@progbits,_ZL26rocblas_hemvn_kernel_lowerILb1ELi64ELi4ELi33ELi32ELi16ElPK19rocblas_complex_numIdES3_PS1_EviT6_lT7_lT5_lS6_lS7_lS5_lT8_i,comdat
	.globl	_ZL26rocblas_hemvn_kernel_lowerILb1ELi64ELi4ELi33ELi32ELi16ElPK19rocblas_complex_numIdES3_PS1_EviT6_lT7_lT5_lS6_lS7_lS5_lT8_i ; -- Begin function _ZL26rocblas_hemvn_kernel_lowerILb1ELi64ELi4ELi33ELi32ELi16ElPK19rocblas_complex_numIdES3_PS1_EviT6_lT7_lT5_lS6_lS7_lS5_lT8_i
	.p2align	8
	.type	_ZL26rocblas_hemvn_kernel_lowerILb1ELi64ELi4ELi33ELi32ELi16ElPK19rocblas_complex_numIdES3_PS1_EviT6_lT7_lT5_lS6_lS7_lS5_lT8_i,@function
_ZL26rocblas_hemvn_kernel_lowerILb1ELi64ELi4ELi33ELi32ELi16ElPK19rocblas_complex_numIdES3_PS1_EviT6_lT7_lT5_lS6_lS7_lS5_lT8_i: ; @_ZL26rocblas_hemvn_kernel_lowerILb1ELi64ELi4ELi33ELi32ELi16ElPK19rocblas_complex_numIdES3_PS1_EviT6_lT7_lT5_lS6_lS7_lS5_lT8_i
; %bb.0:
	s_clause 0x1
	s_load_b64 s[2:3], s[0:1], 0x84
	s_load_b32 s33, s[0:1], 0x70
	s_lshr_b32 s34, ttmp7, 16
	s_wait_kmcnt 0x0
	s_lshr_b32 s4, s2, 16
	s_and_b32 s2, s2, 0xffff
	s_and_b32 s3, s3, 0xffff
	s_mul_i32 s2, s4, s2
	s_delay_alu instid0(SALU_CYCLE_1) | instskip(NEXT) | instid1(SALU_CYCLE_1)
	s_mul_i32 s2, s2, s3
	s_cmp_lg_u32 s2, 0x100
	s_cselect_b32 s2, -1, 0
	s_cmp_ge_u32 s34, s33
	s_cselect_b32 s3, -1, 0
	s_delay_alu instid0(SALU_CYCLE_1) | instskip(NEXT) | instid1(SALU_CYCLE_1)
	s_or_b32 s2, s2, s3
	s_and_b32 vcc_lo, exec_lo, s2
	s_cbranch_vccnz .LBB24_138
; %bb.1:
	s_clause 0x2
	s_load_b32 s2, s[0:1], 0x0
	s_load_b512 s[36:51], s[0:1], 0x8
	s_load_b256 s[24:31], s[0:1], 0x48
	v_dual_mov_b32 v2, 0 :: v_dual_and_b32 v149, 0x3ff, v0
	s_lshl_b32 s22, ttmp9, 6
	s_add_nc_u64 s[4:5], s[0:1], 0x78
	v_bfe_u32 v13, v0, 10, 10
	s_delay_alu instid0(VALU_DEP_2)
	v_add_nc_u32_e32 v3, s22, v149
	s_load_b32 s52, s[4:5], 0x0
	s_load_b64 s[4:5], s[0:1], 0x68
	v_and_b32_e32 v1, 31, v0
	v_lshlrev_b32_e32 v14, 6, v13
	v_ashrrev_i32_e32 v4, 31, v3
	s_mov_b32 s53, 0
	v_lshlrev_b32_e32 v150, 4, v149
	v_lshlrev_b32_e32 v16, 4, v1
	v_add_nc_u32_e32 v15, v14, v149
	v_mul_u32_u24_e32 v22, 33, v1
	v_add_nc_u32_e32 v170, 0x4300, v14
	s_wait_kmcnt 0x0
	s_ashr_i32 s3, s2, 31
	s_lshl_b64 s[0:1], s[50:51], 4
	v_mul_lo_u32 v9, s24, v4
	v_mul_lo_u32 v10, s25, v3
	v_mad_co_u64_u32 v[5:6], null, s24, v3, 0
	s_lshr_b32 s6, s3, 26
	v_lshrrev_b32_e32 v12, 5, v15
	s_add_co_i32 s8, s2, s6
	s_add_co_i32 s9, s52, -1
	s_and_not1_b32 s8, s8, 63
	s_lshl_b64 s[6:7], s[42:43], 4
	v_add3_u32 v6, v6, v9, v10
	s_sub_co_i32 s8, s2, s8
	v_mad_co_u64_u32 v[7:8], null, s44, v12, v[1:2]
	s_cmp_eq_u32 ttmp9, s9
	v_lshlrev_b64_e32 v[5:6], 4, v[5:6]
	s_cselect_b32 s42, s8, 0
	s_add_nc_u64 s[0:1], s[48:49], s[0:1]
	s_cmp_eq_u32 s42, 0
	s_add_nc_u64 s[6:7], s[40:41], s[6:7]
	s_cselect_b32 s72, -1, 0
	s_cmp_lg_u32 s42, 0
	v_add_co_u32 v151, s0, s0, v5
	s_mul_u64 s[40:41], s[52:53], s[2:3]
	s_mul_i32 s2, s2, ttmp9
	v_mad_co_u64_u32 v[9:10], null, s45, v12, v[8:9]
	v_lshlrev_b32_e32 v11, 2, v12
	v_lshl_or_b32 v18, v1, 9, v16
	v_lshlrev_b32_e32 v19, 6, v12
	v_add_co_ci_u32_e64 v152, null, s1, v6, s0
	s_cselect_b32 s1, -1, 0
	s_ashr_i32 s3, s2, 31
	s_ashr_i32 s23, s22, 31
	s_lshl_b64 s[2:3], s[2:3], 4
	s_wait_alu 0xfffe
	s_lshl_b64 s[8:9], s[22:23], 4
	s_add_nc_u64 s[48:49], s[4:5], s[2:3]
	s_add_nc_u64 s[2:3], s[6:7], s[8:9]
	v_cmp_ge_u32_e64 s7, v11, v1
	v_or_b32_e32 v20, 1, v11
	v_cmp_eq_u32_e64 s8, v11, v1
	v_add_nc_u32_e32 v161, v18, v19
	v_or_b32_e32 v18, 2, v11
	v_or_b32_e32 v11, 3, v11
	v_mov_b32_e32 v8, v9
	v_add_nc_u32_e32 v10, 16, v12
	v_add_nc_u32_e32 v166, 0x4700, v19
	v_lshlrev_b32_e32 v19, 2, v13
	v_cmp_ge_u32_e64 s13, v11, v1
	v_cmp_eq_u32_e64 s14, v11, v1
	v_or_b32_e32 v11, 32, v1
	v_lshlrev_b64_e32 v[5:6], 4, v[7:8]
	s_sub_co_i32 s20, s42, 32
	v_cmp_le_i32_e32 vcc_lo, s42, v149
	v_cmp_le_i32_e64 s5, s42, v10
	v_cmp_gt_i32_e64 s16, s42, v11
	v_cmp_le_i32_e64 s19, s20, v10
	v_mad_co_u64_u32 v[10:11], null, s44, v19, 0
	v_add_nc_u32_e32 v8, 8, v12
	v_cmp_ge_u32_e64 s11, v18, v1
	v_cmp_eq_u32_e64 s12, v18, v1
	v_lshlrev_b32_e32 v18, 4, v12
	v_lshlrev_b32_e32 v164, 4, v22
	s_and_b32 s1, s1, vcc_lo
	v_add_co_u32 v5, vcc_lo, s2, v5
	s_mul_u64 s[60:61], s[44:45], s[22:23]
	v_add_co_ci_u32_e64 v6, null, s3, v6, vcc_lo
	s_lshl_b64 s[2:3], s[60:61], 4
	v_add_nc_u32_e32 v17, 24, v12
	v_cmp_le_i32_e64 s4, s42, v8
	v_add_nc_u32_e32 v167, v164, v18
	v_cmp_le_i32_e64 s18, s20, v8
	v_mov_b32_e32 v8, v11
	s_wait_alu 0xfffe
	v_add_co_u32 v155, vcc_lo, v5, s2
	s_wait_alu 0xfffd
	v_add_co_ci_u32_e64 v156, null, s3, v6, vcc_lo
	v_sub_co_u32 v5, s3, 0, v1
	v_mad_u32_u24 v154, 0x210, v12, v16
	s_wait_alu 0xf1ff
	v_sub_co_ci_u32_e64 v6, null, 0, 0, s3
	v_cmp_le_i32_e64 s3, s42, v12
	v_cmp_le_i32_e64 s6, s42, v17
	v_mul_u32_u24_e32 v21, 0x840, v12
	v_cmp_le_i32_e64 s17, s20, v12
	v_cmp_le_i32_e64 s20, s20, v17
	v_cmp_eq_u32_e64 s21, 1, v12
	v_mul_i32_i24_e32 v17, 0xffffffd0, v12
	v_mad_u32_u24 v168, v12, 48, v167
	v_mad_co_u64_u32 v[11:12], null, s45, v19, v[8:9]
	v_lshrrev_b32_e32 v12, 4, v15
	v_sub_co_u32 v7, vcc_lo, 0, v7
	v_and_b32_e32 v19, 15, v0
	s_wait_alu 0xfffd
	v_sub_co_ci_u32_e64 v8, null, 0, v9, vcc_lo
	v_and_b32_e32 v0, 48, v0
	v_lshlrev_b32_e32 v9, 6, v12
	v_cmp_ge_u32_e64 s9, v20, v1
	v_cmp_eq_u32_e64 s10, v20, v1
	v_mul_u32_u24_e32 v20, 0x210, v20
	v_lshlrev_b32_e32 v0, 4, v0
	v_or_b32_e32 v14, 0xf0, v150
	v_mad_u32_u24 v172, 0x430, v19, v9
	v_mul_i32_i24_e32 v9, 0xffffffd0, v12
	v_cmp_eq_u32_e64 s0, 0, v13
	s_mul_u64 s[22:23], s[24:25], s[22:23]
	s_lshl_b64 s[58:59], s[44:45], 5
	v_lshlrev_b64_e32 v[141:142], 4, v[5:6]
	v_lshlrev_b64_e32 v[143:144], 4, v[7:8]
	;; [unrolled: 1-line block ×4, first 2 shown]
	v_add_nc_u32_e32 v153, 0x4700, v150
	s_lshl_b64 s[50:51], s[44:45], 7
	v_add_nc_u32_e32 v157, 0x1080, v154
	s_lshl_b64 s[54:55], s[44:45], 8
	v_add_nc_u32_e32 v158, 0x2100, v154
	v_add_nc_u32_e32 v159, 0x3180, v154
	v_cmp_gt_i32_e64 s2, s42, v1
	s_ashr_i32 s43, s42, 31
	v_mad_u32_u24 v160, 0x210, v1, v16
	v_add_nc_u32_e32 v162, 16, v161
	v_add_nc_u32_e32 v163, 32, v161
	;; [unrolled: 1-line block ×3, first 2 shown]
	v_cmp_gt_u32_e64 s15, 32, v15
	s_xor_b32 s35, s1, -1
	s_wait_alu 0xfffe
	s_sub_nc_u64 s[66:67], 0, s[22:23]
	v_add_nc_u32_e32 v169, 0x4300, v150
	v_mad_u32_u24 v171, 0x10c0, v13, v150
	v_cmp_gt_u32_e64 s22, 64, v15
	v_mad_u32_u24 v173, 0x430, v19, v0
	v_mad_u32_u24 v174, 0x430, v19, v14
	;; [unrolled: 1-line block ×3, first 2 shown]
	v_add_nc_u32_e32 v176, 0x4700, v18
	v_add_nc_u32_e32 v177, v16, v21
	;; [unrolled: 1-line block ×5, first 2 shown]
	v_lshlrev_b32_e32 v181, 4, v1
	s_sub_nc_u64 s[64:65], 0, s[58:59]
	s_cmp_gt_i32 ttmp9, 0
	s_sub_nc_u64 s[68:69], 0, s[60:61]
	s_mul_u64 s[56:57], s[44:45], 0x180
	s_cselect_b32 s73, -1, 0
	s_and_b32 s74, s0, s35
	s_sub_nc_u64 s[60:61], 0, s[42:43]
	s_lshl_b64 s[62:63], s[44:45], 4
	s_mul_u64 s[44:45], s[44:45], 0xd0
	s_lshl_b64 s[64:65], s[64:65], 4
	s_lshl_b64 s[66:67], s[66:67], 4
	;; [unrolled: 1-line block ×3, first 2 shown]
	s_branch .LBB24_4
.LBB24_2:                               ;   in Loop: Header=BB24_4 Depth=1
	s_wait_alu 0xfffe
	s_or_b32 exec_lo, exec_lo, s23
.LBB24_3:                               ;   in Loop: Header=BB24_4 Depth=1
	s_add_co_i32 s34, s34, 0x10000
	s_delay_alu instid0(SALU_CYCLE_1)
	s_cmp_lt_u32 s34, s33
	s_cbranch_scc0 .LBB24_138
.LBB24_4:                               ; =>This Loop Header: Depth=1
                                        ;     Child Loop BB24_114 Depth 2
	s_mov_b32 s35, s53
	s_delay_alu instid0(SALU_CYCLE_1)
	s_mul_u64 s[70:71], s[38:39], s[34:35]
	s_wait_alu 0xfffe
	s_lshl_b64 s[70:71], s[70:71], 4
	s_wait_alu 0xfffe
	s_add_nc_u64 s[70:71], s[36:37], s[70:71]
	global_load_b128 v[3:6], v2, s[70:71]
	s_wait_loadcnt 0x0
	v_cmp_neq_f64_e32 vcc_lo, 0, v[3:4]
	v_cmp_neq_f64_e64 s23, 0, v[5:6]
	s_or_b32 s52, vcc_lo, s23
	s_mov_b32 s23, -1
	s_wait_alu 0xfffe
	s_and_b32 vcc_lo, exec_lo, s52
	s_wait_alu 0xfffe
	s_cbranch_vccnz .LBB24_6
; %bb.5:                                ;   in Loop: Header=BB24_4 Depth=1
	s_mul_u64 s[70:71], s[30:31], s[34:35]
	s_wait_alu 0xfffe
	s_lshl_b64 s[70:71], s[70:71], 4
	s_wait_alu 0xfffe
	s_add_nc_u64 s[70:71], s[28:29], s[70:71]
	global_load_b128 v[3:6], v2, s[70:71]
	s_wait_loadcnt 0x0
	v_cmp_neq_f64_e32 vcc_lo, 1.0, v[3:4]
	v_cmp_neq_f64_e64 s23, 0, v[5:6]
	s_or_b32 s23, vcc_lo, s23
.LBB24_6:                               ;   in Loop: Header=BB24_4 Depth=1
	s_wait_alu 0xfffe
	s_and_not1_b32 vcc_lo, exec_lo, s23
	s_wait_alu 0xfffe
	s_cbranch_vccnz .LBB24_3
; %bb.7:                                ;   in Loop: Header=BB24_4 Depth=1
	s_and_not1_b32 vcc_lo, exec_lo, s52
	s_wait_alu 0xfffe
	s_cbranch_vccnz .LBB24_3
; %bb.8:                                ;   in Loop: Header=BB24_4 Depth=1
	s_mul_u64 s[70:71], s[26:27], s[34:35]
	s_wait_alu 0xfffe
	s_lshl_b64 s[70:71], s[70:71], 4
	s_wait_alu 0xfffe
	v_add_co_u32 v41, vcc_lo, v151, s70
	s_wait_alu 0xfffd
	v_add_co_ci_u32_e64 v42, null, s71, v152, vcc_lo
	s_and_saveexec_b32 s23, s0
	s_cbranch_execz .LBB24_13
; %bb.9:                                ;   in Loop: Header=BB24_4 Depth=1
	s_and_saveexec_b32 s52, s1
	s_wait_alu 0xfffe
	s_xor_b32 s52, exec_lo, s52
; %bb.10:                               ;   in Loop: Header=BB24_4 Depth=1
	v_dual_mov_b32 v1, v2 :: v_dual_mov_b32 v4, v2
	v_mov_b32_e32 v3, v2
	ds_store_b128 v153, v[1:4]
; %bb.11:                               ;   in Loop: Header=BB24_4 Depth=1
	s_wait_alu 0xfffe
	s_and_not1_saveexec_b32 s52, s52
	s_cbranch_execz .LBB24_13
; %bb.12:                               ;   in Loop: Header=BB24_4 Depth=1
	global_load_b128 v[3:6], v[41:42], off
	s_wait_loadcnt 0x0
	ds_store_2addr_b64 v153, v[3:4], v[5:6] offset1:1
.LBB24_13:                              ;   in Loop: Header=BB24_4 Depth=1
	s_wait_alu 0xfffe
	s_or_b32 exec_lo, exec_lo, s23
	s_mul_u64 s[70:71], s[46:47], s[34:35]
	s_mov_b32 s23, -1
	s_wait_alu 0xfffe
	s_lshl_b64 s[70:71], s[70:71], 4
	s_wait_alu 0xfffe
	v_add_co_u32 v9, vcc_lo, v155, s70
	s_wait_alu 0xfffd
	v_add_co_ci_u32_e64 v10, null, s71, v156, vcc_lo
	s_and_not1_b32 vcc_lo, exec_lo, s72
	s_wait_alu 0xfffe
	s_cbranch_vccnz .LBB24_15
; %bb.14:                               ;   in Loop: Header=BB24_4 Depth=1
	v_add_co_u32 v0, vcc_lo, v9, s50
	s_wait_alu 0xfffd
	v_add_co_ci_u32_e64 v1, null, s51, v10, vcc_lo
	s_mov_b32 s23, 0
	v_add_co_u32 v7, vcc_lo, v0, s50
	s_wait_alu 0xfffd
	v_add_co_ci_u32_e64 v8, null, s51, v1, vcc_lo
	s_delay_alu instid0(VALU_DEP_2) | instskip(SKIP_1) | instid1(VALU_DEP_2)
	v_add_co_u32 v19, vcc_lo, v7, s50
	s_wait_alu 0xfffd
	v_add_co_ci_u32_e64 v20, null, s51, v8, vcc_lo
	s_clause 0x3
	global_load_b128 v[3:6], v[9:10], off
	global_load_b128 v[11:14], v[0:1], off
	;; [unrolled: 1-line block ×4, first 2 shown]
	s_wait_loadcnt 0x3
	ds_store_2addr_b64 v154, v[3:4], v[5:6] offset1:1
	s_wait_loadcnt 0x2
	ds_store_2addr_b64 v157, v[11:12], v[13:14] offset1:1
	;; [unrolled: 2-line block ×4, first 2 shown]
.LBB24_15:                              ;   in Loop: Header=BB24_4 Depth=1
	s_wait_alu 0xfffe
	s_and_not1_b32 vcc_lo, exec_lo, s23
	s_wait_alu 0xfffe
	s_cbranch_vccnz .LBB24_27
; %bb.16:                               ;   in Loop: Header=BB24_4 Depth=1
	s_and_saveexec_b32 s23, s3
	s_wait_alu 0xfffe
	s_xor_b32 s23, exec_lo, s23
; %bb.17:                               ;   in Loop: Header=BB24_4 Depth=1
	v_dual_mov_b32 v1, v2 :: v_dual_mov_b32 v4, v2
	v_mov_b32_e32 v3, v2
	ds_store_b128 v154, v[1:4]
; %bb.18:                               ;   in Loop: Header=BB24_4 Depth=1
	s_wait_alu 0xfffe
	s_or_saveexec_b32 s23, s23
	v_add_co_u32 v0, vcc_lo, v9, v141
	s_wait_alu 0xfffd
	v_add_co_ci_u32_e64 v1, null, v10, v142, vcc_lo
	s_lshl_b64 s[70:71], s[42:43], 4
	s_wait_alu 0xfffe
	v_add_co_u32 v0, vcc_lo, v0, s70
	s_wait_alu 0xfffd
	v_add_co_ci_u32_e64 v1, null, s71, v1, vcc_lo
	s_delay_alu instid0(VALU_DEP_2) | instskip(SKIP_1) | instid1(VALU_DEP_2)
	v_add_co_u32 v0, vcc_lo, v0, -16
	s_wait_alu 0xfffd
	v_add_co_ci_u32_e64 v1, null, -1, v1, vcc_lo
	s_delay_alu instid0(VALU_DEP_2) | instskip(NEXT) | instid1(VALU_DEP_2)
	v_cndmask_b32_e64 v5, v0, v9, s2
	v_cndmask_b32_e64 v6, v1, v10, s2
	s_xor_b32 exec_lo, exec_lo, s23
	s_cbranch_execnz .LBB24_120
; %bb.19:                               ;   in Loop: Header=BB24_4 Depth=1
	s_or_b32 exec_lo, exec_lo, s23
	s_and_saveexec_b32 s23, s4
	s_wait_alu 0xfffe
	s_xor_b32 s23, exec_lo, s23
	s_cbranch_execnz .LBB24_121
.LBB24_20:                              ;   in Loop: Header=BB24_4 Depth=1
	s_wait_alu 0xfffe
	s_and_not1_saveexec_b32 s23, s23
	s_cbranch_execnz .LBB24_122
.LBB24_21:                              ;   in Loop: Header=BB24_4 Depth=1
	s_wait_alu 0xfffe
	s_or_b32 exec_lo, exec_lo, s23
	s_and_saveexec_b32 s23, s5
	s_wait_alu 0xfffe
	s_xor_b32 s23, exec_lo, s23
	s_cbranch_execnz .LBB24_123
.LBB24_22:                              ;   in Loop: Header=BB24_4 Depth=1
	s_wait_alu 0xfffe
	s_and_not1_saveexec_b32 s23, s23
	s_cbranch_execnz .LBB24_124
.LBB24_23:                              ;   in Loop: Header=BB24_4 Depth=1
	s_wait_alu 0xfffe
	s_or_b32 exec_lo, exec_lo, s23
	s_and_saveexec_b32 s23, s6
	s_wait_alu 0xfffe
	s_xor_b32 s23, exec_lo, s23
	s_cbranch_execnz .LBB24_125
.LBB24_24:                              ;   in Loop: Header=BB24_4 Depth=1
	s_wait_alu 0xfffe
	s_and_not1_saveexec_b32 s23, s23
	s_cbranch_execz .LBB24_26
.LBB24_25:                              ;   in Loop: Header=BB24_4 Depth=1
	v_add_co_u32 v0, vcc_lo, v5, s56
	s_wait_alu 0xfffd
	v_add_co_ci_u32_e64 v1, null, s57, v6, vcc_lo
	global_load_b128 v[11:14], v[0:1], off
	s_wait_loadcnt 0x0
	ds_store_2addr_b64 v159, v[11:12], v[13:14] offset1:1
.LBB24_26:                              ;   in Loop: Header=BB24_4 Depth=1
	s_wait_alu 0xfffe
	s_or_b32 exec_lo, exec_lo, s23
	v_add_co_u32 v0, vcc_lo, v5, v181
	s_wait_alu 0xfffd
	v_add_co_ci_u32_e64 v1, null, 0, v6, vcc_lo
	s_lshl_b64 s[70:71], s[60:61], 4
	s_wait_alu 0xfffe
	v_add_co_u32 v0, vcc_lo, v0, s70
	s_wait_alu 0xfffd
	v_add_co_ci_u32_e64 v1, null, s71, v1, vcc_lo
	s_delay_alu instid0(VALU_DEP_2) | instskip(SKIP_1) | instid1(VALU_DEP_2)
	v_add_co_u32 v0, vcc_lo, v0, 16
	s_wait_alu 0xfffd
	v_add_co_ci_u32_e64 v1, null, 0, v1, vcc_lo
	s_delay_alu instid0(VALU_DEP_2) | instskip(NEXT) | instid1(VALU_DEP_2)
	v_cndmask_b32_e64 v9, v0, v9, s2
	v_cndmask_b32_e64 v10, v1, v10, s2
.LBB24_27:                              ;   in Loop: Header=BB24_4 Depth=1
	s_mov_b32 s23, 0
	s_wait_dscnt 0x0
	s_barrier_signal -1
	s_barrier_wait -1
	global_inv scope:SCOPE_SE
	s_and_saveexec_b32 s52, s7
	s_wait_alu 0xfffe
	s_xor_b32 s52, exec_lo, s52
; %bb.28:                               ;   in Loop: Header=BB24_4 Depth=1
	s_and_b32 s23, s8, exec_lo
; %bb.29:                               ;   in Loop: Header=BB24_4 Depth=1
	s_wait_alu 0xfffe
	s_or_saveexec_b32 s52, s52
	v_dual_mov_b32 v5, 0 :: v_dual_mov_b32 v0, v160
	v_mov_b32_e32 v6, 0
	s_wait_alu 0xfffe
	s_xor_b32 exec_lo, exec_lo, s52
	s_cbranch_execz .LBB24_31
; %bb.30:                               ;   in Loop: Header=BB24_4 Depth=1
	ds_load_b128 v[3:6], v177
	v_mov_b32_e32 v0, v161
	s_or_b32 s23, s23, exec_lo
	s_wait_dscnt 0x0
	v_xor_b32_e32 v6, 0x80000000, v6
	ds_store_b64 v161, v[3:4]
.LBB24_31:                              ;   in Loop: Header=BB24_4 Depth=1
	s_or_b32 exec_lo, exec_lo, s52
	s_wait_alu 0xfffe
	s_and_saveexec_b32 s52, s23
; %bb.32:                               ;   in Loop: Header=BB24_4 Depth=1
	ds_store_b64 v0, v[5:6] offset:8
; %bb.33:                               ;   in Loop: Header=BB24_4 Depth=1
	s_wait_alu 0xfffe
	s_or_b32 exec_lo, exec_lo, s52
	s_mov_b32 s23, 0
	s_and_saveexec_b32 s52, s9
	s_wait_alu 0xfffe
	s_xor_b32 s52, exec_lo, s52
; %bb.34:                               ;   in Loop: Header=BB24_4 Depth=1
	s_and_b32 s23, s10, exec_lo
; %bb.35:                               ;   in Loop: Header=BB24_4 Depth=1
	s_wait_alu 0xfffe
	s_or_saveexec_b32 s52, s52
	v_dual_mov_b32 v5, 0 :: v_dual_mov_b32 v0, v160
	v_mov_b32_e32 v6, 0
	s_wait_alu 0xfffe
	s_xor_b32 exec_lo, exec_lo, s52
	s_cbranch_execz .LBB24_37
; %bb.36:                               ;   in Loop: Header=BB24_4 Depth=1
	ds_load_b128 v[3:6], v178
	v_mov_b32_e32 v0, v162
	s_or_b32 s23, s23, exec_lo
	s_wait_dscnt 0x0
	v_xor_b32_e32 v6, 0x80000000, v6
	ds_store_b64 v162, v[3:4]
.LBB24_37:                              ;   in Loop: Header=BB24_4 Depth=1
	s_or_b32 exec_lo, exec_lo, s52
	s_wait_alu 0xfffe
	s_and_saveexec_b32 s52, s23
; %bb.38:                               ;   in Loop: Header=BB24_4 Depth=1
	ds_store_b64 v0, v[5:6] offset:8
; %bb.39:                               ;   in Loop: Header=BB24_4 Depth=1
	s_wait_alu 0xfffe
	s_or_b32 exec_lo, exec_lo, s52
	s_mov_b32 s23, 0
	s_and_saveexec_b32 s52, s11
	s_wait_alu 0xfffe
	s_xor_b32 s52, exec_lo, s52
; %bb.40:                               ;   in Loop: Header=BB24_4 Depth=1
	s_and_b32 s23, s12, exec_lo
; %bb.41:                               ;   in Loop: Header=BB24_4 Depth=1
	s_wait_alu 0xfffe
	s_or_saveexec_b32 s52, s52
	v_dual_mov_b32 v5, 0 :: v_dual_mov_b32 v0, v160
	v_mov_b32_e32 v6, 0
	s_wait_alu 0xfffe
	s_xor_b32 exec_lo, exec_lo, s52
	s_cbranch_execz .LBB24_43
; %bb.42:                               ;   in Loop: Header=BB24_4 Depth=1
	ds_load_b128 v[3:6], v178 offset:528
	v_mov_b32_e32 v0, v163
	s_or_b32 s23, s23, exec_lo
	s_wait_dscnt 0x0
	v_xor_b32_e32 v6, 0x80000000, v6
	ds_store_b64 v163, v[3:4]
.LBB24_43:                              ;   in Loop: Header=BB24_4 Depth=1
	s_or_b32 exec_lo, exec_lo, s52
	s_wait_alu 0xfffe
	s_and_saveexec_b32 s52, s23
; %bb.44:                               ;   in Loop: Header=BB24_4 Depth=1
	ds_store_b64 v0, v[5:6] offset:8
; %bb.45:                               ;   in Loop: Header=BB24_4 Depth=1
	s_wait_alu 0xfffe
	s_or_b32 exec_lo, exec_lo, s52
	s_mov_b32 s23, 0
	s_and_saveexec_b32 s52, s13
	s_wait_alu 0xfffe
	s_xor_b32 s52, exec_lo, s52
; %bb.46:                               ;   in Loop: Header=BB24_4 Depth=1
	s_and_b32 s23, s14, exec_lo
; %bb.47:                               ;   in Loop: Header=BB24_4 Depth=1
	s_wait_alu 0xfffe
	s_or_saveexec_b32 s52, s52
	v_dual_mov_b32 v5, 0 :: v_dual_mov_b32 v0, v160
	v_mov_b32_e32 v6, 0
	s_wait_alu 0xfffe
	s_xor_b32 exec_lo, exec_lo, s52
	s_cbranch_execz .LBB24_49
; %bb.48:                               ;   in Loop: Header=BB24_4 Depth=1
	ds_load_b128 v[3:6], v178 offset:1056
	v_mov_b32_e32 v0, v165
	s_or_b32 s23, s23, exec_lo
	s_wait_dscnt 0x0
	v_xor_b32_e32 v6, 0x80000000, v6
	ds_store_b64 v165, v[3:4]
.LBB24_49:                              ;   in Loop: Header=BB24_4 Depth=1
	s_or_b32 exec_lo, exec_lo, s52
	s_wait_alu 0xfffe
	s_and_saveexec_b32 s52, s23
; %bb.50:                               ;   in Loop: Header=BB24_4 Depth=1
	ds_store_b64 v0, v[5:6] offset:8
; %bb.51:                               ;   in Loop: Header=BB24_4 Depth=1
	s_wait_alu 0xfffe
	s_or_b32 exec_lo, exec_lo, s52
	s_wait_loadcnt_dscnt 0x0
	s_barrier_signal -1
	s_barrier_wait -1
	global_inv scope:SCOPE_SE
	ds_load_b128 v[3:6], v177
	ds_load_b128 v[11:14], v166
	ds_load_b128 v[15:18], v166 offset:16
	ds_load_b128 v[19:22], v178
	s_wait_dscnt 0x2
	v_mul_f64_e32 v[0:1], v[13:14], v[5:6]
	v_mul_f64_e32 v[5:6], v[11:12], v[5:6]
	s_wait_dscnt 0x0
	v_mul_f64_e32 v[7:8], v[17:18], v[21:22]
	v_mul_f64_e32 v[29:30], v[15:16], v[21:22]
	s_delay_alu instid0(VALU_DEP_4) | instskip(NEXT) | instid1(VALU_DEP_4)
	v_fma_f64 v[0:1], v[11:12], v[3:4], -v[0:1]
	v_fma_f64 v[31:32], v[13:14], v[3:4], v[5:6]
	ds_load_b128 v[3:6], v178 offset:528
	ds_load_b128 v[11:14], v166 offset:32
	;; [unrolled: 1-line block ×4, first 2 shown]
	v_fma_f64 v[7:8], v[15:16], v[19:20], -v[7:8]
	v_fma_f64 v[15:16], v[17:18], v[19:20], v[29:30]
	s_wait_loadcnt_dscnt 0x0
	s_barrier_signal -1
	s_barrier_wait -1
	global_inv scope:SCOPE_SE
	v_mul_f64_e32 v[33:34], v[13:14], v[5:6]
	v_mul_f64_e32 v[5:6], v[11:12], v[5:6]
	;; [unrolled: 1-line block ×4, first 2 shown]
	v_add_f64_e32 v[0:1], 0, v[0:1]
	v_add_f64_e32 v[17:18], 0, v[31:32]
	v_fma_f64 v[11:12], v[11:12], v[3:4], -v[33:34]
	v_fma_f64 v[3:4], v[13:14], v[3:4], v[5:6]
	v_fma_f64 v[13:14], v[23:24], v[25:26], v[27:28]
	v_add_f64_e32 v[0:1], v[0:1], v[7:8]
	v_add_f64_e32 v[5:6], v[17:18], v[15:16]
	v_fma_f64 v[7:8], v[21:22], v[25:26], -v[19:20]
	s_delay_alu instid0(VALU_DEP_3) | instskip(NEXT) | instid1(VALU_DEP_3)
	v_add_f64_e32 v[0:1], v[0:1], v[11:12]
	v_add_f64_e32 v[3:4], v[5:6], v[3:4]
	v_mov_b32_e32 v5, 0
	v_mov_b32_e32 v6, 0
	s_delay_alu instid0(VALU_DEP_4) | instskip(NEXT) | instid1(VALU_DEP_4)
	v_add_f64_e32 v[11:12], v[0:1], v[7:8]
	v_add_f64_e32 v[13:14], v[3:4], v[13:14]
	v_mov_b32_e32 v7, 0
	v_mov_b32_e32 v8, 0
	ds_store_b128 v167, v[11:14]
	s_wait_loadcnt_dscnt 0x0
	s_barrier_signal -1
	s_barrier_wait -1
	global_inv scope:SCOPE_SE
	s_and_saveexec_b32 s23, s15
	s_cbranch_execz .LBB24_53
; %bb.52:                               ;   in Loop: Header=BB24_4 Depth=1
	ds_load_b128 v[3:6], v164
	ds_load_b128 v[11:14], v164 offset:16
	s_wait_dscnt 0x0
	v_add_f64_e32 v[0:1], v[11:12], v[3:4]
	v_add_f64_e32 v[7:8], v[13:14], v[5:6]
	ds_load_b128 v[3:6], v164 offset:32
	ds_load_b128 v[11:14], v164 offset:48
	s_wait_dscnt 0x1
	v_add_f64_e32 v[0:1], v[0:1], v[3:4]
	v_add_f64_e32 v[3:4], v[7:8], v[5:6]
	s_wait_dscnt 0x0
	s_delay_alu instid0(VALU_DEP_2) | instskip(NEXT) | instid1(VALU_DEP_2)
	v_add_f64_e32 v[0:1], v[0:1], v[11:12]
	v_add_f64_e32 v[7:8], v[3:4], v[13:14]
	ds_load_b128 v[3:6], v164 offset:64
	ds_load_b128 v[11:14], v164 offset:80
	s_wait_dscnt 0x1
	v_add_f64_e32 v[0:1], v[0:1], v[3:4]
	v_add_f64_e32 v[3:4], v[7:8], v[5:6]
	s_wait_dscnt 0x0
	s_delay_alu instid0(VALU_DEP_2) | instskip(NEXT) | instid1(VALU_DEP_2)
	;; [unrolled: 9-line block ×3, first 2 shown]
	v_add_f64_e32 v[5:6], v[0:1], v[11:12]
	v_add_f64_e32 v[7:8], v[3:4], v[13:14]
.LBB24_53:                              ;   in Loop: Header=BB24_4 Depth=1
	s_wait_alu 0xfffe
	s_or_b32 exec_lo, exec_lo, s23
	s_lshl_b64 s[70:71], s[58:59], 4
	s_mov_b32 s23, -1
	s_wait_alu 0xfffe
	v_add_co_u32 v0, vcc_lo, v9, s70
	s_wait_alu 0xfffd
	v_add_co_ci_u32_e64 v9, null, s71, v10, vcc_lo
	s_wait_loadcnt 0x0
	s_delay_alu instid0(VALU_DEP_2) | instskip(SKIP_1) | instid1(VALU_DEP_2)
	v_add_co_u32 v13, vcc_lo, 0x200, v0
	s_wait_alu 0xfffd
	v_add_co_ci_u32_e64 v14, null, 0, v9, vcc_lo
	s_and_not1_b32 vcc_lo, exec_lo, s72
	s_barrier_signal -1
	s_barrier_wait -1
	global_inv scope:SCOPE_SE
	s_wait_alu 0xfffe
	s_cbranch_vccnz .LBB24_55
; %bb.54:                               ;   in Loop: Header=BB24_4 Depth=1
	v_add_co_u32 v3, vcc_lo, v0, s50
	s_wait_alu 0xfffd
	v_add_co_ci_u32_e64 v4, null, s51, v9, vcc_lo
	s_mov_b32 s23, 0
	v_add_co_u32 v10, vcc_lo, v3, s50
	s_wait_alu 0xfffd
	v_add_co_ci_u32_e64 v11, null, s51, v4, vcc_lo
	s_delay_alu instid0(VALU_DEP_2) | instskip(SKIP_1) | instid1(VALU_DEP_2)
	v_add_co_u32 v27, vcc_lo, v10, s50
	s_wait_alu 0xfffd
	v_add_co_ci_u32_e64 v28, null, s51, v11, vcc_lo
	s_clause 0x3
	global_load_b128 v[15:18], v[13:14], off
	global_load_b128 v[19:22], v[3:4], off offset:512
	global_load_b128 v[23:26], v[10:11], off offset:512
	;; [unrolled: 1-line block ×3, first 2 shown]
	s_wait_loadcnt 0x3
	ds_store_2addr_b64 v154, v[15:16], v[17:18] offset1:1
	s_wait_loadcnt 0x2
	ds_store_2addr_b64 v157, v[19:20], v[21:22] offset1:1
	;; [unrolled: 2-line block ×4, first 2 shown]
.LBB24_55:                              ;   in Loop: Header=BB24_4 Depth=1
	s_wait_alu 0xfffe
	s_and_not1_b32 vcc_lo, exec_lo, s23
	s_wait_alu 0xfffe
	s_cbranch_vccnz .LBB24_67
; %bb.56:                               ;   in Loop: Header=BB24_4 Depth=1
	s_and_saveexec_b32 s23, s17
	s_wait_alu 0xfffe
	s_xor_b32 s23, exec_lo, s23
; %bb.57:                               ;   in Loop: Header=BB24_4 Depth=1
	v_dual_mov_b32 v1, v2 :: v_dual_mov_b32 v4, v2
	v_mov_b32_e32 v3, v2
	ds_store_b128 v154, v[1:4]
; %bb.58:                               ;   in Loop: Header=BB24_4 Depth=1
	s_wait_alu 0xfffe
	s_or_saveexec_b32 s23, s23
	v_add_co_u32 v0, vcc_lo, v0, v141
	s_wait_alu 0xfffd
	v_add_co_ci_u32_e64 v1, null, v9, v142, vcc_lo
	s_lshl_b64 s[70:71], s[42:43], 4
	s_wait_alu 0xfffe
	v_add_co_u32 v0, vcc_lo, v0, s70
	s_wait_alu 0xfffd
	v_add_co_ci_u32_e64 v1, null, s71, v1, vcc_lo
	s_delay_alu instid0(VALU_DEP_2) | instskip(SKIP_1) | instid1(VALU_DEP_2)
	v_add_co_u32 v0, vcc_lo, v0, -16
	s_wait_alu 0xfffd
	v_add_co_ci_u32_e64 v1, null, -1, v1, vcc_lo
	s_delay_alu instid0(VALU_DEP_2) | instskip(NEXT) | instid1(VALU_DEP_2)
	v_cndmask_b32_e64 v9, v0, v13, s16
	v_cndmask_b32_e64 v10, v1, v14, s16
	s_xor_b32 exec_lo, exec_lo, s23
	s_cbranch_execnz .LBB24_126
; %bb.59:                               ;   in Loop: Header=BB24_4 Depth=1
	s_or_b32 exec_lo, exec_lo, s23
	s_and_saveexec_b32 s23, s18
	s_wait_alu 0xfffe
	s_xor_b32 s23, exec_lo, s23
	s_cbranch_execnz .LBB24_127
.LBB24_60:                              ;   in Loop: Header=BB24_4 Depth=1
	s_wait_alu 0xfffe
	s_and_not1_saveexec_b32 s23, s23
	s_cbranch_execnz .LBB24_128
.LBB24_61:                              ;   in Loop: Header=BB24_4 Depth=1
	s_wait_alu 0xfffe
	s_or_b32 exec_lo, exec_lo, s23
	s_and_saveexec_b32 s23, s19
	s_wait_alu 0xfffe
	s_xor_b32 s23, exec_lo, s23
	s_cbranch_execnz .LBB24_129
.LBB24_62:                              ;   in Loop: Header=BB24_4 Depth=1
	s_wait_alu 0xfffe
	s_and_not1_saveexec_b32 s23, s23
	s_cbranch_execnz .LBB24_130
.LBB24_63:                              ;   in Loop: Header=BB24_4 Depth=1
	s_wait_alu 0xfffe
	s_or_b32 exec_lo, exec_lo, s23
	s_and_saveexec_b32 s23, s20
	s_wait_alu 0xfffe
	s_xor_b32 s23, exec_lo, s23
	s_cbranch_execnz .LBB24_131
.LBB24_64:                              ;   in Loop: Header=BB24_4 Depth=1
	s_wait_alu 0xfffe
	s_and_not1_saveexec_b32 s23, s23
	s_cbranch_execz .LBB24_66
.LBB24_65:                              ;   in Loop: Header=BB24_4 Depth=1
	v_add_co_u32 v0, vcc_lo, v9, s56
	s_wait_alu 0xfffd
	v_add_co_ci_u32_e64 v1, null, s57, v10, vcc_lo
	global_load_b128 v[15:18], v[0:1], off
	s_wait_loadcnt 0x0
	ds_store_2addr_b64 v159, v[15:16], v[17:18] offset1:1
.LBB24_66:                              ;   in Loop: Header=BB24_4 Depth=1
	s_wait_alu 0xfffe
	s_or_b32 exec_lo, exec_lo, s23
	v_add_co_u32 v0, vcc_lo, v9, v181
	s_wait_alu 0xfffd
	v_add_co_ci_u32_e64 v1, null, 0, v10, vcc_lo
	s_lshl_b64 s[70:71], s[60:61], 4
	s_wait_alu 0xfffe
	v_add_co_u32 v0, vcc_lo, v0, s70
	s_wait_alu 0xfffd
	v_add_co_ci_u32_e64 v1, null, s71, v1, vcc_lo
	s_delay_alu instid0(VALU_DEP_2) | instskip(SKIP_1) | instid1(VALU_DEP_2)
	v_add_co_u32 v0, vcc_lo, 0x210, v0
	s_wait_alu 0xfffd
	v_add_co_ci_u32_e64 v1, null, 0, v1, vcc_lo
	s_delay_alu instid0(VALU_DEP_2) | instskip(NEXT) | instid1(VALU_DEP_2)
	v_cndmask_b32_e64 v13, v0, v13, s16
	v_cndmask_b32_e64 v14, v1, v14, s16
.LBB24_67:                              ;   in Loop: Header=BB24_4 Depth=1
	s_mov_b32 s23, 0
	s_wait_loadcnt_dscnt 0x0
	s_barrier_signal -1
	s_barrier_wait -1
	global_inv scope:SCOPE_SE
	s_and_saveexec_b32 s52, s7
	s_wait_alu 0xfffe
	s_xor_b32 s52, exec_lo, s52
; %bb.68:                               ;   in Loop: Header=BB24_4 Depth=1
	s_and_b32 s23, s8, exec_lo
; %bb.69:                               ;   in Loop: Header=BB24_4 Depth=1
	s_wait_alu 0xfffe
	s_or_saveexec_b32 s52, s52
	v_dual_mov_b32 v11, 0 :: v_dual_mov_b32 v0, v160
	v_mov_b32_e32 v12, 0
	s_wait_alu 0xfffe
	s_xor_b32 exec_lo, exec_lo, s52
	s_cbranch_execz .LBB24_71
; %bb.70:                               ;   in Loop: Header=BB24_4 Depth=1
	ds_load_b128 v[9:12], v177
	v_mov_b32_e32 v0, v161
	s_or_b32 s23, s23, exec_lo
	s_wait_dscnt 0x0
	v_xor_b32_e32 v12, 0x80000000, v12
	ds_store_b64 v161, v[9:10]
.LBB24_71:                              ;   in Loop: Header=BB24_4 Depth=1
	s_or_b32 exec_lo, exec_lo, s52
	s_wait_alu 0xfffe
	s_and_saveexec_b32 s52, s23
; %bb.72:                               ;   in Loop: Header=BB24_4 Depth=1
	ds_store_b64 v0, v[11:12] offset:8
; %bb.73:                               ;   in Loop: Header=BB24_4 Depth=1
	s_wait_alu 0xfffe
	s_or_b32 exec_lo, exec_lo, s52
	s_mov_b32 s23, 0
	s_and_saveexec_b32 s52, s9
	s_wait_alu 0xfffe
	s_xor_b32 s52, exec_lo, s52
; %bb.74:                               ;   in Loop: Header=BB24_4 Depth=1
	s_and_b32 s23, s10, exec_lo
; %bb.75:                               ;   in Loop: Header=BB24_4 Depth=1
	s_wait_alu 0xfffe
	s_or_saveexec_b32 s52, s52
	v_dual_mov_b32 v11, 0 :: v_dual_mov_b32 v0, v160
	v_mov_b32_e32 v12, 0
	s_wait_alu 0xfffe
	s_xor_b32 exec_lo, exec_lo, s52
	s_cbranch_execz .LBB24_77
; %bb.76:                               ;   in Loop: Header=BB24_4 Depth=1
	ds_load_b128 v[9:12], v178
	v_mov_b32_e32 v0, v162
	s_or_b32 s23, s23, exec_lo
	s_wait_dscnt 0x0
	v_xor_b32_e32 v12, 0x80000000, v12
	ds_store_b64 v162, v[9:10]
.LBB24_77:                              ;   in Loop: Header=BB24_4 Depth=1
	s_or_b32 exec_lo, exec_lo, s52
	s_wait_alu 0xfffe
	s_and_saveexec_b32 s52, s23
; %bb.78:                               ;   in Loop: Header=BB24_4 Depth=1
	ds_store_b64 v0, v[11:12] offset:8
; %bb.79:                               ;   in Loop: Header=BB24_4 Depth=1
	s_wait_alu 0xfffe
	s_or_b32 exec_lo, exec_lo, s52
	s_mov_b32 s23, 0
	s_and_saveexec_b32 s52, s11
	s_wait_alu 0xfffe
	s_xor_b32 s52, exec_lo, s52
; %bb.80:                               ;   in Loop: Header=BB24_4 Depth=1
	s_and_b32 s23, s12, exec_lo
; %bb.81:                               ;   in Loop: Header=BB24_4 Depth=1
	s_wait_alu 0xfffe
	s_or_saveexec_b32 s52, s52
	v_dual_mov_b32 v11, 0 :: v_dual_mov_b32 v0, v160
	v_mov_b32_e32 v12, 0
	s_wait_alu 0xfffe
	s_xor_b32 exec_lo, exec_lo, s52
	s_cbranch_execz .LBB24_83
; %bb.82:                               ;   in Loop: Header=BB24_4 Depth=1
	ds_load_b128 v[9:12], v178 offset:528
	v_mov_b32_e32 v0, v163
	s_or_b32 s23, s23, exec_lo
	s_wait_dscnt 0x0
	v_xor_b32_e32 v12, 0x80000000, v12
	ds_store_b64 v163, v[9:10]
.LBB24_83:                              ;   in Loop: Header=BB24_4 Depth=1
	s_or_b32 exec_lo, exec_lo, s52
	s_wait_alu 0xfffe
	s_and_saveexec_b32 s52, s23
; %bb.84:                               ;   in Loop: Header=BB24_4 Depth=1
	ds_store_b64 v0, v[11:12] offset:8
; %bb.85:                               ;   in Loop: Header=BB24_4 Depth=1
	s_wait_alu 0xfffe
	s_or_b32 exec_lo, exec_lo, s52
	s_mov_b32 s23, 0
	s_and_saveexec_b32 s52, s13
	s_wait_alu 0xfffe
	s_xor_b32 s52, exec_lo, s52
; %bb.86:                               ;   in Loop: Header=BB24_4 Depth=1
	s_and_b32 s23, s14, exec_lo
; %bb.87:                               ;   in Loop: Header=BB24_4 Depth=1
	s_wait_alu 0xfffe
	s_or_saveexec_b32 s52, s52
	v_dual_mov_b32 v11, 0 :: v_dual_mov_b32 v0, v160
	v_mov_b32_e32 v12, 0
	s_wait_alu 0xfffe
	s_xor_b32 exec_lo, exec_lo, s52
	s_cbranch_execz .LBB24_89
; %bb.88:                               ;   in Loop: Header=BB24_4 Depth=1
	ds_load_b128 v[9:12], v178 offset:1056
	v_mov_b32_e32 v0, v165
	s_or_b32 s23, s23, exec_lo
	s_wait_dscnt 0x0
	v_xor_b32_e32 v12, 0x80000000, v12
	ds_store_b64 v165, v[9:10]
.LBB24_89:                              ;   in Loop: Header=BB24_4 Depth=1
	s_or_b32 exec_lo, exec_lo, s52
	s_wait_alu 0xfffe
	s_and_saveexec_b32 s52, s23
; %bb.90:                               ;   in Loop: Header=BB24_4 Depth=1
	ds_store_b64 v0, v[11:12] offset:8
; %bb.91:                               ;   in Loop: Header=BB24_4 Depth=1
	s_wait_alu 0xfffe
	s_or_b32 exec_lo, exec_lo, s52
	s_wait_loadcnt_dscnt 0x0
	s_barrier_signal -1
	s_barrier_wait -1
	global_inv scope:SCOPE_SE
	ds_load_b128 v[9:12], v177
	ds_load_b128 v[15:18], v166 offset:512
	ds_load_b128 v[19:22], v166 offset:528
	ds_load_b128 v[23:26], v178
	s_wait_dscnt 0x2
	v_mul_f64_e32 v[0:1], v[17:18], v[11:12]
	v_mul_f64_e32 v[3:4], v[15:16], v[11:12]
	s_wait_dscnt 0x0
	v_mul_f64_e32 v[33:34], v[21:22], v[25:26]
	v_mul_f64_e32 v[35:36], v[19:20], v[25:26]
	s_delay_alu instid0(VALU_DEP_4) | instskip(NEXT) | instid1(VALU_DEP_4)
	v_fma_f64 v[0:1], v[15:16], v[9:10], -v[0:1]
	v_fma_f64 v[3:4], v[17:18], v[9:10], v[3:4]
	ds_load_b128 v[9:12], v178 offset:528
	ds_load_b128 v[15:18], v166 offset:544
	;; [unrolled: 1-line block ×4, first 2 shown]
	v_fma_f64 v[19:20], v[19:20], v[23:24], -v[33:34]
	v_fma_f64 v[21:22], v[21:22], v[23:24], v[35:36]
	s_wait_loadcnt_dscnt 0x0
	s_barrier_signal -1
	s_barrier_wait -1
	global_inv scope:SCOPE_SE
	v_mul_f64_e32 v[37:38], v[17:18], v[11:12]
	v_mul_f64_e32 v[11:12], v[15:16], v[11:12]
	;; [unrolled: 1-line block ×4, first 2 shown]
	v_add_f64_e32 v[0:1], 0, v[0:1]
	v_add_f64_e32 v[3:4], 0, v[3:4]
	v_fma_f64 v[15:16], v[15:16], v[9:10], -v[37:38]
	v_fma_f64 v[9:10], v[17:18], v[9:10], v[11:12]
	v_fma_f64 v[11:12], v[25:26], v[29:30], -v[23:24]
	v_fma_f64 v[17:18], v[27:28], v[29:30], v[31:32]
	v_add_f64_e32 v[0:1], v[0:1], v[19:20]
	v_add_f64_e32 v[3:4], v[3:4], v[21:22]
	s_delay_alu instid0(VALU_DEP_2) | instskip(NEXT) | instid1(VALU_DEP_2)
	v_add_f64_e32 v[0:1], v[0:1], v[15:16]
	v_add_f64_e32 v[3:4], v[3:4], v[9:10]
	s_delay_alu instid0(VALU_DEP_2) | instskip(NEXT) | instid1(VALU_DEP_2)
	v_add_f64_e32 v[9:10], v[0:1], v[11:12]
	v_add_f64_e32 v[11:12], v[3:4], v[17:18]
	ds_store_b128 v167, v[9:12]
	s_wait_loadcnt_dscnt 0x0
	s_barrier_signal -1
	s_barrier_wait -1
	global_inv scope:SCOPE_SE
	s_and_saveexec_b32 s23, s21
	s_cbranch_execz .LBB24_93
; %bb.92:                               ;   in Loop: Header=BB24_4 Depth=1
	ds_load_b128 v[3:6], v164
	ds_load_b128 v[7:10], v164 offset:16
	s_wait_dscnt 0x0
	v_add_f64_e32 v[0:1], v[7:8], v[3:4]
	v_add_f64_e32 v[11:12], v[9:10], v[5:6]
	ds_load_b128 v[3:6], v164 offset:32
	ds_load_b128 v[7:10], v164 offset:48
	s_wait_dscnt 0x1
	v_add_f64_e32 v[0:1], v[0:1], v[3:4]
	v_add_f64_e32 v[3:4], v[11:12], v[5:6]
	s_wait_dscnt 0x0
	s_delay_alu instid0(VALU_DEP_2) | instskip(NEXT) | instid1(VALU_DEP_2)
	v_add_f64_e32 v[0:1], v[0:1], v[7:8]
	v_add_f64_e32 v[11:12], v[3:4], v[9:10]
	ds_load_b128 v[3:6], v164 offset:64
	ds_load_b128 v[7:10], v164 offset:80
	s_wait_dscnt 0x1
	v_add_f64_e32 v[0:1], v[0:1], v[3:4]
	v_add_f64_e32 v[3:4], v[11:12], v[5:6]
	s_wait_dscnt 0x0
	s_delay_alu instid0(VALU_DEP_2) | instskip(NEXT) | instid1(VALU_DEP_2)
	;; [unrolled: 9-line block ×3, first 2 shown]
	v_add_f64_e32 v[5:6], v[0:1], v[7:8]
	v_add_f64_e32 v[7:8], v[3:4], v[9:10]
.LBB24_93:                              ;   in Loop: Header=BB24_4 Depth=1
	s_wait_alu 0xfffe
	s_or_b32 exec_lo, exec_lo, s23
	v_add_co_u32 v43, vcc_lo, v13, s64
	s_wait_alu 0xfffd
	v_add_co_ci_u32_e64 v44, null, s65, v14, vcc_lo
	s_and_not1_b32 vcc_lo, exec_lo, s72
	s_mov_b32 s23, -1
	s_wait_loadcnt 0x0
	s_barrier_signal -1
	s_barrier_wait -1
	global_inv scope:SCOPE_SE
	s_wait_alu 0xfffe
	s_cbranch_vccnz .LBB24_95
; %bb.94:                               ;   in Loop: Header=BB24_4 Depth=1
	v_add_co_u32 v0, vcc_lo, v43, s50
	s_wait_alu 0xfffd
	v_add_co_ci_u32_e64 v1, null, s51, v44, vcc_lo
	s_mov_b32 s23, 0
	v_add_co_u32 v3, vcc_lo, v0, s50
	s_wait_alu 0xfffd
	v_add_co_ci_u32_e64 v4, null, s51, v1, vcc_lo
	s_delay_alu instid0(VALU_DEP_2) | instskip(SKIP_1) | instid1(VALU_DEP_2)
	v_add_co_u32 v21, vcc_lo, v3, s50
	s_wait_alu 0xfffd
	v_add_co_ci_u32_e64 v22, null, s51, v4, vcc_lo
	s_clause 0x3
	global_load_b128 v[9:12], v[43:44], off
	global_load_b128 v[13:16], v[0:1], off
	;; [unrolled: 1-line block ×4, first 2 shown]
	s_wait_loadcnt 0x3
	ds_store_2addr_b64 v154, v[9:10], v[11:12] offset1:1
	s_wait_loadcnt 0x2
	ds_store_2addr_b64 v157, v[13:14], v[15:16] offset1:1
	;; [unrolled: 2-line block ×4, first 2 shown]
.LBB24_95:                              ;   in Loop: Header=BB24_4 Depth=1
	s_wait_alu 0xfffe
	s_and_not1_b32 vcc_lo, exec_lo, s23
	s_wait_alu 0xfffe
	s_cbranch_vccnz .LBB24_107
; %bb.96:                               ;   in Loop: Header=BB24_4 Depth=1
	s_and_saveexec_b32 s23, s3
	s_wait_alu 0xfffe
	s_xor_b32 s23, exec_lo, s23
; %bb.97:                               ;   in Loop: Header=BB24_4 Depth=1
	v_dual_mov_b32 v1, v2 :: v_dual_mov_b32 v4, v2
	v_mov_b32_e32 v3, v2
	ds_store_b128 v154, v[1:4]
; %bb.98:                               ;   in Loop: Header=BB24_4 Depth=1
	s_wait_alu 0xfffe
	s_or_saveexec_b32 s23, s23
	v_add_co_u32 v0, vcc_lo, v43, v141
	s_wait_alu 0xfffd
	v_add_co_ci_u32_e64 v1, null, v44, v142, vcc_lo
	s_lshl_b64 s[70:71], s[42:43], 4
	s_wait_alu 0xfffe
	v_add_co_u32 v0, vcc_lo, v0, s70
	s_wait_alu 0xfffd
	v_add_co_ci_u32_e64 v1, null, s71, v1, vcc_lo
	s_delay_alu instid0(VALU_DEP_2) | instskip(SKIP_1) | instid1(VALU_DEP_2)
	v_add_co_u32 v0, vcc_lo, 0xfffffdf0, v0
	s_wait_alu 0xfffd
	v_add_co_ci_u32_e64 v1, null, -1, v1, vcc_lo
	s_delay_alu instid0(VALU_DEP_2) | instskip(NEXT) | instid1(VALU_DEP_2)
	v_cndmask_b32_e64 v9, v0, v43, s16
	v_cndmask_b32_e64 v10, v1, v44, s16
	s_xor_b32 exec_lo, exec_lo, s23
	s_cbranch_execnz .LBB24_132
; %bb.99:                               ;   in Loop: Header=BB24_4 Depth=1
	s_or_b32 exec_lo, exec_lo, s23
	s_and_saveexec_b32 s23, s4
	s_wait_alu 0xfffe
	s_xor_b32 s23, exec_lo, s23
	s_cbranch_execnz .LBB24_133
.LBB24_100:                             ;   in Loop: Header=BB24_4 Depth=1
	s_wait_alu 0xfffe
	s_and_not1_saveexec_b32 s23, s23
	s_cbranch_execnz .LBB24_134
.LBB24_101:                             ;   in Loop: Header=BB24_4 Depth=1
	s_wait_alu 0xfffe
	s_or_b32 exec_lo, exec_lo, s23
	s_and_saveexec_b32 s23, s5
	s_wait_alu 0xfffe
	s_xor_b32 s23, exec_lo, s23
	s_cbranch_execnz .LBB24_135
.LBB24_102:                             ;   in Loop: Header=BB24_4 Depth=1
	s_wait_alu 0xfffe
	s_and_not1_saveexec_b32 s23, s23
	s_cbranch_execnz .LBB24_136
.LBB24_103:                             ;   in Loop: Header=BB24_4 Depth=1
	s_wait_alu 0xfffe
	s_or_b32 exec_lo, exec_lo, s23
	s_and_saveexec_b32 s23, s6
	s_wait_alu 0xfffe
	s_xor_b32 s23, exec_lo, s23
	s_cbranch_execnz .LBB24_137
.LBB24_104:                             ;   in Loop: Header=BB24_4 Depth=1
	s_wait_alu 0xfffe
	s_and_not1_saveexec_b32 s23, s23
	s_cbranch_execz .LBB24_106
.LBB24_105:                             ;   in Loop: Header=BB24_4 Depth=1
	v_add_co_u32 v0, vcc_lo, v9, s56
	s_wait_alu 0xfffd
	v_add_co_ci_u32_e64 v1, null, s57, v10, vcc_lo
	global_load_b128 v[11:14], v[0:1], off
	s_wait_loadcnt 0x0
	ds_store_2addr_b64 v159, v[11:12], v[13:14] offset1:1
.LBB24_106:                             ;   in Loop: Header=BB24_4 Depth=1
	s_wait_alu 0xfffe
	s_or_b32 exec_lo, exec_lo, s23
	v_add_co_u32 v0, vcc_lo, v9, v181
	s_wait_alu 0xfffd
	v_add_co_ci_u32_e64 v1, null, 0, v10, vcc_lo
	s_lshl_b64 s[70:71], s[60:61], 4
	s_wait_alu 0xfffe
	v_add_co_u32 v0, vcc_lo, v0, s70
	s_wait_alu 0xfffd
	v_add_co_ci_u32_e64 v1, null, s71, v1, vcc_lo
	s_delay_alu instid0(VALU_DEP_2) | instskip(SKIP_1) | instid1(VALU_DEP_2)
	v_add_co_u32 v0, vcc_lo, 0x210, v0
	s_wait_alu 0xfffd
	v_add_co_ci_u32_e64 v1, null, 0, v1, vcc_lo
	s_delay_alu instid0(VALU_DEP_2) | instskip(NEXT) | instid1(VALU_DEP_2)
	v_cndmask_b32_e64 v43, v0, v43, s16
	v_cndmask_b32_e64 v44, v1, v44, s16
.LBB24_107:                             ;   in Loop: Header=BB24_4 Depth=1
	s_wait_loadcnt_dscnt 0x0
	s_barrier_signal -1
	s_barrier_wait -1
	global_inv scope:SCOPE_SE
	ds_load_b128 v[9:12], v179
	ds_load_b128 v[13:16], v154
	ds_load_b128 v[17:20], v157
	ds_load_b128 v[21:24], v176 offset:384
	ds_load_b128 v[25:28], v176 offset:128
	;; [unrolled: 1-line block ×3, first 2 shown]
	s_wait_dscnt 0x4
	v_mul_f64_e32 v[0:1], v[11:12], v[15:16]
	v_mul_f64_e32 v[3:4], v[9:10], v[15:16]
	s_wait_dscnt 0x1
	v_mul_f64_e32 v[33:34], v[27:28], v[19:20]
	v_mul_f64_e32 v[19:20], v[25:26], v[19:20]
	s_delay_alu instid0(VALU_DEP_4) | instskip(NEXT) | instid1(VALU_DEP_4)
	v_fma_f64 v[0:1], v[9:10], v[13:14], -v[0:1]
	v_fma_f64 v[3:4], v[11:12], v[13:14], v[3:4]
	ds_load_b128 v[9:12], v158
	ds_load_b128 v[13:16], v159
	v_fma_f64 v[25:26], v[25:26], v[17:18], -v[33:34]
	v_fma_f64 v[17:18], v[27:28], v[17:18], v[19:20]
	s_wait_dscnt 0x1
	v_mul_f64_e32 v[35:36], v[31:32], v[11:12]
	v_mul_f64_e32 v[11:12], v[29:30], v[11:12]
	s_wait_dscnt 0x0
	v_mul_f64_e32 v[19:20], v[23:24], v[15:16]
	v_mul_f64_e32 v[15:16], v[21:22], v[15:16]
	v_add_f64_e32 v[0:1], 0, v[0:1]
	v_add_f64_e32 v[3:4], 0, v[3:4]
	v_fma_f64 v[27:28], v[29:30], v[9:10], -v[35:36]
	v_fma_f64 v[9:10], v[31:32], v[9:10], v[11:12]
	v_fma_f64 v[11:12], v[21:22], v[13:14], -v[19:20]
	v_fma_f64 v[13:14], v[23:24], v[13:14], v[15:16]
	v_add_f64_e32 v[0:1], v[0:1], v[25:26]
	v_add_f64_e32 v[3:4], v[3:4], v[17:18]
	s_delay_alu instid0(VALU_DEP_2) | instskip(NEXT) | instid1(VALU_DEP_2)
	v_add_f64_e32 v[0:1], v[0:1], v[27:28]
	v_add_f64_e32 v[3:4], v[3:4], v[9:10]
	s_delay_alu instid0(VALU_DEP_2) | instskip(NEXT) | instid1(VALU_DEP_2)
	v_add_f64_e32 v[45:46], v[0:1], v[11:12]
	v_add_f64_e32 v[47:48], v[3:4], v[13:14]
	ds_load_b128 v[33:36], v168
	ds_load_b128 v[25:28], v168 offset:16
	ds_load_b128 v[13:16], v168 offset:32
	ds_load_b128 v[9:12], v168 offset:48
	ds_load_b128 v[37:40], v166 offset:512
	ds_load_b128 v[29:32], v166 offset:528
	ds_load_b128 v[21:24], v166 offset:544
	ds_load_b128 v[17:20], v166 offset:560
	s_wait_loadcnt_dscnt 0x0
	s_barrier_signal -1
	s_barrier_wait -1
	global_inv scope:SCOPE_SE
	ds_store_b128 v167, v[45:48]
	s_wait_loadcnt_dscnt 0x0
	s_barrier_signal -1
	s_barrier_wait -1
	global_inv scope:SCOPE_SE
	s_and_saveexec_b32 s23, s21
	s_cbranch_execz .LBB24_109
; %bb.108:                              ;   in Loop: Header=BB24_4 Depth=1
	ds_load_b128 v[45:48], v164
	ds_load_b128 v[49:52], v164 offset:16
	s_wait_dscnt 0x1
	v_add_f64_e32 v[0:1], v[5:6], v[45:46]
	v_add_f64_e32 v[3:4], v[7:8], v[47:48]
	s_wait_dscnt 0x0
	s_delay_alu instid0(VALU_DEP_2) | instskip(NEXT) | instid1(VALU_DEP_2)
	v_add_f64_e32 v[0:1], v[0:1], v[49:50]
	v_add_f64_e32 v[7:8], v[3:4], v[51:52]
	ds_load_b128 v[3:6], v164 offset:32
	ds_load_b128 v[45:48], v164 offset:48
	s_wait_dscnt 0x1
	v_add_f64_e32 v[0:1], v[0:1], v[3:4]
	v_add_f64_e32 v[3:4], v[7:8], v[5:6]
	s_wait_dscnt 0x0
	s_delay_alu instid0(VALU_DEP_2) | instskip(NEXT) | instid1(VALU_DEP_2)
	v_add_f64_e32 v[0:1], v[0:1], v[45:46]
	v_add_f64_e32 v[7:8], v[3:4], v[47:48]
	ds_load_b128 v[3:6], v164 offset:64
	ds_load_b128 v[45:48], v164 offset:80
	s_wait_dscnt 0x1
	v_add_f64_e32 v[0:1], v[0:1], v[3:4]
	v_add_f64_e32 v[3:4], v[7:8], v[5:6]
	s_wait_dscnt 0x0
	s_delay_alu instid0(VALU_DEP_2) | instskip(NEXT) | instid1(VALU_DEP_2)
	v_add_f64_e32 v[0:1], v[0:1], v[45:46]
	v_add_f64_e32 v[7:8], v[3:4], v[47:48]
	ds_load_b128 v[3:6], v164 offset:96
	ds_load_b128 v[45:48], v164 offset:112
	s_wait_dscnt 0x1
	v_add_f64_e32 v[0:1], v[0:1], v[3:4]
	v_add_f64_e32 v[3:4], v[7:8], v[5:6]
	s_wait_dscnt 0x0
	s_delay_alu instid0(VALU_DEP_2) | instskip(NEXT) | instid1(VALU_DEP_2)
	v_add_f64_e32 v[5:6], v[0:1], v[45:46]
	v_add_f64_e32 v[7:8], v[3:4], v[47:48]
.LBB24_109:                             ;   in Loop: Header=BB24_4 Depth=1
	s_wait_alu 0xfffe
	s_or_b32 exec_lo, exec_lo, s23
	v_mul_f64_e32 v[0:1], v[35:36], v[39:40]
	v_mul_f64_e32 v[3:4], v[35:36], v[37:38]
	;; [unrolled: 1-line block ×4, first 2 shown]
	s_wait_loadcnt 0x0
	s_barrier_signal -1
	s_barrier_wait -1
	global_inv scope:SCOPE_SE
	v_fma_f64 v[0:1], v[33:34], v[37:38], v[0:1]
	v_fma_f64 v[3:4], v[33:34], v[39:40], -v[3:4]
	v_mul_f64_e32 v[33:34], v[15:16], v[23:24]
	v_mul_f64_e32 v[15:16], v[15:16], v[21:22]
	v_fma_f64 v[29:30], v[25:26], v[29:30], v[35:36]
	v_fma_f64 v[25:26], v[25:26], v[31:32], -v[27:28]
	v_mul_f64_e32 v[27:28], v[11:12], v[19:20]
	v_mul_f64_e32 v[11:12], v[11:12], v[17:18]
	v_add_f64_e32 v[0:1], 0, v[0:1]
	v_add_f64_e32 v[3:4], 0, v[3:4]
	v_fma_f64 v[21:22], v[13:14], v[21:22], v[33:34]
	v_fma_f64 v[13:14], v[13:14], v[23:24], -v[15:16]
	v_fma_f64 v[15:16], v[9:10], v[17:18], v[27:28]
	v_fma_f64 v[11:12], v[9:10], v[19:20], -v[11:12]
	v_add_f64_e32 v[0:1], v[0:1], v[29:30]
	v_add_f64_e32 v[3:4], v[3:4], v[25:26]
	s_delay_alu instid0(VALU_DEP_2) | instskip(NEXT) | instid1(VALU_DEP_2)
	v_add_f64_e32 v[0:1], v[0:1], v[21:22]
	v_add_f64_e32 v[3:4], v[3:4], v[13:14]
	s_delay_alu instid0(VALU_DEP_2) | instskip(NEXT) | instid1(VALU_DEP_2)
	v_add_f64_e32 v[9:10], v[0:1], v[15:16]
	v_add_f64_e32 v[11:12], v[3:4], v[11:12]
	ds_store_b128 v167, v[9:12]
	s_wait_loadcnt_dscnt 0x0
	s_barrier_signal -1
	s_barrier_wait -1
	global_inv scope:SCOPE_SE
	s_and_saveexec_b32 s23, s15
	s_cbranch_execz .LBB24_111
; %bb.110:                              ;   in Loop: Header=BB24_4 Depth=1
	ds_load_b128 v[9:12], v164
	ds_load_b128 v[13:16], v164 offset:16
	s_wait_dscnt 0x1
	v_add_f64_e32 v[0:1], v[5:6], v[9:10]
	v_add_f64_e32 v[3:4], v[7:8], v[11:12]
	s_wait_dscnt 0x0
	s_delay_alu instid0(VALU_DEP_2) | instskip(NEXT) | instid1(VALU_DEP_2)
	v_add_f64_e32 v[0:1], v[0:1], v[13:14]
	v_add_f64_e32 v[11:12], v[3:4], v[15:16]
	ds_load_b128 v[3:6], v164 offset:32
	ds_load_b128 v[7:10], v164 offset:48
	s_wait_dscnt 0x1
	v_add_f64_e32 v[0:1], v[0:1], v[3:4]
	v_add_f64_e32 v[3:4], v[11:12], v[5:6]
	s_wait_dscnt 0x0
	s_delay_alu instid0(VALU_DEP_2) | instskip(NEXT) | instid1(VALU_DEP_2)
	v_add_f64_e32 v[0:1], v[0:1], v[7:8]
	v_add_f64_e32 v[11:12], v[3:4], v[9:10]
	ds_load_b128 v[3:6], v164 offset:64
	;; [unrolled: 9-line block ×3, first 2 shown]
	ds_load_b128 v[7:10], v164 offset:112
	s_wait_dscnt 0x1
	v_add_f64_e32 v[0:1], v[0:1], v[3:4]
	v_add_f64_e32 v[3:4], v[11:12], v[5:6]
	s_wait_dscnt 0x0
	s_delay_alu instid0(VALU_DEP_2) | instskip(NEXT) | instid1(VALU_DEP_2)
	v_add_f64_e32 v[5:6], v[0:1], v[7:8]
	v_add_f64_e32 v[7:8], v[3:4], v[9:10]
.LBB24_111:                             ;   in Loop: Header=BB24_4 Depth=1
	s_wait_alu 0xfffe
	s_or_b32 exec_lo, exec_lo, s23
	s_mul_u64 s[70:71], s[40:41], s[34:35]
	s_and_not1_b32 vcc_lo, exec_lo, s73
	s_wait_alu 0xfffe
	s_lshl_b64 s[70:71], s[70:71], 4
	s_wait_loadcnt 0x0
	s_wait_alu 0xfffe
	s_add_nc_u64 s[70:71], s[48:49], s[70:71]
	s_barrier_signal -1
	s_barrier_wait -1
	global_inv scope:SCOPE_SE
	s_cbranch_vccnz .LBB24_118
; %bb.112:                              ;   in Loop: Header=BB24_4 Depth=1
	v_add_co_u32 v0, vcc_lo, v43, s68
	s_wait_alu 0xfffd
	v_add_co_ci_u32_e64 v1, null, s69, v44, vcc_lo
	v_lshlrev_b32_e32 v3, 4, v149
	s_delay_alu instid0(VALU_DEP_3) | instskip(SKIP_1) | instid1(VALU_DEP_3)
	v_add_co_u32 v0, vcc_lo, v0, v143
	s_wait_alu 0xfffd
	v_add_co_ci_u32_e64 v1, null, v1, v144, vcc_lo
	s_lshl_b64 s[76:77], s[42:43], 4
	v_add_co_u32 v0, vcc_lo, v0, v145
	s_wait_alu 0xfffd
	v_add_co_ci_u32_e64 v1, null, v1, v146, vcc_lo
	s_mov_b32 s23, ttmp9
	s_wait_alu 0xfffe
	v_add_co_u32 v4, vcc_lo, v0, s76
	s_wait_alu 0xfffd
	v_add_co_ci_u32_e64 v9, null, s77, v1, vcc_lo
	v_add_co_u32 v0, vcc_lo, v0, v3
	s_wait_alu 0xfffd
	v_add_co_ci_u32_e64 v1, null, 0, v1, vcc_lo
	v_add_co_u32 v3, vcc_lo, 0xfffffdf0, v4
	s_wait_alu 0xfffd
	v_add_co_ci_u32_e64 v4, null, -1, v9, vcc_lo
	v_add_co_u32 v0, vcc_lo, 0xfffffe00, v0
	s_wait_alu 0xfffd
	v_add_co_ci_u32_e64 v1, null, -1, v1, vcc_lo
	v_add_co_u32 v182, vcc_lo, v41, s66
	s_wait_alu 0xfffd
	v_add_co_ci_u32_e64 v183, null, s67, v42, vcc_lo
	s_delay_alu instid0(VALU_DEP_3)
	v_cndmask_b32_e64 v1, v1, v4, s1
	v_cndmask_b32_e64 v0, v0, v3, s1
	s_mov_b32 s52, 0
	s_branch .LBB24_114
.LBB24_113:                             ;   in Loop: Header=BB24_114 Depth=2
	s_or_b32 exec_lo, exec_lo, s35
	v_mul_f64_e32 v[0:1], v[19:20], v[27:28]
	v_mul_f64_e32 v[27:28], v[17:18], v[27:28]
	;; [unrolled: 1-line block ×4, first 2 shown]
	s_wait_alu 0xfffe
	s_add_co_i32 s23, s23, -1
	s_add_co_i32 s52, s52, 64
	s_wait_alu 0xfffe
	s_cmp_eq_u32 s23, 0
	s_wait_loadcnt 0x0
	s_wait_storecnt 0x0
	s_barrier_signal -1
	s_barrier_wait -1
	global_inv scope:SCOPE_SE
	v_fma_f64 v[0:1], v[17:18], v[25:26], -v[0:1]
	v_fma_f64 v[17:18], v[19:20], v[25:26], v[27:28]
	v_mul_f64_e32 v[19:20], v[15:16], v[39:40]
	v_mul_f64_e32 v[25:26], v[13:14], v[39:40]
	v_fma_f64 v[21:22], v[21:22], v[41:42], -v[113:114]
	v_fma_f64 v[23:24], v[23:24], v[41:42], v[43:44]
	v_add_f64_e32 v[0:1], v[5:6], v[0:1]
	v_add_f64_e32 v[5:6], v[7:8], v[17:18]
	v_mul_f64_e32 v[7:8], v[11:12], v[35:36]
	v_mul_f64_e32 v[17:18], v[9:10], v[35:36]
	v_fma_f64 v[13:14], v[13:14], v[37:38], -v[19:20]
	v_fma_f64 v[15:16], v[15:16], v[37:38], v[25:26]
	v_mul_f64_e32 v[19:20], v[31:32], v[59:60]
	v_add_f64_e32 v[0:1], v[0:1], v[21:22]
	v_add_f64_e32 v[5:6], v[5:6], v[23:24]
	v_mul_f64_e32 v[21:22], v[29:30], v[59:60]
	v_fma_f64 v[7:8], v[9:10], v[33:34], -v[7:8]
	v_fma_f64 v[9:10], v[11:12], v[33:34], v[17:18]
	v_mul_f64_e32 v[11:12], v[55:56], v[75:76]
	v_add_f64_e32 v[0:1], v[0:1], v[13:14]
	v_add_f64_e32 v[5:6], v[5:6], v[15:16]
	v_mul_f64_e32 v[13:14], v[53:54], v[75:76]
	v_fma_f64 v[15:16], v[29:30], v[57:58], -v[19:20]
	v_fma_f64 v[17:18], v[31:32], v[57:58], v[21:22]
	v_fma_f64 v[11:12], v[53:54], v[73:74], -v[11:12]
	v_add_f64_e32 v[0:1], v[0:1], v[7:8]
	v_add_f64_e32 v[5:6], v[5:6], v[9:10]
	v_mul_f64_e32 v[7:8], v[51:52], v[71:72]
	v_mul_f64_e32 v[9:10], v[49:50], v[71:72]
	v_fma_f64 v[13:14], v[55:56], v[73:74], v[13:14]
	v_add_f64_e32 v[0:1], v[0:1], v[15:16]
	v_add_f64_e32 v[5:6], v[5:6], v[17:18]
	v_mul_f64_e32 v[15:16], v[47:48], v[67:68]
	v_mul_f64_e32 v[17:18], v[45:46], v[67:68]
	v_fma_f64 v[7:8], v[49:50], v[69:70], -v[7:8]
	v_fma_f64 v[9:10], v[51:52], v[69:70], v[9:10]
	v_add_f64_e32 v[0:1], v[0:1], v[11:12]
	v_add_f64_e32 v[5:6], v[5:6], v[13:14]
	v_mul_f64_e32 v[11:12], v[63:64], v[83:84]
	v_mul_f64_e32 v[13:14], v[61:62], v[83:84]
	v_fma_f64 v[15:16], v[45:46], v[65:66], -v[15:16]
	;; [unrolled: 6-line block ×9, first 2 shown]
	v_fma_f64 v[13:14], v[123:124], v[133:134], v[13:14]
	v_add_f64_e32 v[0:1], v[0:1], v[15:16]
	v_add_f64_e32 v[5:6], v[5:6], v[17:18]
	v_fma_f64 v[7:8], v[125:126], v[129:130], -v[7:8]
	v_fma_f64 v[9:10], v[127:128], v[129:130], v[9:10]
	s_delay_alu instid0(VALU_DEP_4) | instskip(NEXT) | instid1(VALU_DEP_4)
	v_add_f64_e32 v[0:1], v[0:1], v[11:12]
	v_add_f64_e32 v[11:12], v[5:6], v[13:14]
	s_delay_alu instid0(VALU_DEP_2) | instskip(NEXT) | instid1(VALU_DEP_2)
	v_add_f64_e32 v[5:6], v[0:1], v[7:8]
	v_add_f64_e32 v[7:8], v[11:12], v[9:10]
	v_add_co_u32 v0, vcc_lo, v3, s44
	s_wait_alu 0xfffd
	v_add_co_ci_u32_e64 v1, null, s45, v4, vcc_lo
	s_cbranch_scc1 .LBB24_118
.LBB24_114:                             ;   Parent Loop BB24_4 Depth=1
                                        ; =>  This Inner Loop Header: Depth=2
	s_and_saveexec_b32 s35, s0
	s_cbranch_execz .LBB24_116
; %bb.115:                              ;   in Loop: Header=BB24_114 Depth=2
	s_wait_alu 0xfffe
	s_mul_u64 s[76:77], s[24:25], s[52:53]
	s_wait_alu 0xfffe
	s_lshl_b64 s[76:77], s[76:77], 4
	s_wait_alu 0xfffe
	v_add_co_u32 v3, vcc_lo, v182, s76
	s_wait_alu 0xfffd
	v_add_co_ci_u32_e64 v4, null, s77, v183, vcc_lo
	global_load_b128 v[9:12], v[3:4], off
	s_wait_loadcnt 0x0
	ds_store_2addr_b64 v169, v[9:10], v[11:12] offset1:1
.LBB24_116:                             ;   in Loop: Header=BB24_114 Depth=2
	s_or_b32 exec_lo, exec_lo, s35
	v_add_co_u32 v3, vcc_lo, v0, s62
	s_wait_alu 0xfffd
	v_add_co_ci_u32_e64 v4, null, s63, v1, vcc_lo
	s_wait_loadcnt_dscnt 0x0
	s_delay_alu instid0(VALU_DEP_2) | instskip(SKIP_1) | instid1(VALU_DEP_2)
	v_add_co_u32 v9, vcc_lo, v3, s62
	s_wait_alu 0xfffd
	v_add_co_ci_u32_e64 v10, null, s63, v4, vcc_lo
	s_barrier_signal -1
	s_barrier_wait -1
	global_inv scope:SCOPE_SE
	global_load_b128 v[17:20], v[0:1], off
	v_add_co_u32 v0, vcc_lo, v9, s62
	s_wait_alu 0xfffd
	v_add_co_ci_u32_e64 v1, null, s63, v10, vcc_lo
	s_clause 0x2
	global_load_b128 v[21:24], v[3:4], off
	global_load_b128 v[13:16], v[9:10], off
	global_load_b128 v[9:12], v[0:1], off
	ds_load_b128 v[29:32], v153
	ds_load_b128 v[25:28], v170
	v_add_co_u32 v0, vcc_lo, v0, s44
	s_wait_alu 0xfffd
	v_add_co_ci_u32_e64 v1, null, s45, v1, vcc_lo
	s_wait_loadcnt_dscnt 0x301
	v_mul_f64_e32 v[3:4], v[19:20], v[31:32]
	v_mul_f64_e32 v[33:34], v[19:20], v[29:30]
	s_wait_loadcnt 0x2
	v_mul_f64_e32 v[35:36], v[23:24], v[31:32]
	v_mul_f64_e32 v[37:38], v[23:24], v[29:30]
	s_wait_loadcnt 0x1
	;; [unrolled: 3-line block ×3, first 2 shown]
	v_mul_f64_e32 v[43:44], v[11:12], v[31:32]
	v_mul_f64_e32 v[57:58], v[11:12], v[29:30]
	v_fma_f64 v[45:46], v[17:18], v[29:30], v[3:4]
	v_fma_f64 v[47:48], v[17:18], v[31:32], -v[33:34]
	v_add_co_u32 v3, vcc_lo, v0, s62
	v_fma_f64 v[49:50], v[21:22], v[29:30], v[35:36]
	v_fma_f64 v[51:52], v[21:22], v[31:32], -v[37:38]
	v_fma_f64 v[53:54], v[13:14], v[29:30], v[39:40]
	v_fma_f64 v[55:56], v[13:14], v[31:32], -v[41:42]
	;; [unrolled: 2-line block ×3, first 2 shown]
	s_wait_alu 0xfffd
	v_add_co_ci_u32_e64 v4, null, s63, v1, vcc_lo
	v_add_co_u32 v57, vcc_lo, v3, s62
	ds_load_b128 v[41:44], v170 offset:16
	ds_load_b128 v[37:40], v170 offset:32
	s_wait_alu 0xfffd
	v_add_co_ci_u32_e64 v58, null, s63, v4, vcc_lo
	ds_load_b128 v[33:36], v170 offset:48
	ds_store_b128 v171, v[45:48]
	ds_store_b128 v171, v[49:52] offset:1072
	ds_store_b128 v171, v[53:56] offset:2144
	;; [unrolled: 1-line block ×3, first 2 shown]
	s_wait_dscnt 0x0
	s_barrier_signal -1
	s_barrier_wait -1
	global_inv scope:SCOPE_SE
	ds_load_b128 v[81:84], v172
	ds_load_b128 v[85:88], v172 offset:16
	ds_load_b128 v[89:92], v172 offset:32
	;; [unrolled: 1-line block ×3, first 2 shown]
	s_wait_loadcnt_dscnt 0x0
	s_barrier_signal -1
	s_barrier_wait -1
	global_inv scope:SCOPE_SE
	global_load_b128 v[29:32], v[0:1], off
	v_add_co_u32 v0, vcc_lo, v57, s62
	s_wait_alu 0xfffd
	v_add_co_ci_u32_e64 v1, null, s63, v58, vcc_lo
	s_clause 0x2
	global_load_b128 v[53:56], v[3:4], off
	global_load_b128 v[49:52], v[57:58], off
	;; [unrolled: 1-line block ×3, first 2 shown]
	ds_load_b128 v[61:64], v153
	ds_load_b128 v[57:60], v170 offset:256
	v_add_co_u32 v0, vcc_lo, v0, s44
	s_wait_alu 0xfffd
	v_add_co_ci_u32_e64 v1, null, s45, v1, vcc_lo
	s_wait_loadcnt_dscnt 0x301
	v_mul_f64_e32 v[3:4], v[31:32], v[63:64]
	v_mul_f64_e32 v[65:66], v[31:32], v[61:62]
	s_wait_loadcnt 0x2
	v_mul_f64_e32 v[67:68], v[55:56], v[63:64]
	v_mul_f64_e32 v[69:70], v[55:56], v[61:62]
	s_wait_loadcnt 0x1
	;; [unrolled: 3-line block ×3, first 2 shown]
	v_mul_f64_e32 v[75:76], v[47:48], v[63:64]
	v_mul_f64_e32 v[105:106], v[47:48], v[61:62]
	v_fma_f64 v[77:78], v[29:30], v[61:62], v[3:4]
	v_fma_f64 v[79:80], v[29:30], v[63:64], -v[65:66]
	v_add_f64_e32 v[3:4], 0, v[81:82]
	v_add_f64_e32 v[81:82], 0, v[83:84]
	v_fma_f64 v[97:98], v[53:54], v[61:62], v[67:68]
	v_fma_f64 v[99:100], v[53:54], v[63:64], -v[69:70]
	v_fma_f64 v[101:102], v[49:50], v[61:62], v[71:72]
	v_fma_f64 v[103:104], v[49:50], v[63:64], -v[73:74]
	;; [unrolled: 2-line block ×3, first 2 shown]
	ds_load_b128 v[73:76], v170 offset:272
	ds_load_b128 v[69:72], v170 offset:288
	;; [unrolled: 1-line block ×3, first 2 shown]
	ds_store_b128 v171, v[77:80]
	ds_store_b128 v171, v[97:100] offset:1072
	ds_store_b128 v171, v[101:104] offset:2144
	;; [unrolled: 1-line block ×3, first 2 shown]
	s_wait_dscnt 0x0
	s_barrier_signal -1
	s_barrier_wait -1
	global_inv scope:SCOPE_SE
	ds_load_b128 v[97:100], v172
	ds_load_b128 v[101:104], v172 offset:16
	ds_load_b128 v[105:108], v172 offset:32
	;; [unrolled: 1-line block ×3, first 2 shown]
	s_wait_loadcnt_dscnt 0x0
	s_barrier_signal -1
	s_barrier_wait -1
	global_inv scope:SCOPE_SE
	global_load_b128 v[61:64], v[0:1], off
	v_add_co_u32 v0, vcc_lo, v0, s62
	s_wait_alu 0xfffd
	v_add_co_ci_u32_e64 v1, null, s63, v1, vcc_lo
	v_add_f64_e32 v[81:82], v[81:82], v[87:88]
	ds_load_b128 v[117:120], v153
	v_add_f64_e32 v[3:4], v[3:4], v[85:86]
	global_load_b128 v[77:80], v[0:1], off
	v_add_co_u32 v0, vcc_lo, v0, s62
	s_wait_alu 0xfffd
	v_add_co_ci_u32_e64 v1, null, s63, v1, vcc_lo
	v_add_f64_e32 v[81:82], v[81:82], v[91:92]
	v_add_f64_e32 v[3:4], v[3:4], v[89:90]
	s_delay_alu instid0(VALU_DEP_2)
	v_add_f64_e32 v[115:116], v[81:82], v[95:96]
	ds_load_b128 v[81:84], v170 offset:512
	v_add_f64_e32 v[113:114], v[3:4], v[93:94]
	s_wait_loadcnt_dscnt 0x101
	v_mul_f64_e32 v[85:86], v[63:64], v[117:118]
	v_mul_f64_e32 v[3:4], v[63:64], v[119:120]
	s_wait_loadcnt 0x0
	v_mul_f64_e32 v[87:88], v[79:80], v[119:120]
	s_delay_alu instid0(VALU_DEP_3) | instskip(NEXT) | instid1(VALU_DEP_3)
	v_fma_f64 v[95:96], v[61:62], v[119:120], -v[85:86]
	v_fma_f64 v[93:94], v[61:62], v[117:118], v[3:4]
	v_mul_f64_e32 v[3:4], v[79:80], v[117:118]
	s_delay_alu instid0(VALU_DEP_4)
	v_fma_f64 v[121:122], v[77:78], v[117:118], v[87:88]
	global_load_b128 v[85:88], v[0:1], off
	ds_store_b128 v171, v[93:96]
	v_fma_f64 v[123:124], v[77:78], v[119:120], -v[3:4]
	v_add_co_u32 v3, vcc_lo, v0, s62
	s_wait_alu 0xfffd
	v_add_co_ci_u32_e64 v4, null, s63, v1, vcc_lo
	s_wait_loadcnt 0x0
	v_mul_f64_e32 v[89:90], v[87:88], v[117:118]
	v_mul_f64_e32 v[0:1], v[87:88], v[119:120]
	s_delay_alu instid0(VALU_DEP_2)
	v_fma_f64 v[127:128], v[85:86], v[119:120], -v[89:90]
	global_load_b128 v[89:92], v[3:4], off
	v_fma_f64 v[125:126], v[85:86], v[117:118], v[0:1]
	ds_store_b128 v171, v[121:124] offset:1072
	ds_store_b128 v171, v[125:128] offset:2144
	s_wait_loadcnt 0x0
	v_mul_f64_e32 v[0:1], v[91:92], v[119:120]
	v_mul_f64_e32 v[129:130], v[91:92], v[117:118]
	s_delay_alu instid0(VALU_DEP_2) | instskip(SKIP_2) | instid1(VALU_DEP_4)
	v_fma_f64 v[117:118], v[89:90], v[117:118], v[0:1]
	v_add_f64_e32 v[0:1], 0, v[97:98]
	v_add_f64_e32 v[97:98], 0, v[99:100]
	v_fma_f64 v[119:120], v[89:90], v[119:120], -v[129:130]
	s_delay_alu instid0(VALU_DEP_3) | instskip(NEXT) | instid1(VALU_DEP_3)
	v_add_f64_e32 v[0:1], v[0:1], v[101:102]
	v_add_f64_e32 v[97:98], v[97:98], v[103:104]
	s_delay_alu instid0(VALU_DEP_2) | instskip(NEXT) | instid1(VALU_DEP_2)
	v_add_f64_e32 v[0:1], v[0:1], v[105:106]
	v_add_f64_e32 v[97:98], v[97:98], v[107:108]
	s_delay_alu instid0(VALU_DEP_2) | instskip(SKIP_3) | instid1(VALU_DEP_4)
	v_add_f64_e32 v[184:185], v[0:1], v[109:110]
	v_add_co_u32 v0, vcc_lo, v3, s44
	s_wait_alu 0xfffd
	v_add_co_ci_u32_e64 v1, null, s45, v4, vcc_lo
	v_add_f64_e32 v[186:187], v[97:98], v[111:112]
	ds_load_b128 v[109:112], v170 offset:528
	ds_load_b128 v[105:108], v170 offset:544
	ds_store_b128 v171, v[117:120] offset:3216
	ds_load_b128 v[101:104], v170 offset:560
	s_wait_dscnt 0x0
	s_barrier_signal -1
	s_barrier_wait -1
	global_inv scope:SCOPE_SE
	ds_load_b128 v[129:132], v172
	ds_load_b128 v[133:136], v172 offset:16
	ds_load_b128 v[137:140], v172 offset:32
	;; [unrolled: 1-line block ×3, first 2 shown]
	s_wait_loadcnt_dscnt 0x0
	s_barrier_signal -1
	s_barrier_wait -1
	global_inv scope:SCOPE_SE
	global_load_b128 v[93:96], v[0:1], off
	ds_load_b128 v[192:195], v153
	ds_load_b128 v[97:100], v170 offset:768
	v_add_co_u32 v3, vcc_lo, v0, s62
	s_wait_alu 0xfffd
	v_add_co_ci_u32_e64 v4, null, s63, v1, vcc_lo
	s_wait_loadcnt_dscnt 0x1
	v_mul_f64_e32 v[117:118], v[95:96], v[192:193]
	v_mul_f64_e32 v[0:1], v[95:96], v[194:195]
	s_delay_alu instid0(VALU_DEP_2)
	v_fma_f64 v[198:199], v[93:94], v[194:195], -v[117:118]
	global_load_b128 v[117:120], v[3:4], off
	v_fma_f64 v[196:197], v[93:94], v[192:193], v[0:1]
	v_add_co_u32 v0, vcc_lo, v3, s62
	s_wait_alu 0xfffd
	v_add_co_ci_u32_e64 v1, null, s63, v4, vcc_lo
	s_wait_loadcnt 0x0
	v_mul_f64_e32 v[121:122], v[119:120], v[192:193]
	v_mul_f64_e32 v[3:4], v[119:120], v[194:195]
	s_delay_alu instid0(VALU_DEP_2)
	v_fma_f64 v[202:203], v[117:118], v[194:195], -v[121:122]
	global_load_b128 v[121:124], v[0:1], off
	v_fma_f64 v[200:201], v[117:118], v[192:193], v[3:4]
	v_add_co_u32 v3, vcc_lo, v0, s62
	s_wait_alu 0xfffd
	v_add_co_ci_u32_e64 v4, null, s63, v1, vcc_lo
	s_wait_loadcnt 0x0
	v_mul_f64_e32 v[125:126], v[123:124], v[192:193]
	v_mul_f64_e32 v[0:1], v[123:124], v[194:195]
	s_delay_alu instid0(VALU_DEP_2)
	v_fma_f64 v[206:207], v[121:122], v[194:195], -v[125:126]
	global_load_b128 v[125:128], v[3:4], off
	v_fma_f64 v[204:205], v[121:122], v[192:193], v[0:1]
	s_wait_loadcnt 0x0
	v_mul_f64_e32 v[0:1], v[127:128], v[194:195]
	v_mul_f64_e32 v[208:209], v[127:128], v[192:193]
	s_delay_alu instid0(VALU_DEP_2) | instskip(SKIP_2) | instid1(VALU_DEP_4)
	v_fma_f64 v[192:193], v[125:126], v[192:193], v[0:1]
	v_add_f64_e32 v[0:1], 0, v[129:130]
	v_add_f64_e32 v[129:130], 0, v[131:132]
	v_fma_f64 v[194:195], v[125:126], v[194:195], -v[208:209]
	ds_store_b128 v171, v[196:199]
	ds_store_b128 v171, v[200:203] offset:1072
	ds_store_b128 v171, v[204:207] offset:2144
	;; [unrolled: 1-line block ×3, first 2 shown]
	v_add_f64_e32 v[0:1], v[0:1], v[133:134]
	v_add_f64_e32 v[129:130], v[129:130], v[135:136]
	s_delay_alu instid0(VALU_DEP_2) | instskip(NEXT) | instid1(VALU_DEP_2)
	v_add_f64_e32 v[0:1], v[0:1], v[137:138]
	v_add_f64_e32 v[129:130], v[129:130], v[139:140]
	s_delay_alu instid0(VALU_DEP_2) | instskip(NEXT) | instid1(VALU_DEP_2)
	v_add_f64_e32 v[188:189], v[0:1], v[188:189]
	v_add_f64_e32 v[190:191], v[129:130], v[190:191]
	ds_load_b128 v[137:140], v170 offset:784
	ds_load_b128 v[133:136], v170 offset:800
	;; [unrolled: 1-line block ×3, first 2 shown]
	s_wait_dscnt 0x0
	s_barrier_signal -1
	s_barrier_wait -1
	global_inv scope:SCOPE_SE
	ds_load_b128 v[192:195], v172
	ds_load_b128 v[196:199], v172 offset:16
	s_wait_dscnt 0x1
	v_add_f64_e32 v[0:1], 0, v[192:193]
	v_add_f64_e32 v[192:193], 0, v[194:195]
	s_wait_dscnt 0x0
	s_delay_alu instid0(VALU_DEP_2) | instskip(NEXT) | instid1(VALU_DEP_2)
	v_add_f64_e32 v[0:1], v[0:1], v[196:197]
	v_add_f64_e32 v[200:201], v[192:193], v[198:199]
	ds_load_b128 v[192:195], v172 offset:32
	ds_load_b128 v[196:199], v172 offset:48
	s_wait_loadcnt_dscnt 0x0
	s_barrier_signal -1
	s_barrier_wait -1
	global_inv scope:SCOPE_SE
	v_add_f64_e32 v[0:1], v[0:1], v[192:193]
	v_add_f64_e32 v[194:195], v[200:201], v[194:195]
	s_delay_alu instid0(VALU_DEP_2) | instskip(NEXT) | instid1(VALU_DEP_2)
	v_add_f64_e32 v[192:193], v[0:1], v[196:197]
	v_add_f64_e32 v[194:195], v[194:195], v[198:199]
	ds_store_b128 v180, v[113:116]
	ds_store_b128 v180, v[184:187] offset:256
	ds_store_b128 v180, v[188:191] offset:512
	;; [unrolled: 1-line block ×3, first 2 shown]
	s_wait_loadcnt_dscnt 0x0
	s_barrier_signal -1
	s_barrier_wait -1
	global_inv scope:SCOPE_SE
	s_and_saveexec_b32 s35, s22
	s_cbranch_execz .LBB24_113
; %bb.117:                              ;   in Loop: Header=BB24_114 Depth=2
	ds_load_b128 v[113:116], v173
	ds_load_b128 v[184:187], v173 offset:16
	s_wait_dscnt 0x0
	v_add_f64_e32 v[0:1], v[184:185], v[113:114]
	v_add_f64_e32 v[188:189], v[186:187], v[115:116]
	ds_load_b128 v[113:116], v173 offset:32
	ds_load_b128 v[184:187], v173 offset:48
	s_wait_dscnt 0x1
	v_add_f64_e32 v[0:1], v[0:1], v[113:114]
	v_add_f64_e32 v[113:114], v[188:189], v[115:116]
	s_wait_dscnt 0x0
	s_delay_alu instid0(VALU_DEP_2) | instskip(NEXT) | instid1(VALU_DEP_2)
	v_add_f64_e32 v[0:1], v[0:1], v[184:185]
	v_add_f64_e32 v[188:189], v[113:114], v[186:187]
	ds_load_b128 v[113:116], v173 offset:64
	ds_load_b128 v[184:187], v173 offset:80
	s_wait_dscnt 0x1
	v_add_f64_e32 v[0:1], v[0:1], v[113:114]
	v_add_f64_e32 v[113:114], v[188:189], v[115:116]
	s_wait_dscnt 0x0
	s_delay_alu instid0(VALU_DEP_2) | instskip(NEXT) | instid1(VALU_DEP_2)
	;; [unrolled: 9-line block ×6, first 2 shown]
	v_add_f64_e32 v[0:1], v[0:1], v[184:185]
	v_add_f64_e32 v[188:189], v[113:114], v[186:187]
	ds_load_b128 v[113:116], v173 offset:224
	ds_load_b128 v[184:187], v174
	s_wait_dscnt 0x1
	v_add_f64_e32 v[0:1], v[0:1], v[113:114]
	v_add_f64_e32 v[115:116], v[188:189], v[115:116]
	s_wait_dscnt 0x0
	s_delay_alu instid0(VALU_DEP_2) | instskip(NEXT) | instid1(VALU_DEP_2)
	v_add_f64_e32 v[113:114], v[0:1], v[184:185]
	v_add_f64_e32 v[115:116], v[115:116], v[186:187]
	s_wait_alu 0xfffe
	v_add_nc_u32_e32 v1, s52, v149
	s_delay_alu instid0(VALU_DEP_1) | instskip(NEXT) | instid1(VALU_DEP_1)
	v_lshlrev_b64_e32 v[0:1], 4, v[1:2]
	v_add_co_u32 v0, vcc_lo, s70, v0
	s_wait_alu 0xfffd
	s_delay_alu instid0(VALU_DEP_2)
	v_add_co_ci_u32_e64 v1, null, s71, v1, vcc_lo
	global_store_b128 v[0:1], v[113:116], off
	s_branch .LBB24_113
.LBB24_118:                             ;   in Loop: Header=BB24_4 Depth=1
	ds_store_b128 v175, v[5:8]
	s_wait_loadcnt_dscnt 0x0
	s_barrier_signal -1
	s_barrier_wait -1
	global_inv scope:SCOPE_SE
	s_and_saveexec_b32 s23, s74
	s_cbranch_execz .LBB24_2
; %bb.119:                              ;   in Loop: Header=BB24_4 Depth=1
	ds_load_b128 v[3:6], v150 offset:1072
	ds_load_b128 v[7:10], v150
	s_wait_dscnt 0x0
	v_add_f64_e32 v[0:1], v[3:4], v[7:8]
	v_add_f64_e32 v[11:12], v[5:6], v[9:10]
	ds_load_b128 v[3:6], v150 offset:2144
	ds_load_b128 v[7:10], v150 offset:3216
	s_wait_dscnt 0x1
	v_add_f64_e32 v[0:1], v[0:1], v[3:4]
	v_add_f64_e32 v[5:6], v[11:12], v[5:6]
	s_wait_dscnt 0x0
	s_delay_alu instid0(VALU_DEP_2) | instskip(NEXT) | instid1(VALU_DEP_2)
	v_add_f64_e32 v[3:4], v[0:1], v[7:8]
	v_add_f64_e32 v[5:6], v[5:6], v[9:10]
	s_wait_alu 0xfffe
	v_add_co_u32 v0, vcc_lo, s70, v147
	s_wait_alu 0xfffd
	v_add_co_ci_u32_e64 v1, null, s71, v148, vcc_lo
	global_store_b128 v[0:1], v[3:6], off
	s_branch .LBB24_2
.LBB24_120:                             ;   in Loop: Header=BB24_4 Depth=1
	global_load_b128 v[11:14], v[5:6], off
	s_wait_loadcnt 0x0
	ds_store_2addr_b64 v154, v[11:12], v[13:14] offset1:1
	s_or_b32 exec_lo, exec_lo, s23
	s_and_saveexec_b32 s23, s4
	s_wait_alu 0xfffe
	s_xor_b32 s23, exec_lo, s23
	s_cbranch_execz .LBB24_20
.LBB24_121:                             ;   in Loop: Header=BB24_4 Depth=1
	v_dual_mov_b32 v1, v2 :: v_dual_mov_b32 v4, v2
	v_mov_b32_e32 v3, v2
	ds_store_b128 v157, v[1:4]
	s_wait_alu 0xfffe
	s_and_not1_saveexec_b32 s23, s23
	s_cbranch_execz .LBB24_21
.LBB24_122:                             ;   in Loop: Header=BB24_4 Depth=1
	v_add_co_u32 v0, vcc_lo, v5, s50
	s_wait_alu 0xfffd
	v_add_co_ci_u32_e64 v1, null, s51, v6, vcc_lo
	global_load_b128 v[11:14], v[0:1], off
	s_wait_loadcnt 0x0
	ds_store_2addr_b64 v157, v[11:12], v[13:14] offset1:1
	s_wait_alu 0xfffe
	s_or_b32 exec_lo, exec_lo, s23
	s_and_saveexec_b32 s23, s5
	s_wait_alu 0xfffe
	s_xor_b32 s23, exec_lo, s23
	s_cbranch_execz .LBB24_22
.LBB24_123:                             ;   in Loop: Header=BB24_4 Depth=1
	v_dual_mov_b32 v1, v2 :: v_dual_mov_b32 v4, v2
	v_mov_b32_e32 v3, v2
	ds_store_b128 v158, v[1:4]
	s_wait_alu 0xfffe
	s_and_not1_saveexec_b32 s23, s23
	s_cbranch_execz .LBB24_23
.LBB24_124:                             ;   in Loop: Header=BB24_4 Depth=1
	v_add_co_u32 v0, vcc_lo, v5, s54
	s_wait_alu 0xfffd
	v_add_co_ci_u32_e64 v1, null, s55, v6, vcc_lo
	global_load_b128 v[11:14], v[0:1], off
	s_wait_loadcnt 0x0
	ds_store_2addr_b64 v158, v[11:12], v[13:14] offset1:1
	s_wait_alu 0xfffe
	s_or_b32 exec_lo, exec_lo, s23
	s_and_saveexec_b32 s23, s6
	s_wait_alu 0xfffe
	s_xor_b32 s23, exec_lo, s23
	s_cbranch_execz .LBB24_24
.LBB24_125:                             ;   in Loop: Header=BB24_4 Depth=1
	v_dual_mov_b32 v1, v2 :: v_dual_mov_b32 v4, v2
	v_mov_b32_e32 v3, v2
	ds_store_b128 v159, v[1:4]
	s_wait_alu 0xfffe
	s_and_not1_saveexec_b32 s23, s23
	s_cbranch_execnz .LBB24_25
	s_branch .LBB24_26
.LBB24_126:                             ;   in Loop: Header=BB24_4 Depth=1
	global_load_b128 v[15:18], v[9:10], off
	s_wait_loadcnt 0x0
	ds_store_2addr_b64 v154, v[15:16], v[17:18] offset1:1
	s_or_b32 exec_lo, exec_lo, s23
	s_and_saveexec_b32 s23, s18
	s_wait_alu 0xfffe
	s_xor_b32 s23, exec_lo, s23
	s_cbranch_execz .LBB24_60
.LBB24_127:                             ;   in Loop: Header=BB24_4 Depth=1
	v_dual_mov_b32 v1, v2 :: v_dual_mov_b32 v4, v2
	v_mov_b32_e32 v3, v2
	ds_store_b128 v157, v[1:4]
	s_wait_alu 0xfffe
	s_and_not1_saveexec_b32 s23, s23
	s_cbranch_execz .LBB24_61
.LBB24_128:                             ;   in Loop: Header=BB24_4 Depth=1
	v_add_co_u32 v0, vcc_lo, v9, s50
	s_wait_alu 0xfffd
	v_add_co_ci_u32_e64 v1, null, s51, v10, vcc_lo
	global_load_b128 v[15:18], v[0:1], off
	s_wait_loadcnt 0x0
	ds_store_2addr_b64 v157, v[15:16], v[17:18] offset1:1
	s_wait_alu 0xfffe
	s_or_b32 exec_lo, exec_lo, s23
	s_and_saveexec_b32 s23, s19
	s_wait_alu 0xfffe
	s_xor_b32 s23, exec_lo, s23
	s_cbranch_execz .LBB24_62
.LBB24_129:                             ;   in Loop: Header=BB24_4 Depth=1
	v_dual_mov_b32 v1, v2 :: v_dual_mov_b32 v4, v2
	v_mov_b32_e32 v3, v2
	ds_store_b128 v158, v[1:4]
	s_wait_alu 0xfffe
	s_and_not1_saveexec_b32 s23, s23
	s_cbranch_execz .LBB24_63
.LBB24_130:                             ;   in Loop: Header=BB24_4 Depth=1
	v_add_co_u32 v0, vcc_lo, v9, s54
	s_wait_alu 0xfffd
	v_add_co_ci_u32_e64 v1, null, s55, v10, vcc_lo
	global_load_b128 v[15:18], v[0:1], off
	s_wait_loadcnt 0x0
	ds_store_2addr_b64 v158, v[15:16], v[17:18] offset1:1
	s_wait_alu 0xfffe
	s_or_b32 exec_lo, exec_lo, s23
	s_and_saveexec_b32 s23, s20
	s_wait_alu 0xfffe
	s_xor_b32 s23, exec_lo, s23
	s_cbranch_execz .LBB24_64
.LBB24_131:                             ;   in Loop: Header=BB24_4 Depth=1
	v_dual_mov_b32 v1, v2 :: v_dual_mov_b32 v4, v2
	v_mov_b32_e32 v3, v2
	ds_store_b128 v159, v[1:4]
	s_wait_alu 0xfffe
	s_and_not1_saveexec_b32 s23, s23
	s_cbranch_execnz .LBB24_65
	s_branch .LBB24_66
.LBB24_132:                             ;   in Loop: Header=BB24_4 Depth=1
	global_load_b128 v[11:14], v[9:10], off
	s_wait_loadcnt 0x0
	ds_store_2addr_b64 v154, v[11:12], v[13:14] offset1:1
	s_or_b32 exec_lo, exec_lo, s23
	s_and_saveexec_b32 s23, s4
	s_wait_alu 0xfffe
	s_xor_b32 s23, exec_lo, s23
	s_cbranch_execz .LBB24_100
.LBB24_133:                             ;   in Loop: Header=BB24_4 Depth=1
	v_dual_mov_b32 v1, v2 :: v_dual_mov_b32 v4, v2
	v_mov_b32_e32 v3, v2
	ds_store_b128 v157, v[1:4]
	s_wait_alu 0xfffe
	s_and_not1_saveexec_b32 s23, s23
	s_cbranch_execz .LBB24_101
.LBB24_134:                             ;   in Loop: Header=BB24_4 Depth=1
	v_add_co_u32 v0, vcc_lo, v9, s50
	s_wait_alu 0xfffd
	v_add_co_ci_u32_e64 v1, null, s51, v10, vcc_lo
	global_load_b128 v[11:14], v[0:1], off
	s_wait_loadcnt 0x0
	ds_store_2addr_b64 v157, v[11:12], v[13:14] offset1:1
	s_wait_alu 0xfffe
	s_or_b32 exec_lo, exec_lo, s23
	s_and_saveexec_b32 s23, s5
	s_wait_alu 0xfffe
	s_xor_b32 s23, exec_lo, s23
	s_cbranch_execz .LBB24_102
.LBB24_135:                             ;   in Loop: Header=BB24_4 Depth=1
	v_dual_mov_b32 v1, v2 :: v_dual_mov_b32 v4, v2
	v_mov_b32_e32 v3, v2
	ds_store_b128 v158, v[1:4]
	s_wait_alu 0xfffe
	s_and_not1_saveexec_b32 s23, s23
	s_cbranch_execz .LBB24_103
.LBB24_136:                             ;   in Loop: Header=BB24_4 Depth=1
	v_add_co_u32 v0, vcc_lo, v9, s54
	s_wait_alu 0xfffd
	v_add_co_ci_u32_e64 v1, null, s55, v10, vcc_lo
	global_load_b128 v[11:14], v[0:1], off
	s_wait_loadcnt 0x0
	ds_store_2addr_b64 v158, v[11:12], v[13:14] offset1:1
	s_wait_alu 0xfffe
	s_or_b32 exec_lo, exec_lo, s23
	s_and_saveexec_b32 s23, s6
	s_wait_alu 0xfffe
	s_xor_b32 s23, exec_lo, s23
	s_cbranch_execz .LBB24_104
.LBB24_137:                             ;   in Loop: Header=BB24_4 Depth=1
	v_dual_mov_b32 v1, v2 :: v_dual_mov_b32 v4, v2
	v_mov_b32_e32 v3, v2
	ds_store_b128 v159, v[1:4]
	s_wait_alu 0xfffe
	s_and_not1_saveexec_b32 s23, s23
	s_cbranch_execnz .LBB24_105
	s_branch .LBB24_106
.LBB24_138:
	s_nop 0
	s_sendmsg sendmsg(MSG_DEALLOC_VGPRS)
	s_endpgm
	.section	.rodata,"a",@progbits
	.p2align	6, 0x0
	.amdhsa_kernel _ZL26rocblas_hemvn_kernel_lowerILb1ELi64ELi4ELi33ELi32ELi16ElPK19rocblas_complex_numIdES3_PS1_EviT6_lT7_lT5_lS6_lS7_lS5_lT8_i
		.amdhsa_group_segment_fixed_size 19200
		.amdhsa_private_segment_fixed_size 0
		.amdhsa_kernarg_size 376
		.amdhsa_user_sgpr_count 2
		.amdhsa_user_sgpr_dispatch_ptr 0
		.amdhsa_user_sgpr_queue_ptr 0
		.amdhsa_user_sgpr_kernarg_segment_ptr 1
		.amdhsa_user_sgpr_dispatch_id 0
		.amdhsa_user_sgpr_private_segment_size 0
		.amdhsa_wavefront_size32 1
		.amdhsa_uses_dynamic_stack 0
		.amdhsa_enable_private_segment 0
		.amdhsa_system_sgpr_workgroup_id_x 1
		.amdhsa_system_sgpr_workgroup_id_y 0
		.amdhsa_system_sgpr_workgroup_id_z 1
		.amdhsa_system_sgpr_workgroup_info 0
		.amdhsa_system_vgpr_workitem_id 1
		.amdhsa_next_free_vgpr 210
		.amdhsa_next_free_sgpr 78
		.amdhsa_reserve_vcc 1
		.amdhsa_float_round_mode_32 0
		.amdhsa_float_round_mode_16_64 0
		.amdhsa_float_denorm_mode_32 3
		.amdhsa_float_denorm_mode_16_64 3
		.amdhsa_fp16_overflow 0
		.amdhsa_workgroup_processor_mode 1
		.amdhsa_memory_ordered 1
		.amdhsa_forward_progress 1
		.amdhsa_inst_pref_size 82
		.amdhsa_round_robin_scheduling 0
		.amdhsa_exception_fp_ieee_invalid_op 0
		.amdhsa_exception_fp_denorm_src 0
		.amdhsa_exception_fp_ieee_div_zero 0
		.amdhsa_exception_fp_ieee_overflow 0
		.amdhsa_exception_fp_ieee_underflow 0
		.amdhsa_exception_fp_ieee_inexact 0
		.amdhsa_exception_int_div_zero 0
	.end_amdhsa_kernel
	.section	.text._ZL26rocblas_hemvn_kernel_lowerILb1ELi64ELi4ELi33ELi32ELi16ElPK19rocblas_complex_numIdES3_PS1_EviT6_lT7_lT5_lS6_lS7_lS5_lT8_i,"axG",@progbits,_ZL26rocblas_hemvn_kernel_lowerILb1ELi64ELi4ELi33ELi32ELi16ElPK19rocblas_complex_numIdES3_PS1_EviT6_lT7_lT5_lS6_lS7_lS5_lT8_i,comdat
.Lfunc_end24:
	.size	_ZL26rocblas_hemvn_kernel_lowerILb1ELi64ELi4ELi33ELi32ELi16ElPK19rocblas_complex_numIdES3_PS1_EviT6_lT7_lT5_lS6_lS7_lS5_lT8_i, .Lfunc_end24-_ZL26rocblas_hemvn_kernel_lowerILb1ELi64ELi4ELi33ELi32ELi16ElPK19rocblas_complex_numIdES3_PS1_EviT6_lT7_lT5_lS6_lS7_lS5_lT8_i
                                        ; -- End function
	.set _ZL26rocblas_hemvn_kernel_lowerILb1ELi64ELi4ELi33ELi32ELi16ElPK19rocblas_complex_numIdES3_PS1_EviT6_lT7_lT5_lS6_lS7_lS5_lT8_i.num_vgpr, 210
	.set _ZL26rocblas_hemvn_kernel_lowerILb1ELi64ELi4ELi33ELi32ELi16ElPK19rocblas_complex_numIdES3_PS1_EviT6_lT7_lT5_lS6_lS7_lS5_lT8_i.num_agpr, 0
	.set _ZL26rocblas_hemvn_kernel_lowerILb1ELi64ELi4ELi33ELi32ELi16ElPK19rocblas_complex_numIdES3_PS1_EviT6_lT7_lT5_lS6_lS7_lS5_lT8_i.numbered_sgpr, 78
	.set _ZL26rocblas_hemvn_kernel_lowerILb1ELi64ELi4ELi33ELi32ELi16ElPK19rocblas_complex_numIdES3_PS1_EviT6_lT7_lT5_lS6_lS7_lS5_lT8_i.num_named_barrier, 0
	.set _ZL26rocblas_hemvn_kernel_lowerILb1ELi64ELi4ELi33ELi32ELi16ElPK19rocblas_complex_numIdES3_PS1_EviT6_lT7_lT5_lS6_lS7_lS5_lT8_i.private_seg_size, 0
	.set _ZL26rocblas_hemvn_kernel_lowerILb1ELi64ELi4ELi33ELi32ELi16ElPK19rocblas_complex_numIdES3_PS1_EviT6_lT7_lT5_lS6_lS7_lS5_lT8_i.uses_vcc, 1
	.set _ZL26rocblas_hemvn_kernel_lowerILb1ELi64ELi4ELi33ELi32ELi16ElPK19rocblas_complex_numIdES3_PS1_EviT6_lT7_lT5_lS6_lS7_lS5_lT8_i.uses_flat_scratch, 0
	.set _ZL26rocblas_hemvn_kernel_lowerILb1ELi64ELi4ELi33ELi32ELi16ElPK19rocblas_complex_numIdES3_PS1_EviT6_lT7_lT5_lS6_lS7_lS5_lT8_i.has_dyn_sized_stack, 0
	.set _ZL26rocblas_hemvn_kernel_lowerILb1ELi64ELi4ELi33ELi32ELi16ElPK19rocblas_complex_numIdES3_PS1_EviT6_lT7_lT5_lS6_lS7_lS5_lT8_i.has_recursion, 0
	.set _ZL26rocblas_hemvn_kernel_lowerILb1ELi64ELi4ELi33ELi32ELi16ElPK19rocblas_complex_numIdES3_PS1_EviT6_lT7_lT5_lS6_lS7_lS5_lT8_i.has_indirect_call, 0
	.section	.AMDGPU.csdata,"",@progbits
; Kernel info:
; codeLenInByte = 10408
; TotalNumSgprs: 80
; NumVgprs: 210
; ScratchSize: 0
; MemoryBound: 0
; FloatMode: 240
; IeeeMode: 1
; LDSByteSize: 19200 bytes/workgroup (compile time only)
; SGPRBlocks: 0
; VGPRBlocks: 26
; NumSGPRsForWavesPerEU: 80
; NumVGPRsForWavesPerEU: 210
; Occupancy: 7
; WaveLimiterHint : 0
; COMPUTE_PGM_RSRC2:SCRATCH_EN: 0
; COMPUTE_PGM_RSRC2:USER_SGPR: 2
; COMPUTE_PGM_RSRC2:TRAP_HANDLER: 0
; COMPUTE_PGM_RSRC2:TGID_X_EN: 1
; COMPUTE_PGM_RSRC2:TGID_Y_EN: 0
; COMPUTE_PGM_RSRC2:TGID_Z_EN: 1
; COMPUTE_PGM_RSRC2:TIDIG_COMP_CNT: 1
	.section	.text._ZL36rocblas_hemvn_kernel_lower_block_sumILi64ElPK19rocblas_complex_numIdEPS1_S1_EviT1_lS5_lT2_lT0_lPT3_i,"axG",@progbits,_ZL36rocblas_hemvn_kernel_lower_block_sumILi64ElPK19rocblas_complex_numIdEPS1_S1_EviT1_lS5_lT2_lT0_lPT3_i,comdat
	.globl	_ZL36rocblas_hemvn_kernel_lower_block_sumILi64ElPK19rocblas_complex_numIdEPS1_S1_EviT1_lS5_lT2_lT0_lPT3_i ; -- Begin function _ZL36rocblas_hemvn_kernel_lower_block_sumILi64ElPK19rocblas_complex_numIdEPS1_S1_EviT1_lS5_lT2_lT0_lPT3_i
	.p2align	8
	.type	_ZL36rocblas_hemvn_kernel_lower_block_sumILi64ElPK19rocblas_complex_numIdEPS1_S1_EviT1_lS5_lT2_lT0_lPT3_i,@function
_ZL36rocblas_hemvn_kernel_lower_block_sumILi64ElPK19rocblas_complex_numIdEPS1_S1_EviT1_lS5_lT2_lT0_lPT3_i: ; @_ZL36rocblas_hemvn_kernel_lower_block_sumILi64ElPK19rocblas_complex_numIdEPS1_S1_EviT1_lS5_lT2_lT0_lPT3_i
; %bb.0:
	s_load_b32 s3, s[0:1], 0x50
	s_lshr_b32 s24, ttmp7, 16
	s_wait_kmcnt 0x0
	s_cmp_ge_u32 s24, s3
	s_cbranch_scc1 .LBB25_26
; %bb.1:
	s_clause 0x1
	s_load_b32 s20, s[0:1], 0x0
	s_load_b256 s[4:11], s[0:1], 0x30
	s_lshl_b32 s2, ttmp9, 6
	s_load_b64 s[22:23], s[0:1], 0x28
	v_or_b32_e32 v0, s2, v0
	s_load_b256 s[12:19], s[0:1], 0x8
	s_add_nc_u64 s[0:1], s[0:1], 0x58
	s_mov_b32 s25, 0
	s_wait_kmcnt 0x0
	v_mad_co_u64_u32 v[1:2], null, s20, ttmp9, v[0:1]
	v_mul_lo_u32 v5, s7, v0
	v_mad_co_u64_u32 v[3:4], null, s6, v0, 0
	s_ashr_i32 s7, s2, 31
	v_cmp_gt_i32_e64 s2, s20, v0
	s_wait_alu 0xfffe
	s_mul_i32 s6, s6, s7
	v_ashrrev_i32_e32 v2, 31, v1
	s_lshl_b64 s[4:5], s[4:5], 4
	s_ashr_i32 s21, s20, 31
	s_wait_alu 0xfffe
	v_add3_u32 v4, v4, s6, v5
	s_add_nc_u64 s[26:27], s[22:23], s[4:5]
	v_lshlrev_b64_e32 v[0:1], 4, v[1:2]
	s_delay_alu instid0(VALU_DEP_2) | instskip(NEXT) | instid1(VALU_DEP_2)
	v_lshlrev_b64_e32 v[4:5], 4, v[3:4]
	v_add_co_u32 v0, vcc_lo, s10, v0
	s_delay_alu instid0(VALU_DEP_1)
	v_add_co_ci_u32_e64 v1, null, s11, v1, vcc_lo
	s_lshl_b64 s[10:11], s[20:21], 4
	v_add_co_u32 v6, vcc_lo, v0, 8
	s_wait_alu 0xfffd
	v_add_co_ci_u32_e64 v7, null, 0, v1, vcc_lo
	s_branch .LBB25_4
.LBB25_2:                               ;   in Loop: Header=BB25_4 Depth=1
	s_wait_alu 0xfffe
	s_or_b32 exec_lo, exec_lo, s4
.LBB25_3:                               ;   in Loop: Header=BB25_4 Depth=1
	s_add_co_i32 s24, s24, 0x10000
	s_wait_alu 0xfffe
	s_cmp_lt_u32 s24, s3
	s_cbranch_scc0 .LBB25_26
.LBB25_4:                               ; =>This Loop Header: Depth=1
                                        ;     Child Loop BB25_17 Depth 2
	s_mul_u64 s[4:5], s[14:15], s[24:25]
	s_wait_alu 0xfffe
	s_lshl_b64 s[4:5], s[4:5], 4
	s_wait_alu 0xfffe
	s_add_nc_u64 s[4:5], s[12:13], s[4:5]
	s_load_b128 s[20:23], s[4:5], 0x0
	s_mul_u64 s[4:5], s[18:19], s[24:25]
	s_wait_alu 0xfffe
	s_lshl_b64 s[4:5], s[4:5], 4
	s_wait_alu 0xfffe
	s_add_nc_u64 s[4:5], s[16:17], s[4:5]
	s_load_b128 s[4:7], s[4:5], 0x0
	s_wait_kmcnt 0x0
	v_cmp_neq_f64_e64 s28, s[20:21], 0
	v_cmp_neq_f64_e64 s29, s[22:23], 0
	s_or_b32 s28, s28, s29
	s_mov_b32 s29, -1
	s_wait_alu 0xfffe
	s_and_b32 vcc_lo, exec_lo, s28
	s_wait_alu 0xfffe
	s_cbranch_vccz .LBB25_6
; %bb.5:                                ;   in Loop: Header=BB25_4 Depth=1
	s_and_not1_b32 vcc_lo, exec_lo, s29
	s_wait_alu 0xfffe
	s_cbranch_vccnz .LBB25_3
	s_branch .LBB25_7
.LBB25_6:                               ;   in Loop: Header=BB25_4 Depth=1
	v_cmp_neq_f64_e64 s29, s[4:5], 1.0
	v_cmp_neq_f64_e64 s30, s[6:7], 0
	s_or_b32 s29, s29, s30
	s_wait_alu 0xfffe
	s_and_not1_b32 vcc_lo, exec_lo, s29
	s_wait_alu 0xfffe
	s_cbranch_vccnz .LBB25_3
.LBB25_7:                               ;   in Loop: Header=BB25_4 Depth=1
	s_xor_b32 s30, s28, -1
	s_mul_u64 s[28:29], s[8:9], s[24:25]
	s_and_not1_b32 vcc_lo, exec_lo, s30
	s_wait_alu 0xfffe
	s_lshl_b64 s[28:29], s[28:29], 4
	s_wait_alu 0xfffe
	s_add_nc_u64 s[28:29], s[26:27], s[28:29]
	s_cbranch_vccnz .LBB25_12
; %bb.8:                                ;   in Loop: Header=BB25_4 Depth=1
	s_mov_b32 s30, 0
	s_mov_b32 s33, 0
                                        ; implicit-def: $vgpr2_vgpr3
	s_and_saveexec_b32 s31, s2
	s_cbranch_execz .LBB25_13
; %bb.9:                                ;   in Loop: Header=BB25_4 Depth=1
	v_cmp_neq_f64_e64 s33, s[4:5], 0
	v_cmp_neq_f64_e64 s34, s[6:7], 0
	v_mov_b32_e32 v2, 0
	v_dual_mov_b32 v3, 0 :: v_dual_mov_b32 v0, 0
	v_mov_b32_e32 v1, 0
	s_or_b32 s33, s33, s34
	s_delay_alu instid0(SALU_CYCLE_1)
	s_and_not1_b32 vcc_lo, exec_lo, s33
	s_wait_alu 0xfffe
	s_cbranch_vccnz .LBB25_11
; %bb.10:                               ;   in Loop: Header=BB25_4 Depth=1
	v_add_co_u32 v0, vcc_lo, s28, v4
	s_wait_alu 0xfffd
	v_add_co_ci_u32_e64 v1, null, s29, v5, vcc_lo
	global_load_b128 v[8:11], v[0:1], off
	s_wait_loadcnt 0x0
	v_mul_f64_e32 v[0:1], s[6:7], v[10:11]
	v_mul_f64_e32 v[2:3], s[4:5], v[10:11]
	s_delay_alu instid0(VALU_DEP_2) | instskip(NEXT) | instid1(VALU_DEP_2)
	v_fma_f64 v[0:1], s[4:5], v[8:9], -v[0:1]
	v_fma_f64 v[2:3], s[6:7], v[8:9], v[2:3]
.LBB25_11:                              ;   in Loop: Header=BB25_4 Depth=1
	s_mov_b32 s33, exec_lo
	s_or_b32 exec_lo, exec_lo, s31
	s_delay_alu instid0(SALU_CYCLE_1)
	s_and_b32 vcc_lo, exec_lo, s30
	s_wait_alu 0xfffe
	s_cbranch_vccnz .LBB25_14
	s_branch .LBB25_24
.LBB25_12:                              ;   in Loop: Header=BB25_4 Depth=1
	s_mov_b32 s33, 0
                                        ; implicit-def: $vgpr2_vgpr3
	s_cbranch_execnz .LBB25_14
	s_branch .LBB25_24
.LBB25_13:                              ;   in Loop: Header=BB25_4 Depth=1
	s_or_b32 exec_lo, exec_lo, s31
	s_delay_alu instid0(SALU_CYCLE_1)
	s_and_b32 vcc_lo, exec_lo, s30
	s_wait_alu 0xfffe
	s_cbranch_vccz .LBB25_24
.LBB25_14:                              ;   in Loop: Header=BB25_4 Depth=1
                                        ; implicit-def: $vgpr2_vgpr3
	s_and_saveexec_b32 s34, s2
	s_cbranch_execz .LBB25_23
; %bb.15:                               ;   in Loop: Header=BB25_4 Depth=1
	s_load_b32 s30, s[0:1], 0x0
	v_mov_b32_e32 v0, 0
	v_dual_mov_b32 v1, 0 :: v_dual_mov_b32 v2, 0
	v_mov_b32_e32 v3, 0
	s_wait_kmcnt 0x0
	s_cmp_ge_i32 ttmp9, s30
	s_cbranch_scc1 .LBB25_18
; %bb.16:                               ;   in Loop: Header=BB25_4 Depth=1
	s_mov_b32 s31, s25
	v_mov_b32_e32 v2, 0
	s_mul_u64 s[36:37], s[10:11], s[30:31]
	s_mov_b32 s35, ttmp9
	s_wait_alu 0xfffe
	v_mad_co_u64_u32 v[8:9], null, s36, s24, v[6:7]
	s_delay_alu instid0(VALU_DEP_1) | instskip(NEXT) | instid1(VALU_DEP_1)
	v_dual_mov_b32 v3, 0 :: v_dual_mov_b32 v0, v9
	v_mad_co_u64_u32 v[9:10], null, s37, s24, v[0:1]
	v_mov_b32_e32 v0, 0
	v_mov_b32_e32 v1, 0
.LBB25_17:                              ;   Parent Loop BB25_4 Depth=1
                                        ; =>  This Inner Loop Header: Depth=2
	global_load_b128 v[10:13], v[8:9], off offset:-8
	v_add_co_u32 v8, vcc_lo, v8, s10
	s_wait_alu 0xfffd
	v_add_co_ci_u32_e64 v9, null, s11, v9, vcc_lo
	s_add_co_i32 s35, s35, 1
	s_delay_alu instid0(SALU_CYCLE_1)
	s_cmp_ge_i32 s35, s30
	s_wait_loadcnt 0x0
	v_add_f64_e32 v[2:3], v[2:3], v[10:11]
	v_add_f64_e32 v[0:1], v[0:1], v[12:13]
	s_cbranch_scc0 .LBB25_17
.LBB25_18:                              ;   in Loop: Header=BB25_4 Depth=1
	s_delay_alu instid0(VALU_DEP_1) | instskip(SKIP_3) | instid1(VALU_DEP_4)
	v_mul_f64_e32 v[8:9], s[22:23], v[0:1]
	v_mul_f64_e32 v[10:11], s[20:21], v[0:1]
	v_cmp_neq_f64_e64 s30, s[4:5], 0
	v_cmp_neq_f64_e64 s31, s[6:7], 0
	v_fma_f64 v[0:1], s[20:21], v[2:3], -v[8:9]
	s_delay_alu instid0(VALU_DEP_4)
	v_fma_f64 v[2:3], s[22:23], v[2:3], v[10:11]
	s_or_b32 s20, s30, s31
	s_wait_alu 0xfffe
	s_and_not1_b32 vcc_lo, exec_lo, s20
	s_mov_b32 s20, -1
	s_wait_alu 0xfffe
	s_cbranch_vccz .LBB25_20
; %bb.19:                               ;   in Loop: Header=BB25_4 Depth=1
	s_mov_b32 s20, 0
.LBB25_20:                              ;   in Loop: Header=BB25_4 Depth=1
	s_wait_alu 0xfffe
	s_and_not1_b32 vcc_lo, exec_lo, s20
	s_wait_alu 0xfffe
	s_cbranch_vccnz .LBB25_22
; %bb.21:                               ;   in Loop: Header=BB25_4 Depth=1
	v_add_co_u32 v8, vcc_lo, s28, v4
	s_wait_alu 0xfffd
	v_add_co_ci_u32_e64 v9, null, s29, v5, vcc_lo
	global_load_b128 v[8:11], v[8:9], off
	s_wait_loadcnt 0x0
	v_mul_f64_e32 v[12:13], s[6:7], v[10:11]
	v_mul_f64_e32 v[10:11], s[4:5], v[10:11]
	s_delay_alu instid0(VALU_DEP_2) | instskip(NEXT) | instid1(VALU_DEP_2)
	v_fma_f64 v[12:13], s[4:5], v[8:9], -v[12:13]
	v_fma_f64 v[8:9], s[6:7], v[8:9], v[10:11]
	s_delay_alu instid0(VALU_DEP_2) | instskip(NEXT) | instid1(VALU_DEP_2)
	v_add_f64_e32 v[0:1], v[0:1], v[12:13]
	v_add_f64_e32 v[2:3], v[2:3], v[8:9]
.LBB25_22:                              ;   in Loop: Header=BB25_4 Depth=1
	s_or_b32 s33, s33, exec_lo
.LBB25_23:                              ;   in Loop: Header=BB25_4 Depth=1
	s_or_b32 exec_lo, exec_lo, s34
.LBB25_24:                              ;   in Loop: Header=BB25_4 Depth=1
	s_and_saveexec_b32 s4, s33
	s_cbranch_execz .LBB25_2
; %bb.25:                               ;   in Loop: Header=BB25_4 Depth=1
	s_wait_alu 0xfffe
	v_add_co_u32 v8, vcc_lo, s28, v4
	s_wait_alu 0xfffd
	v_add_co_ci_u32_e64 v9, null, s29, v5, vcc_lo
	global_store_b128 v[8:9], v[0:3], off
	s_branch .LBB25_2
.LBB25_26:
	s_endpgm
	.section	.rodata,"a",@progbits
	.p2align	6, 0x0
	.amdhsa_kernel _ZL36rocblas_hemvn_kernel_lower_block_sumILi64ElPK19rocblas_complex_numIdEPS1_S1_EviT1_lS5_lT2_lT0_lPT3_i
		.amdhsa_group_segment_fixed_size 0
		.amdhsa_private_segment_fixed_size 0
		.amdhsa_kernarg_size 344
		.amdhsa_user_sgpr_count 2
		.amdhsa_user_sgpr_dispatch_ptr 0
		.amdhsa_user_sgpr_queue_ptr 0
		.amdhsa_user_sgpr_kernarg_segment_ptr 1
		.amdhsa_user_sgpr_dispatch_id 0
		.amdhsa_user_sgpr_private_segment_size 0
		.amdhsa_wavefront_size32 1
		.amdhsa_uses_dynamic_stack 0
		.amdhsa_enable_private_segment 0
		.amdhsa_system_sgpr_workgroup_id_x 1
		.amdhsa_system_sgpr_workgroup_id_y 0
		.amdhsa_system_sgpr_workgroup_id_z 1
		.amdhsa_system_sgpr_workgroup_info 0
		.amdhsa_system_vgpr_workitem_id 0
		.amdhsa_next_free_vgpr 14
		.amdhsa_next_free_sgpr 38
		.amdhsa_reserve_vcc 1
		.amdhsa_float_round_mode_32 0
		.amdhsa_float_round_mode_16_64 0
		.amdhsa_float_denorm_mode_32 3
		.amdhsa_float_denorm_mode_16_64 3
		.amdhsa_fp16_overflow 0
		.amdhsa_workgroup_processor_mode 1
		.amdhsa_memory_ordered 1
		.amdhsa_forward_progress 1
		.amdhsa_inst_pref_size 8
		.amdhsa_round_robin_scheduling 0
		.amdhsa_exception_fp_ieee_invalid_op 0
		.amdhsa_exception_fp_denorm_src 0
		.amdhsa_exception_fp_ieee_div_zero 0
		.amdhsa_exception_fp_ieee_overflow 0
		.amdhsa_exception_fp_ieee_underflow 0
		.amdhsa_exception_fp_ieee_inexact 0
		.amdhsa_exception_int_div_zero 0
	.end_amdhsa_kernel
	.section	.text._ZL36rocblas_hemvn_kernel_lower_block_sumILi64ElPK19rocblas_complex_numIdEPS1_S1_EviT1_lS5_lT2_lT0_lPT3_i,"axG",@progbits,_ZL36rocblas_hemvn_kernel_lower_block_sumILi64ElPK19rocblas_complex_numIdEPS1_S1_EviT1_lS5_lT2_lT0_lPT3_i,comdat
.Lfunc_end25:
	.size	_ZL36rocblas_hemvn_kernel_lower_block_sumILi64ElPK19rocblas_complex_numIdEPS1_S1_EviT1_lS5_lT2_lT0_lPT3_i, .Lfunc_end25-_ZL36rocblas_hemvn_kernel_lower_block_sumILi64ElPK19rocblas_complex_numIdEPS1_S1_EviT1_lS5_lT2_lT0_lPT3_i
                                        ; -- End function
	.set _ZL36rocblas_hemvn_kernel_lower_block_sumILi64ElPK19rocblas_complex_numIdEPS1_S1_EviT1_lS5_lT2_lT0_lPT3_i.num_vgpr, 14
	.set _ZL36rocblas_hemvn_kernel_lower_block_sumILi64ElPK19rocblas_complex_numIdEPS1_S1_EviT1_lS5_lT2_lT0_lPT3_i.num_agpr, 0
	.set _ZL36rocblas_hemvn_kernel_lower_block_sumILi64ElPK19rocblas_complex_numIdEPS1_S1_EviT1_lS5_lT2_lT0_lPT3_i.numbered_sgpr, 38
	.set _ZL36rocblas_hemvn_kernel_lower_block_sumILi64ElPK19rocblas_complex_numIdEPS1_S1_EviT1_lS5_lT2_lT0_lPT3_i.num_named_barrier, 0
	.set _ZL36rocblas_hemvn_kernel_lower_block_sumILi64ElPK19rocblas_complex_numIdEPS1_S1_EviT1_lS5_lT2_lT0_lPT3_i.private_seg_size, 0
	.set _ZL36rocblas_hemvn_kernel_lower_block_sumILi64ElPK19rocblas_complex_numIdEPS1_S1_EviT1_lS5_lT2_lT0_lPT3_i.uses_vcc, 1
	.set _ZL36rocblas_hemvn_kernel_lower_block_sumILi64ElPK19rocblas_complex_numIdEPS1_S1_EviT1_lS5_lT2_lT0_lPT3_i.uses_flat_scratch, 0
	.set _ZL36rocblas_hemvn_kernel_lower_block_sumILi64ElPK19rocblas_complex_numIdEPS1_S1_EviT1_lS5_lT2_lT0_lPT3_i.has_dyn_sized_stack, 0
	.set _ZL36rocblas_hemvn_kernel_lower_block_sumILi64ElPK19rocblas_complex_numIdEPS1_S1_EviT1_lS5_lT2_lT0_lPT3_i.has_recursion, 0
	.set _ZL36rocblas_hemvn_kernel_lower_block_sumILi64ElPK19rocblas_complex_numIdEPS1_S1_EviT1_lS5_lT2_lT0_lPT3_i.has_indirect_call, 0
	.section	.AMDGPU.csdata,"",@progbits
; Kernel info:
; codeLenInByte = 1008
; TotalNumSgprs: 40
; NumVgprs: 14
; ScratchSize: 0
; MemoryBound: 0
; FloatMode: 240
; IeeeMode: 1
; LDSByteSize: 0 bytes/workgroup (compile time only)
; SGPRBlocks: 0
; VGPRBlocks: 1
; NumSGPRsForWavesPerEU: 40
; NumVGPRsForWavesPerEU: 14
; Occupancy: 16
; WaveLimiterHint : 0
; COMPUTE_PGM_RSRC2:SCRATCH_EN: 0
; COMPUTE_PGM_RSRC2:USER_SGPR: 2
; COMPUTE_PGM_RSRC2:TRAP_HANDLER: 0
; COMPUTE_PGM_RSRC2:TGID_X_EN: 1
; COMPUTE_PGM_RSRC2:TGID_Y_EN: 0
; COMPUTE_PGM_RSRC2:TGID_Z_EN: 1
; COMPUTE_PGM_RSRC2:TIDIG_COMP_CNT: 0
	.section	.text._ZL26rocblas_hemvn_kernel_lowerILb1ELi64ELi4ELi33ELi32ELi16EiPK19rocblas_complex_numIdES3_PS1_EviT6_lT7_lT5_lS6_lS7_lS5_lT8_i,"axG",@progbits,_ZL26rocblas_hemvn_kernel_lowerILb1ELi64ELi4ELi33ELi32ELi16EiPK19rocblas_complex_numIdES3_PS1_EviT6_lT7_lT5_lS6_lS7_lS5_lT8_i,comdat
	.globl	_ZL26rocblas_hemvn_kernel_lowerILb1ELi64ELi4ELi33ELi32ELi16EiPK19rocblas_complex_numIdES3_PS1_EviT6_lT7_lT5_lS6_lS7_lS5_lT8_i ; -- Begin function _ZL26rocblas_hemvn_kernel_lowerILb1ELi64ELi4ELi33ELi32ELi16EiPK19rocblas_complex_numIdES3_PS1_EviT6_lT7_lT5_lS6_lS7_lS5_lT8_i
	.p2align	8
	.type	_ZL26rocblas_hemvn_kernel_lowerILb1ELi64ELi4ELi33ELi32ELi16EiPK19rocblas_complex_numIdES3_PS1_EviT6_lT7_lT5_lS6_lS7_lS5_lT8_i,@function
_ZL26rocblas_hemvn_kernel_lowerILb1ELi64ELi4ELi33ELi32ELi16EiPK19rocblas_complex_numIdES3_PS1_EviT6_lT7_lT5_lS6_lS7_lS5_lT8_i: ; @_ZL26rocblas_hemvn_kernel_lowerILb1ELi64ELi4ELi33ELi32ELi16EiPK19rocblas_complex_numIdES3_PS1_EviT6_lT7_lT5_lS6_lS7_lS5_lT8_i
; %bb.0:
	s_clause 0x1
	s_load_b64 s[2:3], s[0:1], 0x84
	s_load_b32 s33, s[0:1], 0x70
	s_lshr_b32 s34, ttmp7, 16
	s_wait_kmcnt 0x0
	s_lshr_b32 s4, s2, 16
	s_and_b32 s2, s2, 0xffff
	s_and_b32 s3, s3, 0xffff
	s_mul_i32 s2, s4, s2
	s_delay_alu instid0(SALU_CYCLE_1) | instskip(NEXT) | instid1(SALU_CYCLE_1)
	s_mul_i32 s2, s2, s3
	s_cmp_lg_u32 s2, 0x100
	s_cselect_b32 s2, -1, 0
	s_cmp_ge_u32 s34, s33
	s_cselect_b32 s3, -1, 0
	s_delay_alu instid0(SALU_CYCLE_1) | instskip(NEXT) | instid1(SALU_CYCLE_1)
	s_or_b32 s2, s2, s3
	s_and_b32 vcc_lo, exec_lo, s2
	s_cbranch_vccnz .LBB26_138
; %bb.1:
	s_clause 0x2
	s_load_b32 s2, s[0:1], 0x0
	s_load_b96 s[20:22], s[0:1], 0x40
	s_load_b32 s58, s[0:1], 0x28
	v_and_b32_e32 v150, 0x3ff, v0
	s_lshl_b32 s52, ttmp9, 6
	s_load_b128 s[44:47], s[0:1], 0x30
	s_add_nc_u64 s[4:5], s[0:1], 0x78
	v_bfe_u32 v3, v0, 10, 10
	v_add_nc_u32_e32 v2, s52, v150
	s_load_b256 s[24:31], s[0:1], 0x8
	s_load_b32 s4, s[4:5], 0x0
	s_load_b256 s[36:43], s[0:1], 0x50
	v_and_b32_e32 v4, 31, v0
	v_lshlrev_b32_e32 v13, 6, v3
	s_mov_b32 s35, 0
	s_delay_alu instid0(SALU_CYCLE_1) | instskip(NEXT) | instid1(VALU_DEP_2)
	s_mov_b32 s5, s35
	v_lshlrev_b32_e32 v15, 4, v4
	s_delay_alu instid0(VALU_DEP_2)
	v_add_nc_u32_e32 v14, v13, v150
	v_mul_u32_u24_e32 v21, 33, v4
	v_add_nc_u32_e32 v171, 0x4300, v13
	s_wait_kmcnt 0x0
	s_ashr_i32 s3, s2, 31
	v_mul_lo_u32 v5, s22, v2
	s_lshl_b64 s[0:1], s[20:21], 4
	v_lshrrev_b32_e32 v9, 5, v14
	s_lshr_b32 s8, s3, 26
	s_add_nc_u64 s[0:1], s[46:47], s[0:1]
	s_add_co_i32 s8, s2, s8
	s_ashr_i32 s59, s58, 31
	s_and_not1_b32 s8, s8, 63
	v_ashrrev_i32_e32 v6, 31, v5
	s_add_co_i32 s9, s4, -1
	s_lshl_b64 s[6:7], s[30:31], 4
	s_sub_co_i32 s8, s2, s8
	s_cmp_eq_u32 ttmp9, s9
	v_lshlrev_b64_e32 v[5:6], 4, v[5:6]
	s_cselect_b32 s30, s8, 0
	v_lshlrev_b32_e32 v16, 2, v9
	s_cmp_eq_u32 s30, 0
	v_lshl_or_b32 v17, v4, 9, v15
	v_lshlrev_b32_e32 v18, 6, v9
	v_add_co_u32 v151, vcc_lo, s0, v5
	s_delay_alu instid0(VALU_DEP_1)
	v_add_co_ci_u32_e64 v152, null, s1, v6, vcc_lo
	v_mad_co_u64_u32 v[5:6], null, s58, v9, v[4:5]
	s_cselect_b32 s72, -1, 0
	s_cmp_lg_u32 s30, 0
	s_mul_i32 s8, s2, ttmp9
	s_cselect_b32 s1, -1, 0
	s_ashr_i32 s9, s8, 31
	s_add_nc_u64 s[6:7], s[28:29], s[6:7]
	v_ashrrev_i32_e32 v6, 31, v5
	s_mul_u64 s[28:29], s[4:5], s[2:3]
	s_lshl_b64 s[2:3], s[8:9], 4
	s_ashr_i32 s53, s52, 31
	v_add_nc_u32_e32 v162, v17, v18
	v_lshlrev_b64_e32 v[7:8], 4, v[5:6]
	v_or_b32_e32 v17, 2, v16
	v_cmp_le_i32_e32 vcc_lo, s30, v150
	s_add_nc_u64 s[42:43], s[42:43], s[2:3]
	s_wait_alu 0xfffe
	s_lshl_b64 s[2:3], s[52:53], 4
	s_mul_i32 s54, s58, s52
	s_add_nc_u64 s[2:3], s[6:7], s[2:3]
	v_cmp_ge_u32_e64 s7, v16, v4
	v_cmp_eq_u32_e64 s8, v16, v4
	v_or_b32_e32 v19, 1, v16
	v_cmp_ge_u32_e64 s11, v17, v4
	v_or_b32_e32 v16, 3, v16
	v_cmp_eq_u32_e64 s12, v17, v4
	v_lshlrev_b32_e32 v17, 4, v9
	v_lshlrev_b32_e32 v165, 4, v21
	s_and_b32 s1, s1, vcc_lo
	v_add_co_u32 v1, vcc_lo, s2, v7
	s_ashr_i32 s55, s54, 31
	s_wait_alu 0xfffd
	v_add_co_ci_u32_e64 v7, null, s3, v8, vcc_lo
	s_lshl_b64 s[2:3], s[54:55], 4
	v_cmp_ge_u32_e64 s13, v16, v4
	v_cmp_eq_u32_e64 s14, v16, v4
	v_add_nc_u32_e32 v168, v165, v17
	v_or_b32_e32 v16, 32, v4
	s_wait_alu 0xfffe
	v_add_co_u32 v156, vcc_lo, v1, s2
	s_wait_alu 0xfffd
	v_add_co_ci_u32_e64 v157, null, s3, v7, vcc_lo
	v_sub_co_u32 v7, s3, 0, v4
	s_sub_co_i32 s20, s30, 32
	v_mad_u32_u24 v155, 0x210, v9, v15
	v_sub_co_ci_u32_e64 v8, null, 0, 0, s3
	v_add_nc_u32_e32 v10, 8, v9
	v_add_nc_u32_e32 v11, 16, v9
	;; [unrolled: 1-line block ×3, first 2 shown]
	v_cmp_le_i32_e64 s3, s30, v9
	v_mul_u32_u24_e32 v20, 0x840, v9
	v_cmp_gt_i32_e64 s16, s30, v16
	v_cmp_le_i32_e64 s17, s20, v9
	v_cmp_eq_u32_e64 s21, 1, v9
	v_mul_i32_i24_e32 v16, 0xffffffd0, v9
	v_mad_u32_u24 v169, v9, 48, v168
	v_mul_lo_u32 v9, v3, s58
	v_add_nc_u32_e32 v167, 0x4700, v18
	v_lshrrev_b32_e32 v18, 4, v14
	s_mul_i32 s52, s22, s52
	v_mov_b32_e32 v1, 0
	v_lshlrev_b32_e32 v153, 4, v150
	s_wait_alu 0xfffe
	s_ashr_i32 s53, s52, 31
	v_and_b32_e32 v21, 15, v0
	v_lshl_add_u32 v9, v9, 2, v150
	v_and_b32_e32 v0, 48, v0
	v_lshlrev_b32_e32 v22, 6, v18
	v_cmp_le_i32_e64 s5, s30, v11
	v_cmp_le_i32_e64 s19, s20, v11
	s_wait_alu 0xfffe
	s_sub_nc_u64 s[64:65], 0, s[52:53]
	v_sub_co_u32 v5, vcc_lo, 0, v5
	v_sub_co_u32 v11, s52, 0, v150
	v_cmp_eq_u32_e64 s0, 0, v3
	v_cmp_le_i32_e64 s4, s30, v10
	v_cmp_le_i32_e64 s6, s30, v12
	;; [unrolled: 1-line block ×4, first 2 shown]
	s_wait_alu 0xfffd
	v_sub_co_ci_u32_e64 v6, null, 0, v6, vcc_lo
	v_ashrrev_i32_e32 v10, 31, v9
	s_wait_alu 0xf1ff
	v_sub_co_ci_u32_e64 v12, null, 0, 0, s52
	v_mad_u32_u24 v172, 0x10c0, v3, v153
	v_mad_u32_u24 v176, 0x430, v3, v153
	v_ashrrev_i32_e32 v3, 31, v2
	s_lshl_b32 s46, s58, 3
	s_lshl_b32 s48, s58, 4
	s_mul_i32 s50, s58, 24
	v_cmp_ge_u32_e64 s9, v19, v4
	v_cmp_eq_u32_e64 s10, v19, v4
	v_mul_u32_u24_e32 v19, 0x210, v19
	s_lshl_b32 s60, s58, 5
	v_lshlrev_b32_e32 v0, 4, v0
	v_or_b32_e32 v13, 0xf0, v153
	v_mad_u32_u24 v173, 0x430, v21, v22
	v_mul_i32_i24_e32 v18, 0xffffffd0, v18
	s_ashr_i32 s47, s46, 31
	s_ashr_i32 s49, s48, 31
	;; [unrolled: 1-line block ×5, first 2 shown]
	s_xor_b32 s23, s1, -1
	s_cmp_gt_i32 ttmp9, 0
	v_lshlrev_b64_e32 v[140:141], 4, v[7:8]
	v_lshlrev_b64_e32 v[142:143], 4, v[5:6]
	v_lshlrev_b64_e32 v[144:145], 4, v[9:10]
	v_lshlrev_b64_e32 v[146:147], 4, v[11:12]
	v_lshlrev_b64_e32 v[148:149], 4, v[2:3]
	v_add_nc_u32_e32 v154, 0x4700, v153
	v_add_nc_u32_e32 v158, 0x1080, v155
	;; [unrolled: 1-line block ×4, first 2 shown]
	v_cmp_gt_i32_e64 s2, s30, v4
	v_mad_u32_u24 v161, 0x210, v4, v15
	v_add_nc_u32_e32 v163, 16, v162
	v_add_nc_u32_e32 v164, 32, v162
	;; [unrolled: 1-line block ×3, first 2 shown]
	v_cmp_gt_u32_e64 s15, 32, v14
	s_cselect_b32 s73, -1, 0
	s_lshl_b32 s74, s22, 6
	v_add_nc_u32_e32 v170, 0x4300, v153
	v_cmp_gt_u32_e64 s22, 64, v14
	v_mad_u32_u24 v174, 0x430, v21, v0
	v_mad_u32_u24 v175, 0x430, v21, v13
	v_add_nc_u32_e32 v177, 0x4700, v17
	v_add_nc_u32_e32 v178, v15, v20
	;; [unrolled: 1-line block ×5, first 2 shown]
	v_lshlrev_b32_e32 v182, 4, v4
	s_sub_nc_u64 s[62:63], 0, s[60:61]
	s_sub_nc_u64 s[66:67], 0, s[54:55]
	s_wait_alu 0xfffe
	s_and_b32 s75, s0, s23
	s_lshl_b64 s[52:53], s[58:59], 7
	s_sub_nc_u64 s[54:55], 0, s[30:31]
	s_lshl_b64 s[56:57], s[58:59], 4
	s_mul_u64 s[58:59], s[58:59], 0xd0
	s_lshl_b64 s[60:61], s[60:61], 4
	s_lshl_b64 s[62:63], s[62:63], 4
	;; [unrolled: 1-line block ×4, first 2 shown]
	s_branch .LBB26_4
.LBB26_2:                               ;   in Loop: Header=BB26_4 Depth=1
	s_wait_alu 0xfffe
	s_or_b32 exec_lo, exec_lo, s23
.LBB26_3:                               ;   in Loop: Header=BB26_4 Depth=1
	s_add_co_i32 s34, s34, 0x10000
	s_delay_alu instid0(SALU_CYCLE_1)
	s_cmp_lt_u32 s34, s33
	s_cbranch_scc0 .LBB26_138
.LBB26_4:                               ; =>This Loop Header: Depth=1
                                        ;     Child Loop BB26_114 Depth 2
	s_mul_u64 s[68:69], s[26:27], s[34:35]
	s_wait_alu 0xfffe
	s_lshl_b64 s[68:69], s[68:69], 4
	s_wait_alu 0xfffe
	s_add_nc_u64 s[68:69], s[24:25], s[68:69]
	global_load_b128 v[2:5], v1, s[68:69]
	s_wait_loadcnt 0x0
	v_cmp_neq_f64_e32 vcc_lo, 0, v[2:3]
	v_cmp_neq_f64_e64 s23, 0, v[4:5]
	s_or_b32 s68, vcc_lo, s23
	s_mov_b32 s23, -1
	s_wait_alu 0xfffe
	s_and_b32 vcc_lo, exec_lo, s68
	s_wait_alu 0xfffe
	s_cbranch_vccnz .LBB26_6
; %bb.5:                                ;   in Loop: Header=BB26_4 Depth=1
	s_mul_u64 s[70:71], s[40:41], s[34:35]
	s_wait_alu 0xfffe
	s_lshl_b64 s[70:71], s[70:71], 4
	s_wait_alu 0xfffe
	s_add_nc_u64 s[70:71], s[38:39], s[70:71]
	global_load_b128 v[2:5], v1, s[70:71]
	s_wait_loadcnt 0x0
	v_cmp_neq_f64_e32 vcc_lo, 1.0, v[2:3]
	v_cmp_neq_f64_e64 s23, 0, v[4:5]
	s_or_b32 s23, vcc_lo, s23
.LBB26_6:                               ;   in Loop: Header=BB26_4 Depth=1
	s_wait_alu 0xfffe
	s_and_not1_b32 vcc_lo, exec_lo, s23
	s_wait_alu 0xfffe
	s_cbranch_vccnz .LBB26_3
; %bb.7:                                ;   in Loop: Header=BB26_4 Depth=1
	s_and_not1_b32 vcc_lo, exec_lo, s68
	s_wait_alu 0xfffe
	s_cbranch_vccnz .LBB26_3
; %bb.8:                                ;   in Loop: Header=BB26_4 Depth=1
	s_mul_u64 s[68:69], s[36:37], s[34:35]
	s_wait_alu 0xfffe
	s_lshl_b64 s[68:69], s[68:69], 4
	s_wait_alu 0xfffe
	v_add_co_u32 v40, vcc_lo, v151, s68
	s_wait_alu 0xfffd
	v_add_co_ci_u32_e64 v41, null, s69, v152, vcc_lo
	s_and_saveexec_b32 s23, s0
	s_cbranch_execz .LBB26_13
; %bb.9:                                ;   in Loop: Header=BB26_4 Depth=1
	s_and_saveexec_b32 s68, s1
	s_wait_alu 0xfffe
	s_xor_b32 s68, exec_lo, s68
; %bb.10:                               ;   in Loop: Header=BB26_4 Depth=1
	v_dual_mov_b32 v0, v1 :: v_dual_mov_b32 v3, v1
	v_mov_b32_e32 v2, v1
	ds_store_b128 v154, v[0:3]
; %bb.11:                               ;   in Loop: Header=BB26_4 Depth=1
	s_wait_alu 0xfffe
	s_and_not1_saveexec_b32 s68, s68
	s_cbranch_execz .LBB26_13
; %bb.12:                               ;   in Loop: Header=BB26_4 Depth=1
	global_load_b128 v[2:5], v[40:41], off
	s_wait_loadcnt 0x0
	ds_store_2addr_b64 v154, v[2:3], v[4:5] offset1:1
.LBB26_13:                              ;   in Loop: Header=BB26_4 Depth=1
	s_wait_alu 0xfffe
	s_or_b32 exec_lo, exec_lo, s23
	s_mul_u64 s[68:69], s[44:45], s[34:35]
	s_mov_b32 s23, -1
	s_wait_alu 0xfffe
	s_lshl_b64 s[68:69], s[68:69], 4
	s_wait_alu 0xfffe
	v_add_co_u32 v8, vcc_lo, v156, s68
	s_wait_alu 0xfffd
	v_add_co_ci_u32_e64 v9, null, s69, v157, vcc_lo
	s_and_not1_b32 vcc_lo, exec_lo, s72
	s_wait_alu 0xfffe
	s_cbranch_vccnz .LBB26_15
; %bb.14:                               ;   in Loop: Header=BB26_4 Depth=1
	s_lshl_b64 s[68:69], s[46:47], 4
	s_mov_b32 s23, 0
	s_wait_alu 0xfffe
	v_add_co_u32 v6, vcc_lo, v8, s68
	s_wait_alu 0xfffd
	v_add_co_ci_u32_e64 v7, null, s69, v9, vcc_lo
	s_delay_alu instid0(VALU_DEP_2) | instskip(SKIP_1) | instid1(VALU_DEP_2)
	v_add_co_u32 v14, vcc_lo, v6, s52
	s_wait_alu 0xfffd
	v_add_co_ci_u32_e64 v15, null, s53, v7, vcc_lo
	s_delay_alu instid0(VALU_DEP_2) | instskip(SKIP_1) | instid1(VALU_DEP_2)
	v_add_co_u32 v18, vcc_lo, v14, s52
	s_wait_alu 0xfffd
	v_add_co_ci_u32_e64 v19, null, s53, v15, vcc_lo
	s_clause 0x3
	global_load_b128 v[2:5], v[8:9], off
	global_load_b128 v[10:13], v[6:7], off
	;; [unrolled: 1-line block ×4, first 2 shown]
	s_wait_loadcnt 0x3
	ds_store_2addr_b64 v155, v[2:3], v[4:5] offset1:1
	s_wait_loadcnt 0x2
	ds_store_2addr_b64 v158, v[10:11], v[12:13] offset1:1
	s_wait_loadcnt 0x1
	ds_store_2addr_b64 v159, v[14:15], v[16:17] offset1:1
	s_wait_loadcnt 0x0
	ds_store_2addr_b64 v160, v[18:19], v[20:21] offset1:1
.LBB26_15:                              ;   in Loop: Header=BB26_4 Depth=1
	s_and_not1_b32 vcc_lo, exec_lo, s23
	s_wait_alu 0xfffe
	s_cbranch_vccnz .LBB26_27
; %bb.16:                               ;   in Loop: Header=BB26_4 Depth=1
	s_and_saveexec_b32 s23, s3
	s_wait_alu 0xfffe
	s_xor_b32 s23, exec_lo, s23
; %bb.17:                               ;   in Loop: Header=BB26_4 Depth=1
	v_dual_mov_b32 v0, v1 :: v_dual_mov_b32 v3, v1
	v_mov_b32_e32 v2, v1
	ds_store_b128 v155, v[0:3]
; %bb.18:                               ;   in Loop: Header=BB26_4 Depth=1
	s_wait_alu 0xfffe
	s_or_saveexec_b32 s23, s23
	v_add_co_u32 v0, vcc_lo, v8, v140
	s_wait_alu 0xfffd
	v_add_co_ci_u32_e64 v2, null, v9, v141, vcc_lo
	s_lshl_b64 s[68:69], s[30:31], 4
	s_wait_alu 0xfffe
	v_add_co_u32 v0, vcc_lo, v0, s68
	s_wait_alu 0xfffd
	v_add_co_ci_u32_e64 v2, null, s69, v2, vcc_lo
	s_delay_alu instid0(VALU_DEP_2) | instskip(SKIP_1) | instid1(VALU_DEP_2)
	v_add_co_u32 v0, vcc_lo, v0, -16
	s_wait_alu 0xfffd
	v_add_co_ci_u32_e64 v2, null, -1, v2, vcc_lo
	s_delay_alu instid0(VALU_DEP_2) | instskip(NEXT) | instid1(VALU_DEP_2)
	v_cndmask_b32_e64 v4, v0, v8, s2
	v_cndmask_b32_e64 v5, v2, v9, s2
	s_xor_b32 exec_lo, exec_lo, s23
	s_cbranch_execnz .LBB26_120
; %bb.19:                               ;   in Loop: Header=BB26_4 Depth=1
	s_or_b32 exec_lo, exec_lo, s23
	s_and_saveexec_b32 s23, s4
	s_wait_alu 0xfffe
	s_xor_b32 s23, exec_lo, s23
	s_cbranch_execnz .LBB26_121
.LBB26_20:                              ;   in Loop: Header=BB26_4 Depth=1
	s_wait_alu 0xfffe
	s_and_not1_saveexec_b32 s23, s23
	s_cbranch_execnz .LBB26_122
.LBB26_21:                              ;   in Loop: Header=BB26_4 Depth=1
	s_wait_alu 0xfffe
	s_or_b32 exec_lo, exec_lo, s23
	s_and_saveexec_b32 s23, s5
	s_wait_alu 0xfffe
	s_xor_b32 s23, exec_lo, s23
	s_cbranch_execnz .LBB26_123
.LBB26_22:                              ;   in Loop: Header=BB26_4 Depth=1
	s_wait_alu 0xfffe
	s_and_not1_saveexec_b32 s23, s23
	s_cbranch_execnz .LBB26_124
.LBB26_23:                              ;   in Loop: Header=BB26_4 Depth=1
	s_wait_alu 0xfffe
	s_or_b32 exec_lo, exec_lo, s23
	s_and_saveexec_b32 s23, s6
	s_wait_alu 0xfffe
	s_xor_b32 s23, exec_lo, s23
	s_cbranch_execnz .LBB26_125
.LBB26_24:                              ;   in Loop: Header=BB26_4 Depth=1
	s_wait_alu 0xfffe
	s_and_not1_saveexec_b32 s23, s23
	s_cbranch_execz .LBB26_26
.LBB26_25:                              ;   in Loop: Header=BB26_4 Depth=1
	s_lshl_b64 s[68:69], s[50:51], 4
	s_wait_alu 0xfffe
	v_add_co_u32 v2, vcc_lo, v4, s68
	s_wait_alu 0xfffd
	v_add_co_ci_u32_e64 v3, null, s69, v5, vcc_lo
	global_load_b128 v[10:13], v[2:3], off
	s_wait_loadcnt 0x0
	ds_store_2addr_b64 v160, v[10:11], v[12:13] offset1:1
.LBB26_26:                              ;   in Loop: Header=BB26_4 Depth=1
	s_wait_alu 0xfffe
	s_or_b32 exec_lo, exec_lo, s23
	v_add_co_u32 v0, vcc_lo, v4, v182
	s_wait_alu 0xfffd
	v_add_co_ci_u32_e64 v2, null, 0, v5, vcc_lo
	s_lshl_b64 s[68:69], s[54:55], 4
	s_wait_alu 0xfffe
	v_add_co_u32 v0, vcc_lo, v0, s68
	s_wait_alu 0xfffd
	v_add_co_ci_u32_e64 v2, null, s69, v2, vcc_lo
	s_delay_alu instid0(VALU_DEP_2) | instskip(SKIP_1) | instid1(VALU_DEP_2)
	v_add_co_u32 v0, vcc_lo, v0, 16
	s_wait_alu 0xfffd
	v_add_co_ci_u32_e64 v2, null, 0, v2, vcc_lo
	s_delay_alu instid0(VALU_DEP_2) | instskip(NEXT) | instid1(VALU_DEP_2)
	v_cndmask_b32_e64 v8, v0, v8, s2
	v_cndmask_b32_e64 v9, v2, v9, s2
.LBB26_27:                              ;   in Loop: Header=BB26_4 Depth=1
	s_mov_b32 s23, 0
	s_wait_dscnt 0x0
	s_barrier_signal -1
	s_barrier_wait -1
	global_inv scope:SCOPE_SE
	s_and_saveexec_b32 s68, s7
	s_wait_alu 0xfffe
	s_xor_b32 s68, exec_lo, s68
; %bb.28:                               ;   in Loop: Header=BB26_4 Depth=1
	s_and_b32 s23, s8, exec_lo
; %bb.29:                               ;   in Loop: Header=BB26_4 Depth=1
	s_wait_alu 0xfffe
	s_or_saveexec_b32 s68, s68
	v_mov_b32_e32 v4, 0
	v_dual_mov_b32 v5, 0 :: v_dual_mov_b32 v0, v161
	s_wait_alu 0xfffe
	s_xor_b32 exec_lo, exec_lo, s68
	s_cbranch_execz .LBB26_31
; %bb.30:                               ;   in Loop: Header=BB26_4 Depth=1
	ds_load_b128 v[2:5], v178
	v_mov_b32_e32 v0, v162
	s_or_b32 s23, s23, exec_lo
	s_wait_dscnt 0x0
	v_xor_b32_e32 v5, 0x80000000, v5
	ds_store_b64 v162, v[2:3]
.LBB26_31:                              ;   in Loop: Header=BB26_4 Depth=1
	s_or_b32 exec_lo, exec_lo, s68
	s_wait_alu 0xfffe
	s_and_saveexec_b32 s68, s23
; %bb.32:                               ;   in Loop: Header=BB26_4 Depth=1
	ds_store_b64 v0, v[4:5] offset:8
; %bb.33:                               ;   in Loop: Header=BB26_4 Depth=1
	s_wait_alu 0xfffe
	s_or_b32 exec_lo, exec_lo, s68
	s_mov_b32 s23, 0
	s_and_saveexec_b32 s68, s9
	s_wait_alu 0xfffe
	s_xor_b32 s68, exec_lo, s68
; %bb.34:                               ;   in Loop: Header=BB26_4 Depth=1
	s_and_b32 s23, s10, exec_lo
; %bb.35:                               ;   in Loop: Header=BB26_4 Depth=1
	s_wait_alu 0xfffe
	s_or_saveexec_b32 s68, s68
	v_mov_b32_e32 v4, 0
	v_dual_mov_b32 v5, 0 :: v_dual_mov_b32 v0, v161
	s_wait_alu 0xfffe
	s_xor_b32 exec_lo, exec_lo, s68
	s_cbranch_execz .LBB26_37
; %bb.36:                               ;   in Loop: Header=BB26_4 Depth=1
	ds_load_b128 v[2:5], v179
	v_mov_b32_e32 v0, v163
	s_or_b32 s23, s23, exec_lo
	s_wait_dscnt 0x0
	v_xor_b32_e32 v5, 0x80000000, v5
	ds_store_b64 v163, v[2:3]
.LBB26_37:                              ;   in Loop: Header=BB26_4 Depth=1
	s_or_b32 exec_lo, exec_lo, s68
	s_wait_alu 0xfffe
	s_and_saveexec_b32 s68, s23
; %bb.38:                               ;   in Loop: Header=BB26_4 Depth=1
	ds_store_b64 v0, v[4:5] offset:8
; %bb.39:                               ;   in Loop: Header=BB26_4 Depth=1
	s_wait_alu 0xfffe
	s_or_b32 exec_lo, exec_lo, s68
	s_mov_b32 s23, 0
	s_and_saveexec_b32 s68, s11
	s_wait_alu 0xfffe
	s_xor_b32 s68, exec_lo, s68
; %bb.40:                               ;   in Loop: Header=BB26_4 Depth=1
	s_and_b32 s23, s12, exec_lo
; %bb.41:                               ;   in Loop: Header=BB26_4 Depth=1
	s_wait_alu 0xfffe
	s_or_saveexec_b32 s68, s68
	v_mov_b32_e32 v4, 0
	v_dual_mov_b32 v5, 0 :: v_dual_mov_b32 v0, v161
	s_wait_alu 0xfffe
	s_xor_b32 exec_lo, exec_lo, s68
	s_cbranch_execz .LBB26_43
; %bb.42:                               ;   in Loop: Header=BB26_4 Depth=1
	ds_load_b128 v[2:5], v179 offset:528
	v_mov_b32_e32 v0, v164
	s_or_b32 s23, s23, exec_lo
	s_wait_dscnt 0x0
	v_xor_b32_e32 v5, 0x80000000, v5
	ds_store_b64 v164, v[2:3]
.LBB26_43:                              ;   in Loop: Header=BB26_4 Depth=1
	s_or_b32 exec_lo, exec_lo, s68
	s_wait_alu 0xfffe
	s_and_saveexec_b32 s68, s23
; %bb.44:                               ;   in Loop: Header=BB26_4 Depth=1
	ds_store_b64 v0, v[4:5] offset:8
; %bb.45:                               ;   in Loop: Header=BB26_4 Depth=1
	s_wait_alu 0xfffe
	s_or_b32 exec_lo, exec_lo, s68
	s_mov_b32 s23, 0
	s_and_saveexec_b32 s68, s13
	s_wait_alu 0xfffe
	s_xor_b32 s68, exec_lo, s68
; %bb.46:                               ;   in Loop: Header=BB26_4 Depth=1
	s_and_b32 s23, s14, exec_lo
; %bb.47:                               ;   in Loop: Header=BB26_4 Depth=1
	s_wait_alu 0xfffe
	s_or_saveexec_b32 s68, s68
	v_mov_b32_e32 v4, 0
	v_dual_mov_b32 v5, 0 :: v_dual_mov_b32 v0, v161
	s_wait_alu 0xfffe
	s_xor_b32 exec_lo, exec_lo, s68
	s_cbranch_execz .LBB26_49
; %bb.48:                               ;   in Loop: Header=BB26_4 Depth=1
	ds_load_b128 v[2:5], v179 offset:1056
	v_mov_b32_e32 v0, v166
	s_or_b32 s23, s23, exec_lo
	s_wait_dscnt 0x0
	v_xor_b32_e32 v5, 0x80000000, v5
	ds_store_b64 v166, v[2:3]
.LBB26_49:                              ;   in Loop: Header=BB26_4 Depth=1
	s_or_b32 exec_lo, exec_lo, s68
	s_wait_alu 0xfffe
	s_and_saveexec_b32 s68, s23
; %bb.50:                               ;   in Loop: Header=BB26_4 Depth=1
	ds_store_b64 v0, v[4:5] offset:8
; %bb.51:                               ;   in Loop: Header=BB26_4 Depth=1
	s_wait_alu 0xfffe
	s_or_b32 exec_lo, exec_lo, s68
	s_wait_loadcnt_dscnt 0x0
	s_barrier_signal -1
	s_barrier_wait -1
	global_inv scope:SCOPE_SE
	ds_load_b128 v[2:5], v178
	ds_load_b128 v[10:13], v167
	ds_load_b128 v[14:17], v167 offset:16
	ds_load_b128 v[18:21], v179
	s_wait_dscnt 0x2
	v_mul_f64_e32 v[6:7], v[12:13], v[4:5]
	v_mul_f64_e32 v[4:5], v[10:11], v[4:5]
	s_wait_dscnt 0x0
	v_mul_f64_e32 v[28:29], v[16:17], v[20:21]
	v_mul_f64_e32 v[30:31], v[14:15], v[20:21]
	s_delay_alu instid0(VALU_DEP_4) | instskip(NEXT) | instid1(VALU_DEP_4)
	v_fma_f64 v[6:7], v[10:11], v[2:3], -v[6:7]
	v_fma_f64 v[32:33], v[12:13], v[2:3], v[4:5]
	ds_load_b128 v[2:5], v179 offset:528
	ds_load_b128 v[10:13], v167 offset:32
	;; [unrolled: 1-line block ×4, first 2 shown]
	v_fma_f64 v[14:15], v[14:15], v[18:19], -v[28:29]
	v_fma_f64 v[16:17], v[16:17], v[18:19], v[30:31]
	s_wait_loadcnt_dscnt 0x0
	s_barrier_signal -1
	s_barrier_wait -1
	global_inv scope:SCOPE_SE
	v_mul_f64_e32 v[34:35], v[12:13], v[4:5]
	v_mul_f64_e32 v[4:5], v[10:11], v[4:5]
	;; [unrolled: 1-line block ×4, first 2 shown]
	v_add_f64_e32 v[6:7], 0, v[6:7]
	v_add_f64_e32 v[18:19], 0, v[32:33]
	v_fma_f64 v[10:11], v[10:11], v[2:3], -v[34:35]
	v_fma_f64 v[2:3], v[12:13], v[2:3], v[4:5]
	v_fma_f64 v[12:13], v[20:21], v[24:25], -v[28:29]
	v_add_f64_e32 v[4:5], v[6:7], v[14:15]
	v_add_f64_e32 v[6:7], v[18:19], v[16:17]
	v_fma_f64 v[14:15], v[22:23], v[24:25], v[26:27]
	s_delay_alu instid0(VALU_DEP_3) | instskip(NEXT) | instid1(VALU_DEP_3)
	v_add_f64_e32 v[4:5], v[4:5], v[10:11]
	v_add_f64_e32 v[2:3], v[6:7], v[2:3]
	v_mov_b32_e32 v6, 0
	v_mov_b32_e32 v7, 0
	s_delay_alu instid0(VALU_DEP_4) | instskip(NEXT) | instid1(VALU_DEP_4)
	v_add_f64_e32 v[10:11], v[4:5], v[12:13]
	v_add_f64_e32 v[12:13], v[2:3], v[14:15]
	v_mov_b32_e32 v4, 0
	v_mov_b32_e32 v5, 0
	ds_store_b128 v168, v[10:13]
	s_wait_loadcnt_dscnt 0x0
	s_barrier_signal -1
	s_barrier_wait -1
	global_inv scope:SCOPE_SE
	s_and_saveexec_b32 s23, s15
	s_cbranch_execz .LBB26_53
; %bb.52:                               ;   in Loop: Header=BB26_4 Depth=1
	ds_load_b128 v[2:5], v165
	ds_load_b128 v[10:13], v165 offset:16
	s_wait_dscnt 0x0
	v_add_f64_e32 v[6:7], v[10:11], v[2:3]
	v_add_f64_e32 v[14:15], v[12:13], v[4:5]
	ds_load_b128 v[2:5], v165 offset:32
	ds_load_b128 v[10:13], v165 offset:48
	s_wait_dscnt 0x1
	v_add_f64_e32 v[2:3], v[6:7], v[2:3]
	v_add_f64_e32 v[4:5], v[14:15], v[4:5]
	s_wait_dscnt 0x0
	s_delay_alu instid0(VALU_DEP_2) | instskip(NEXT) | instid1(VALU_DEP_2)
	v_add_f64_e32 v[6:7], v[2:3], v[10:11]
	v_add_f64_e32 v[14:15], v[4:5], v[12:13]
	ds_load_b128 v[2:5], v165 offset:64
	ds_load_b128 v[10:13], v165 offset:80
	s_wait_dscnt 0x1
	v_add_f64_e32 v[2:3], v[6:7], v[2:3]
	v_add_f64_e32 v[4:5], v[14:15], v[4:5]
	s_wait_dscnt 0x0
	s_delay_alu instid0(VALU_DEP_2) | instskip(NEXT) | instid1(VALU_DEP_2)
	;; [unrolled: 9-line block ×3, first 2 shown]
	v_add_f64_e32 v[4:5], v[2:3], v[10:11]
	v_add_f64_e32 v[6:7], v[6:7], v[12:13]
.LBB26_53:                              ;   in Loop: Header=BB26_4 Depth=1
	s_wait_alu 0xfffe
	s_or_b32 exec_lo, exec_lo, s23
	v_add_co_u32 v8, vcc_lo, v8, s60
	s_wait_alu 0xfffd
	v_add_co_ci_u32_e64 v9, null, s61, v9, vcc_lo
	s_mov_b32 s23, -1
	v_add_co_u32 v12, vcc_lo, 0x200, v8
	s_wait_alu 0xfffd
	v_add_co_ci_u32_e64 v13, null, 0, v9, vcc_lo
	s_and_not1_b32 vcc_lo, exec_lo, s72
	s_wait_loadcnt 0x0
	s_barrier_signal -1
	s_barrier_wait -1
	global_inv scope:SCOPE_SE
	s_wait_alu 0xfffe
	s_cbranch_vccnz .LBB26_55
; %bb.54:                               ;   in Loop: Header=BB26_4 Depth=1
	s_lshl_b64 s[68:69], s[46:47], 4
	s_mov_b32 s23, 0
	s_wait_alu 0xfffe
	v_add_co_u32 v2, vcc_lo, v8, s68
	s_wait_alu 0xfffd
	v_add_co_ci_u32_e64 v3, null, s69, v9, vcc_lo
	s_delay_alu instid0(VALU_DEP_2) | instskip(SKIP_1) | instid1(VALU_DEP_2)
	v_add_co_u32 v10, vcc_lo, v2, s52
	s_wait_alu 0xfffd
	v_add_co_ci_u32_e64 v11, null, s53, v3, vcc_lo
	s_delay_alu instid0(VALU_DEP_2) | instskip(SKIP_1) | instid1(VALU_DEP_2)
	v_add_co_u32 v26, vcc_lo, v10, s52
	s_wait_alu 0xfffd
	v_add_co_ci_u32_e64 v27, null, s53, v11, vcc_lo
	s_clause 0x3
	global_load_b128 v[14:17], v[12:13], off
	global_load_b128 v[18:21], v[2:3], off offset:512
	global_load_b128 v[22:25], v[10:11], off offset:512
	global_load_b128 v[26:29], v[26:27], off offset:512
	s_wait_loadcnt 0x3
	ds_store_2addr_b64 v155, v[14:15], v[16:17] offset1:1
	s_wait_loadcnt 0x2
	ds_store_2addr_b64 v158, v[18:19], v[20:21] offset1:1
	;; [unrolled: 2-line block ×4, first 2 shown]
.LBB26_55:                              ;   in Loop: Header=BB26_4 Depth=1
	s_and_not1_b32 vcc_lo, exec_lo, s23
	s_wait_alu 0xfffe
	s_cbranch_vccnz .LBB26_67
; %bb.56:                               ;   in Loop: Header=BB26_4 Depth=1
	s_and_saveexec_b32 s23, s17
	s_wait_alu 0xfffe
	s_xor_b32 s23, exec_lo, s23
; %bb.57:                               ;   in Loop: Header=BB26_4 Depth=1
	v_dual_mov_b32 v0, v1 :: v_dual_mov_b32 v3, v1
	v_mov_b32_e32 v2, v1
	ds_store_b128 v155, v[0:3]
; %bb.58:                               ;   in Loop: Header=BB26_4 Depth=1
	s_wait_alu 0xfffe
	s_or_saveexec_b32 s23, s23
	v_add_co_u32 v0, vcc_lo, v8, v140
	s_wait_alu 0xfffd
	v_add_co_ci_u32_e64 v2, null, v9, v141, vcc_lo
	s_lshl_b64 s[68:69], s[30:31], 4
	s_wait_alu 0xfffe
	v_add_co_u32 v0, vcc_lo, v0, s68
	s_wait_alu 0xfffd
	v_add_co_ci_u32_e64 v2, null, s69, v2, vcc_lo
	s_delay_alu instid0(VALU_DEP_2) | instskip(SKIP_1) | instid1(VALU_DEP_2)
	v_add_co_u32 v0, vcc_lo, v0, -16
	s_wait_alu 0xfffd
	v_add_co_ci_u32_e64 v2, null, -1, v2, vcc_lo
	s_delay_alu instid0(VALU_DEP_2) | instskip(NEXT) | instid1(VALU_DEP_2)
	v_cndmask_b32_e64 v8, v0, v12, s16
	v_cndmask_b32_e64 v9, v2, v13, s16
	s_xor_b32 exec_lo, exec_lo, s23
	s_cbranch_execnz .LBB26_126
; %bb.59:                               ;   in Loop: Header=BB26_4 Depth=1
	s_or_b32 exec_lo, exec_lo, s23
	s_and_saveexec_b32 s23, s18
	s_wait_alu 0xfffe
	s_xor_b32 s23, exec_lo, s23
	s_cbranch_execnz .LBB26_127
.LBB26_60:                              ;   in Loop: Header=BB26_4 Depth=1
	s_wait_alu 0xfffe
	s_and_not1_saveexec_b32 s23, s23
	s_cbranch_execnz .LBB26_128
.LBB26_61:                              ;   in Loop: Header=BB26_4 Depth=1
	s_wait_alu 0xfffe
	s_or_b32 exec_lo, exec_lo, s23
	s_and_saveexec_b32 s23, s19
	s_wait_alu 0xfffe
	s_xor_b32 s23, exec_lo, s23
	s_cbranch_execnz .LBB26_129
.LBB26_62:                              ;   in Loop: Header=BB26_4 Depth=1
	s_wait_alu 0xfffe
	s_and_not1_saveexec_b32 s23, s23
	s_cbranch_execnz .LBB26_130
.LBB26_63:                              ;   in Loop: Header=BB26_4 Depth=1
	s_wait_alu 0xfffe
	s_or_b32 exec_lo, exec_lo, s23
	s_and_saveexec_b32 s23, s20
	s_wait_alu 0xfffe
	s_xor_b32 s23, exec_lo, s23
	s_cbranch_execnz .LBB26_131
.LBB26_64:                              ;   in Loop: Header=BB26_4 Depth=1
	s_wait_alu 0xfffe
	s_and_not1_saveexec_b32 s23, s23
	s_cbranch_execz .LBB26_66
.LBB26_65:                              ;   in Loop: Header=BB26_4 Depth=1
	s_lshl_b64 s[68:69], s[50:51], 4
	s_wait_alu 0xfffe
	v_add_co_u32 v2, vcc_lo, v8, s68
	s_wait_alu 0xfffd
	v_add_co_ci_u32_e64 v3, null, s69, v9, vcc_lo
	global_load_b128 v[14:17], v[2:3], off
	s_wait_loadcnt 0x0
	ds_store_2addr_b64 v160, v[14:15], v[16:17] offset1:1
.LBB26_66:                              ;   in Loop: Header=BB26_4 Depth=1
	s_wait_alu 0xfffe
	s_or_b32 exec_lo, exec_lo, s23
	v_add_co_u32 v0, vcc_lo, v8, v182
	s_wait_alu 0xfffd
	v_add_co_ci_u32_e64 v2, null, 0, v9, vcc_lo
	s_lshl_b64 s[68:69], s[54:55], 4
	s_wait_alu 0xfffe
	v_add_co_u32 v0, vcc_lo, v0, s68
	s_wait_alu 0xfffd
	v_add_co_ci_u32_e64 v2, null, s69, v2, vcc_lo
	s_delay_alu instid0(VALU_DEP_2) | instskip(SKIP_1) | instid1(VALU_DEP_2)
	v_add_co_u32 v0, vcc_lo, 0x210, v0
	s_wait_alu 0xfffd
	v_add_co_ci_u32_e64 v2, null, 0, v2, vcc_lo
	s_delay_alu instid0(VALU_DEP_2) | instskip(NEXT) | instid1(VALU_DEP_2)
	v_cndmask_b32_e64 v12, v0, v12, s16
	v_cndmask_b32_e64 v13, v2, v13, s16
.LBB26_67:                              ;   in Loop: Header=BB26_4 Depth=1
	s_mov_b32 s23, 0
	s_wait_loadcnt_dscnt 0x0
	s_barrier_signal -1
	s_barrier_wait -1
	global_inv scope:SCOPE_SE
	s_and_saveexec_b32 s68, s7
	s_wait_alu 0xfffe
	s_xor_b32 s68, exec_lo, s68
; %bb.68:                               ;   in Loop: Header=BB26_4 Depth=1
	s_and_b32 s23, s8, exec_lo
; %bb.69:                               ;   in Loop: Header=BB26_4 Depth=1
	s_wait_alu 0xfffe
	s_or_saveexec_b32 s68, s68
	v_mov_b32_e32 v10, 0
	v_dual_mov_b32 v11, 0 :: v_dual_mov_b32 v0, v161
	s_wait_alu 0xfffe
	s_xor_b32 exec_lo, exec_lo, s68
	s_cbranch_execz .LBB26_71
; %bb.70:                               ;   in Loop: Header=BB26_4 Depth=1
	ds_load_b128 v[8:11], v178
	v_mov_b32_e32 v0, v162
	s_or_b32 s23, s23, exec_lo
	s_wait_dscnt 0x0
	v_xor_b32_e32 v11, 0x80000000, v11
	ds_store_b64 v162, v[8:9]
.LBB26_71:                              ;   in Loop: Header=BB26_4 Depth=1
	s_or_b32 exec_lo, exec_lo, s68
	s_wait_alu 0xfffe
	s_and_saveexec_b32 s68, s23
; %bb.72:                               ;   in Loop: Header=BB26_4 Depth=1
	ds_store_b64 v0, v[10:11] offset:8
; %bb.73:                               ;   in Loop: Header=BB26_4 Depth=1
	s_wait_alu 0xfffe
	s_or_b32 exec_lo, exec_lo, s68
	s_mov_b32 s23, 0
	s_and_saveexec_b32 s68, s9
	s_wait_alu 0xfffe
	s_xor_b32 s68, exec_lo, s68
; %bb.74:                               ;   in Loop: Header=BB26_4 Depth=1
	s_and_b32 s23, s10, exec_lo
; %bb.75:                               ;   in Loop: Header=BB26_4 Depth=1
	s_wait_alu 0xfffe
	s_or_saveexec_b32 s68, s68
	v_mov_b32_e32 v10, 0
	v_dual_mov_b32 v11, 0 :: v_dual_mov_b32 v0, v161
	s_wait_alu 0xfffe
	s_xor_b32 exec_lo, exec_lo, s68
	s_cbranch_execz .LBB26_77
; %bb.76:                               ;   in Loop: Header=BB26_4 Depth=1
	ds_load_b128 v[8:11], v179
	v_mov_b32_e32 v0, v163
	s_or_b32 s23, s23, exec_lo
	s_wait_dscnt 0x0
	v_xor_b32_e32 v11, 0x80000000, v11
	ds_store_b64 v163, v[8:9]
.LBB26_77:                              ;   in Loop: Header=BB26_4 Depth=1
	s_or_b32 exec_lo, exec_lo, s68
	s_wait_alu 0xfffe
	s_and_saveexec_b32 s68, s23
; %bb.78:                               ;   in Loop: Header=BB26_4 Depth=1
	ds_store_b64 v0, v[10:11] offset:8
; %bb.79:                               ;   in Loop: Header=BB26_4 Depth=1
	s_wait_alu 0xfffe
	s_or_b32 exec_lo, exec_lo, s68
	s_mov_b32 s23, 0
	s_and_saveexec_b32 s68, s11
	s_wait_alu 0xfffe
	s_xor_b32 s68, exec_lo, s68
; %bb.80:                               ;   in Loop: Header=BB26_4 Depth=1
	s_and_b32 s23, s12, exec_lo
; %bb.81:                               ;   in Loop: Header=BB26_4 Depth=1
	s_wait_alu 0xfffe
	s_or_saveexec_b32 s68, s68
	v_mov_b32_e32 v10, 0
	v_dual_mov_b32 v11, 0 :: v_dual_mov_b32 v0, v161
	s_wait_alu 0xfffe
	s_xor_b32 exec_lo, exec_lo, s68
	s_cbranch_execz .LBB26_83
; %bb.82:                               ;   in Loop: Header=BB26_4 Depth=1
	ds_load_b128 v[8:11], v179 offset:528
	v_mov_b32_e32 v0, v164
	s_or_b32 s23, s23, exec_lo
	s_wait_dscnt 0x0
	v_xor_b32_e32 v11, 0x80000000, v11
	ds_store_b64 v164, v[8:9]
.LBB26_83:                              ;   in Loop: Header=BB26_4 Depth=1
	s_or_b32 exec_lo, exec_lo, s68
	s_wait_alu 0xfffe
	s_and_saveexec_b32 s68, s23
; %bb.84:                               ;   in Loop: Header=BB26_4 Depth=1
	ds_store_b64 v0, v[10:11] offset:8
; %bb.85:                               ;   in Loop: Header=BB26_4 Depth=1
	s_wait_alu 0xfffe
	s_or_b32 exec_lo, exec_lo, s68
	s_mov_b32 s23, 0
	s_and_saveexec_b32 s68, s13
	s_wait_alu 0xfffe
	s_xor_b32 s68, exec_lo, s68
; %bb.86:                               ;   in Loop: Header=BB26_4 Depth=1
	s_and_b32 s23, s14, exec_lo
; %bb.87:                               ;   in Loop: Header=BB26_4 Depth=1
	s_wait_alu 0xfffe
	s_or_saveexec_b32 s68, s68
	v_mov_b32_e32 v10, 0
	v_dual_mov_b32 v11, 0 :: v_dual_mov_b32 v0, v161
	s_wait_alu 0xfffe
	s_xor_b32 exec_lo, exec_lo, s68
	s_cbranch_execz .LBB26_89
; %bb.88:                               ;   in Loop: Header=BB26_4 Depth=1
	ds_load_b128 v[8:11], v179 offset:1056
	v_mov_b32_e32 v0, v166
	s_or_b32 s23, s23, exec_lo
	s_wait_dscnt 0x0
	v_xor_b32_e32 v11, 0x80000000, v11
	ds_store_b64 v166, v[8:9]
.LBB26_89:                              ;   in Loop: Header=BB26_4 Depth=1
	s_or_b32 exec_lo, exec_lo, s68
	s_wait_alu 0xfffe
	s_and_saveexec_b32 s68, s23
; %bb.90:                               ;   in Loop: Header=BB26_4 Depth=1
	ds_store_b64 v0, v[10:11] offset:8
; %bb.91:                               ;   in Loop: Header=BB26_4 Depth=1
	s_wait_alu 0xfffe
	s_or_b32 exec_lo, exec_lo, s68
	s_wait_loadcnt_dscnt 0x0
	s_barrier_signal -1
	s_barrier_wait -1
	global_inv scope:SCOPE_SE
	ds_load_b128 v[8:11], v178
	ds_load_b128 v[14:17], v167 offset:512
	ds_load_b128 v[18:21], v167 offset:528
	ds_load_b128 v[22:25], v179
	s_wait_dscnt 0x2
	v_mul_f64_e32 v[2:3], v[16:17], v[10:11]
	v_mul_f64_e32 v[10:11], v[14:15], v[10:11]
	s_wait_dscnt 0x0
	v_mul_f64_e32 v[32:33], v[20:21], v[24:25]
	v_mul_f64_e32 v[34:35], v[18:19], v[24:25]
	s_delay_alu instid0(VALU_DEP_4) | instskip(NEXT) | instid1(VALU_DEP_4)
	v_fma_f64 v[2:3], v[14:15], v[8:9], -v[2:3]
	v_fma_f64 v[36:37], v[16:17], v[8:9], v[10:11]
	ds_load_b128 v[8:11], v179 offset:528
	ds_load_b128 v[14:17], v167 offset:544
	;; [unrolled: 1-line block ×4, first 2 shown]
	v_fma_f64 v[18:19], v[18:19], v[22:23], -v[32:33]
	v_fma_f64 v[20:21], v[20:21], v[22:23], v[34:35]
	s_wait_loadcnt_dscnt 0x0
	s_barrier_signal -1
	s_barrier_wait -1
	global_inv scope:SCOPE_SE
	v_mul_f64_e32 v[38:39], v[16:17], v[10:11]
	v_mul_f64_e32 v[10:11], v[14:15], v[10:11]
	;; [unrolled: 1-line block ×4, first 2 shown]
	v_add_f64_e32 v[2:3], 0, v[2:3]
	v_add_f64_e32 v[22:23], 0, v[36:37]
	v_fma_f64 v[14:15], v[14:15], v[8:9], -v[38:39]
	v_fma_f64 v[8:9], v[16:17], v[8:9], v[10:11]
	v_fma_f64 v[16:17], v[24:25], v[28:29], -v[32:33]
	v_add_f64_e32 v[2:3], v[2:3], v[18:19]
	v_add_f64_e32 v[10:11], v[22:23], v[20:21]
	v_fma_f64 v[18:19], v[26:27], v[28:29], v[30:31]
	s_delay_alu instid0(VALU_DEP_3) | instskip(NEXT) | instid1(VALU_DEP_3)
	v_add_f64_e32 v[2:3], v[2:3], v[14:15]
	v_add_f64_e32 v[10:11], v[10:11], v[8:9]
	s_delay_alu instid0(VALU_DEP_2) | instskip(NEXT) | instid1(VALU_DEP_2)
	v_add_f64_e32 v[8:9], v[2:3], v[16:17]
	v_add_f64_e32 v[10:11], v[10:11], v[18:19]
	ds_store_b128 v168, v[8:11]
	s_wait_loadcnt_dscnt 0x0
	s_barrier_signal -1
	s_barrier_wait -1
	global_inv scope:SCOPE_SE
	s_and_saveexec_b32 s23, s21
	s_cbranch_execz .LBB26_93
; %bb.92:                               ;   in Loop: Header=BB26_4 Depth=1
	ds_load_b128 v[2:5], v165
	ds_load_b128 v[6:9], v165 offset:16
	s_wait_dscnt 0x0
	v_add_f64_e32 v[10:11], v[6:7], v[2:3]
	v_add_f64_e32 v[14:15], v[8:9], v[4:5]
	ds_load_b128 v[2:5], v165 offset:32
	ds_load_b128 v[6:9], v165 offset:48
	s_wait_dscnt 0x1
	v_add_f64_e32 v[2:3], v[10:11], v[2:3]
	v_add_f64_e32 v[4:5], v[14:15], v[4:5]
	s_wait_dscnt 0x0
	s_delay_alu instid0(VALU_DEP_2) | instskip(NEXT) | instid1(VALU_DEP_2)
	v_add_f64_e32 v[10:11], v[2:3], v[6:7]
	v_add_f64_e32 v[14:15], v[4:5], v[8:9]
	ds_load_b128 v[2:5], v165 offset:64
	ds_load_b128 v[6:9], v165 offset:80
	s_wait_dscnt 0x1
	v_add_f64_e32 v[2:3], v[10:11], v[2:3]
	v_add_f64_e32 v[4:5], v[14:15], v[4:5]
	s_wait_dscnt 0x0
	s_delay_alu instid0(VALU_DEP_2) | instskip(NEXT) | instid1(VALU_DEP_2)
	;; [unrolled: 9-line block ×3, first 2 shown]
	v_add_f64_e32 v[4:5], v[2:3], v[6:7]
	v_add_f64_e32 v[6:7], v[10:11], v[8:9]
.LBB26_93:                              ;   in Loop: Header=BB26_4 Depth=1
	s_wait_alu 0xfffe
	s_or_b32 exec_lo, exec_lo, s23
	v_add_co_u32 v42, vcc_lo, v12, s62
	s_wait_alu 0xfffd
	v_add_co_ci_u32_e64 v43, null, s63, v13, vcc_lo
	s_and_not1_b32 vcc_lo, exec_lo, s72
	s_mov_b32 s23, -1
	s_wait_loadcnt 0x0
	s_barrier_signal -1
	s_barrier_wait -1
	global_inv scope:SCOPE_SE
	s_wait_alu 0xfffe
	s_cbranch_vccnz .LBB26_95
; %bb.94:                               ;   in Loop: Header=BB26_4 Depth=1
	s_lshl_b64 s[68:69], s[46:47], 4
	s_mov_b32 s23, 0
	s_wait_alu 0xfffe
	v_add_co_u32 v2, vcc_lo, v42, s68
	s_wait_alu 0xfffd
	v_add_co_ci_u32_e64 v3, null, s69, v43, vcc_lo
	s_delay_alu instid0(VALU_DEP_2) | instskip(SKIP_1) | instid1(VALU_DEP_2)
	v_add_co_u32 v16, vcc_lo, v2, s52
	s_wait_alu 0xfffd
	v_add_co_ci_u32_e64 v17, null, s53, v3, vcc_lo
	s_delay_alu instid0(VALU_DEP_2) | instskip(SKIP_1) | instid1(VALU_DEP_2)
	v_add_co_u32 v20, vcc_lo, v16, s52
	s_wait_alu 0xfffd
	v_add_co_ci_u32_e64 v21, null, s53, v17, vcc_lo
	s_clause 0x3
	global_load_b128 v[8:11], v[42:43], off
	global_load_b128 v[12:15], v[2:3], off
	;; [unrolled: 1-line block ×4, first 2 shown]
	s_wait_loadcnt 0x3
	ds_store_2addr_b64 v155, v[8:9], v[10:11] offset1:1
	s_wait_loadcnt 0x2
	ds_store_2addr_b64 v158, v[12:13], v[14:15] offset1:1
	;; [unrolled: 2-line block ×4, first 2 shown]
.LBB26_95:                              ;   in Loop: Header=BB26_4 Depth=1
	s_and_not1_b32 vcc_lo, exec_lo, s23
	s_wait_alu 0xfffe
	s_cbranch_vccnz .LBB26_107
; %bb.96:                               ;   in Loop: Header=BB26_4 Depth=1
	s_and_saveexec_b32 s23, s3
	s_wait_alu 0xfffe
	s_xor_b32 s23, exec_lo, s23
; %bb.97:                               ;   in Loop: Header=BB26_4 Depth=1
	v_dual_mov_b32 v0, v1 :: v_dual_mov_b32 v3, v1
	v_mov_b32_e32 v2, v1
	ds_store_b128 v155, v[0:3]
; %bb.98:                               ;   in Loop: Header=BB26_4 Depth=1
	s_wait_alu 0xfffe
	s_or_saveexec_b32 s23, s23
	v_add_co_u32 v0, vcc_lo, v42, v140
	s_wait_alu 0xfffd
	v_add_co_ci_u32_e64 v2, null, v43, v141, vcc_lo
	s_lshl_b64 s[68:69], s[30:31], 4
	s_wait_alu 0xfffe
	v_add_co_u32 v0, vcc_lo, v0, s68
	s_wait_alu 0xfffd
	v_add_co_ci_u32_e64 v2, null, s69, v2, vcc_lo
	s_delay_alu instid0(VALU_DEP_2) | instskip(SKIP_1) | instid1(VALU_DEP_2)
	v_add_co_u32 v0, vcc_lo, 0xfffffdf0, v0
	s_wait_alu 0xfffd
	v_add_co_ci_u32_e64 v2, null, -1, v2, vcc_lo
	s_delay_alu instid0(VALU_DEP_2) | instskip(NEXT) | instid1(VALU_DEP_2)
	v_cndmask_b32_e64 v8, v0, v42, s16
	v_cndmask_b32_e64 v9, v2, v43, s16
	s_xor_b32 exec_lo, exec_lo, s23
	s_cbranch_execnz .LBB26_132
; %bb.99:                               ;   in Loop: Header=BB26_4 Depth=1
	s_or_b32 exec_lo, exec_lo, s23
	s_and_saveexec_b32 s23, s4
	s_wait_alu 0xfffe
	s_xor_b32 s23, exec_lo, s23
	s_cbranch_execnz .LBB26_133
.LBB26_100:                             ;   in Loop: Header=BB26_4 Depth=1
	s_wait_alu 0xfffe
	s_and_not1_saveexec_b32 s23, s23
	s_cbranch_execnz .LBB26_134
.LBB26_101:                             ;   in Loop: Header=BB26_4 Depth=1
	s_wait_alu 0xfffe
	s_or_b32 exec_lo, exec_lo, s23
	s_and_saveexec_b32 s23, s5
	s_wait_alu 0xfffe
	s_xor_b32 s23, exec_lo, s23
	s_cbranch_execnz .LBB26_135
.LBB26_102:                             ;   in Loop: Header=BB26_4 Depth=1
	s_wait_alu 0xfffe
	s_and_not1_saveexec_b32 s23, s23
	s_cbranch_execnz .LBB26_136
.LBB26_103:                             ;   in Loop: Header=BB26_4 Depth=1
	s_wait_alu 0xfffe
	s_or_b32 exec_lo, exec_lo, s23
	s_and_saveexec_b32 s23, s6
	s_wait_alu 0xfffe
	s_xor_b32 s23, exec_lo, s23
	s_cbranch_execnz .LBB26_137
.LBB26_104:                             ;   in Loop: Header=BB26_4 Depth=1
	s_wait_alu 0xfffe
	s_and_not1_saveexec_b32 s23, s23
	s_cbranch_execz .LBB26_106
.LBB26_105:                             ;   in Loop: Header=BB26_4 Depth=1
	s_lshl_b64 s[68:69], s[50:51], 4
	s_wait_alu 0xfffe
	v_add_co_u32 v2, vcc_lo, v8, s68
	s_wait_alu 0xfffd
	v_add_co_ci_u32_e64 v3, null, s69, v9, vcc_lo
	global_load_b128 v[10:13], v[2:3], off
	s_wait_loadcnt 0x0
	ds_store_2addr_b64 v160, v[10:11], v[12:13] offset1:1
.LBB26_106:                             ;   in Loop: Header=BB26_4 Depth=1
	s_wait_alu 0xfffe
	s_or_b32 exec_lo, exec_lo, s23
	v_add_co_u32 v0, vcc_lo, v8, v182
	s_wait_alu 0xfffd
	v_add_co_ci_u32_e64 v2, null, 0, v9, vcc_lo
	s_lshl_b64 s[68:69], s[54:55], 4
	s_wait_alu 0xfffe
	v_add_co_u32 v0, vcc_lo, v0, s68
	s_wait_alu 0xfffd
	v_add_co_ci_u32_e64 v2, null, s69, v2, vcc_lo
	s_delay_alu instid0(VALU_DEP_2) | instskip(SKIP_1) | instid1(VALU_DEP_2)
	v_add_co_u32 v0, vcc_lo, 0x210, v0
	s_wait_alu 0xfffd
	v_add_co_ci_u32_e64 v2, null, 0, v2, vcc_lo
	s_delay_alu instid0(VALU_DEP_2) | instskip(NEXT) | instid1(VALU_DEP_2)
	v_cndmask_b32_e64 v42, v0, v42, s16
	v_cndmask_b32_e64 v43, v2, v43, s16
.LBB26_107:                             ;   in Loop: Header=BB26_4 Depth=1
	s_wait_loadcnt_dscnt 0x0
	s_barrier_signal -1
	s_barrier_wait -1
	global_inv scope:SCOPE_SE
	ds_load_b128 v[8:11], v180
	ds_load_b128 v[12:15], v155
	;; [unrolled: 1-line block ×3, first 2 shown]
	ds_load_b128 v[20:23], v177 offset:384
	ds_load_b128 v[24:27], v177 offset:128
	;; [unrolled: 1-line block ×3, first 2 shown]
	s_wait_dscnt 0x4
	v_mul_f64_e32 v[2:3], v[10:11], v[14:15]
	v_mul_f64_e32 v[14:15], v[8:9], v[14:15]
	s_wait_dscnt 0x1
	v_mul_f64_e32 v[32:33], v[26:27], v[18:19]
	v_mul_f64_e32 v[18:19], v[24:25], v[18:19]
	s_delay_alu instid0(VALU_DEP_4) | instskip(NEXT) | instid1(VALU_DEP_4)
	v_fma_f64 v[2:3], v[8:9], v[12:13], -v[2:3]
	v_fma_f64 v[34:35], v[10:11], v[12:13], v[14:15]
	ds_load_b128 v[8:11], v159
	ds_load_b128 v[12:15], v160
	v_fma_f64 v[24:25], v[24:25], v[16:17], -v[32:33]
	v_fma_f64 v[16:17], v[26:27], v[16:17], v[18:19]
	s_wait_dscnt 0x1
	v_mul_f64_e32 v[36:37], v[30:31], v[10:11]
	v_mul_f64_e32 v[10:11], v[28:29], v[10:11]
	s_wait_dscnt 0x0
	v_mul_f64_e32 v[26:27], v[22:23], v[14:15]
	v_mul_f64_e32 v[14:15], v[20:21], v[14:15]
	v_add_f64_e32 v[2:3], 0, v[2:3]
	v_add_f64_e32 v[18:19], 0, v[34:35]
	v_fma_f64 v[28:29], v[28:29], v[8:9], -v[36:37]
	v_fma_f64 v[8:9], v[30:31], v[8:9], v[10:11]
	s_delay_alu instid0(VALU_DEP_4) | instskip(NEXT) | instid1(VALU_DEP_4)
	v_add_f64_e32 v[2:3], v[2:3], v[24:25]
	v_add_f64_e32 v[10:11], v[18:19], v[16:17]
	v_fma_f64 v[16:17], v[20:21], v[12:13], -v[26:27]
	v_fma_f64 v[12:13], v[22:23], v[12:13], v[14:15]
	s_delay_alu instid0(VALU_DEP_4) | instskip(NEXT) | instid1(VALU_DEP_4)
	v_add_f64_e32 v[2:3], v[2:3], v[28:29]
	v_add_f64_e32 v[8:9], v[10:11], v[8:9]
	s_delay_alu instid0(VALU_DEP_2) | instskip(NEXT) | instid1(VALU_DEP_2)
	v_add_f64_e32 v[44:45], v[2:3], v[16:17]
	v_add_f64_e32 v[46:47], v[8:9], v[12:13]
	ds_load_b128 v[32:35], v169
	ds_load_b128 v[24:27], v169 offset:16
	ds_load_b128 v[12:15], v169 offset:32
	ds_load_b128 v[8:11], v169 offset:48
	ds_load_b128 v[36:39], v167 offset:512
	ds_load_b128 v[28:31], v167 offset:528
	ds_load_b128 v[20:23], v167 offset:544
	ds_load_b128 v[16:19], v167 offset:560
	s_wait_loadcnt_dscnt 0x0
	s_barrier_signal -1
	s_barrier_wait -1
	global_inv scope:SCOPE_SE
	ds_store_b128 v168, v[44:47]
	s_wait_loadcnt_dscnt 0x0
	s_barrier_signal -1
	s_barrier_wait -1
	global_inv scope:SCOPE_SE
	s_and_saveexec_b32 s23, s21
	s_cbranch_execz .LBB26_109
; %bb.108:                              ;   in Loop: Header=BB26_4 Depth=1
	ds_load_b128 v[44:47], v165
	ds_load_b128 v[48:51], v165 offset:16
	s_wait_dscnt 0x1
	v_add_f64_e32 v[2:3], v[4:5], v[44:45]
	v_add_f64_e32 v[4:5], v[6:7], v[46:47]
	s_wait_dscnt 0x0
	s_delay_alu instid0(VALU_DEP_2) | instskip(NEXT) | instid1(VALU_DEP_2)
	v_add_f64_e32 v[6:7], v[2:3], v[48:49]
	v_add_f64_e32 v[48:49], v[4:5], v[50:51]
	ds_load_b128 v[2:5], v165 offset:32
	ds_load_b128 v[44:47], v165 offset:48
	s_wait_dscnt 0x1
	v_add_f64_e32 v[2:3], v[6:7], v[2:3]
	v_add_f64_e32 v[4:5], v[48:49], v[4:5]
	s_wait_dscnt 0x0
	s_delay_alu instid0(VALU_DEP_2) | instskip(NEXT) | instid1(VALU_DEP_2)
	v_add_f64_e32 v[6:7], v[2:3], v[44:45]
	v_add_f64_e32 v[48:49], v[4:5], v[46:47]
	ds_load_b128 v[2:5], v165 offset:64
	;; [unrolled: 9-line block ×3, first 2 shown]
	ds_load_b128 v[44:47], v165 offset:112
	s_wait_dscnt 0x1
	v_add_f64_e32 v[2:3], v[6:7], v[2:3]
	v_add_f64_e32 v[6:7], v[48:49], v[4:5]
	s_wait_dscnt 0x0
	s_delay_alu instid0(VALU_DEP_2) | instskip(NEXT) | instid1(VALU_DEP_2)
	v_add_f64_e32 v[4:5], v[2:3], v[44:45]
	v_add_f64_e32 v[6:7], v[6:7], v[46:47]
.LBB26_109:                             ;   in Loop: Header=BB26_4 Depth=1
	s_wait_alu 0xfffe
	s_or_b32 exec_lo, exec_lo, s23
	v_mul_f64_e32 v[2:3], v[34:35], v[38:39]
	v_mul_f64_e32 v[34:35], v[34:35], v[36:37]
	;; [unrolled: 1-line block ×4, first 2 shown]
	s_wait_loadcnt 0x0
	s_barrier_signal -1
	s_barrier_wait -1
	global_inv scope:SCOPE_SE
	v_fma_f64 v[2:3], v[32:33], v[36:37], v[2:3]
	v_fma_f64 v[32:33], v[32:33], v[38:39], -v[34:35]
	v_mul_f64_e32 v[34:35], v[14:15], v[22:23]
	v_mul_f64_e32 v[14:15], v[14:15], v[20:21]
	v_fma_f64 v[28:29], v[24:25], v[28:29], v[44:45]
	v_fma_f64 v[24:25], v[24:25], v[30:31], -v[26:27]
	v_mul_f64_e32 v[30:31], v[10:11], v[18:19]
	v_mul_f64_e32 v[10:11], v[10:11], v[16:17]
	v_add_f64_e32 v[2:3], 0, v[2:3]
	v_add_f64_e32 v[26:27], 0, v[32:33]
	v_fma_f64 v[20:21], v[12:13], v[20:21], v[34:35]
	v_fma_f64 v[12:13], v[12:13], v[22:23], -v[14:15]
	v_fma_f64 v[16:17], v[8:9], v[16:17], v[30:31]
	v_fma_f64 v[10:11], v[8:9], v[18:19], -v[10:11]
	v_add_f64_e32 v[2:3], v[2:3], v[28:29]
	v_add_f64_e32 v[14:15], v[26:27], v[24:25]
	s_delay_alu instid0(VALU_DEP_2) | instskip(NEXT) | instid1(VALU_DEP_2)
	v_add_f64_e32 v[2:3], v[2:3], v[20:21]
	v_add_f64_e32 v[12:13], v[14:15], v[12:13]
	s_delay_alu instid0(VALU_DEP_2) | instskip(NEXT) | instid1(VALU_DEP_2)
	v_add_f64_e32 v[8:9], v[2:3], v[16:17]
	v_add_f64_e32 v[10:11], v[12:13], v[10:11]
	ds_store_b128 v168, v[8:11]
	s_wait_loadcnt_dscnt 0x0
	s_barrier_signal -1
	s_barrier_wait -1
	global_inv scope:SCOPE_SE
	s_and_saveexec_b32 s23, s15
	s_cbranch_execz .LBB26_111
; %bb.110:                              ;   in Loop: Header=BB26_4 Depth=1
	ds_load_b128 v[8:11], v165
	ds_load_b128 v[12:15], v165 offset:16
	s_wait_dscnt 0x1
	v_add_f64_e32 v[2:3], v[4:5], v[8:9]
	v_add_f64_e32 v[4:5], v[6:7], v[10:11]
	s_wait_dscnt 0x0
	s_delay_alu instid0(VALU_DEP_2) | instskip(NEXT) | instid1(VALU_DEP_2)
	v_add_f64_e32 v[10:11], v[2:3], v[12:13]
	v_add_f64_e32 v[12:13], v[4:5], v[14:15]
	ds_load_b128 v[2:5], v165 offset:32
	ds_load_b128 v[6:9], v165 offset:48
	s_wait_dscnt 0x1
	v_add_f64_e32 v[2:3], v[10:11], v[2:3]
	v_add_f64_e32 v[4:5], v[12:13], v[4:5]
	s_wait_dscnt 0x0
	s_delay_alu instid0(VALU_DEP_2) | instskip(NEXT) | instid1(VALU_DEP_2)
	v_add_f64_e32 v[10:11], v[2:3], v[6:7]
	v_add_f64_e32 v[12:13], v[4:5], v[8:9]
	ds_load_b128 v[2:5], v165 offset:64
	;; [unrolled: 9-line block ×3, first 2 shown]
	ds_load_b128 v[6:9], v165 offset:112
	s_wait_dscnt 0x1
	v_add_f64_e32 v[2:3], v[10:11], v[2:3]
	v_add_f64_e32 v[10:11], v[12:13], v[4:5]
	s_wait_dscnt 0x0
	s_delay_alu instid0(VALU_DEP_2) | instskip(NEXT) | instid1(VALU_DEP_2)
	v_add_f64_e32 v[4:5], v[2:3], v[6:7]
	v_add_f64_e32 v[6:7], v[10:11], v[8:9]
.LBB26_111:                             ;   in Loop: Header=BB26_4 Depth=1
	s_wait_alu 0xfffe
	s_or_b32 exec_lo, exec_lo, s23
	s_mul_u64 s[68:69], s[28:29], s[34:35]
	s_and_not1_b32 vcc_lo, exec_lo, s73
	s_wait_alu 0xfffe
	s_lshl_b64 s[68:69], s[68:69], 4
	s_wait_loadcnt 0x0
	s_wait_alu 0xfffe
	s_add_nc_u64 s[68:69], s[42:43], s[68:69]
	s_barrier_signal -1
	s_barrier_wait -1
	global_inv scope:SCOPE_SE
	s_cbranch_vccnz .LBB26_118
; %bb.112:                              ;   in Loop: Header=BB26_4 Depth=1
	v_add_co_u32 v0, vcc_lo, v42, s66
	s_wait_alu 0xfffd
	v_add_co_ci_u32_e64 v2, null, s67, v43, vcc_lo
	s_lshl_b64 s[70:71], s[30:31], 4
	v_add_co_u32 v0, vcc_lo, v0, v142
	s_wait_alu 0xfffd
	v_add_co_ci_u32_e64 v2, null, v2, v143, vcc_lo
	s_mov_b32 s23, ttmp9
	v_add_co_u32 v0, vcc_lo, v0, v144
	s_wait_alu 0xfffd
	v_add_co_ci_u32_e64 v2, null, v2, v145, vcc_lo
	s_delay_alu instid0(VALU_DEP_2) | instskip(SKIP_1) | instid1(VALU_DEP_2)
	v_add_co_u32 v3, vcc_lo, v0, v146
	s_wait_alu 0xfffd
	v_add_co_ci_u32_e64 v8, null, v2, v147, vcc_lo
	s_wait_alu 0xfffe
	s_delay_alu instid0(VALU_DEP_2) | instskip(SKIP_1) | instid1(VALU_DEP_2)
	v_add_co_u32 v3, vcc_lo, v3, s70
	s_wait_alu 0xfffd
	v_add_co_ci_u32_e64 v8, null, s71, v8, vcc_lo
	v_add_co_u32 v0, vcc_lo, 0xfffffe00, v0
	s_wait_alu 0xfffd
	v_add_co_ci_u32_e64 v2, null, -1, v2, vcc_lo
	v_add_co_u32 v9, vcc_lo, 0xfffffdf0, v3
	s_wait_alu 0xfffd
	v_add_co_ci_u32_e64 v3, null, -1, v8, vcc_lo
	v_add_co_u32 v183, vcc_lo, v40, s64
	s_wait_alu 0xfffd
	v_add_co_ci_u32_e64 v184, null, s65, v41, vcc_lo
	s_delay_alu instid0(VALU_DEP_3)
	v_cndmask_b32_e64 v3, v2, v3, s1
	v_cndmask_b32_e64 v2, v0, v9, s1
	v_mov_b32_e32 v0, v150
	s_mov_b32 s70, 0
	s_branch .LBB26_114
.LBB26_113:                             ;   in Loop: Header=BB26_114 Depth=2
	s_wait_alu 0xfffe
	s_or_b32 exec_lo, exec_lo, s71
	v_mul_f64_e32 v[112:113], v[18:19], v[26:27]
	v_mul_f64_e32 v[26:27], v[16:17], v[26:27]
	;; [unrolled: 1-line block ×4, first 2 shown]
	v_add_co_u32 v2, vcc_lo, v2, s58
	v_add_nc_u32_e32 v0, 64, v0
	s_wait_alu 0xfffd
	v_add_co_ci_u32_e64 v3, null, s59, v3, vcc_lo
	s_add_co_i32 s23, s23, -1
	s_add_co_i32 s70, s70, s74
	s_wait_alu 0xfffe
	s_cmp_eq_u32 s23, 0
	s_wait_loadcnt 0x0
	s_wait_storecnt 0x0
	s_barrier_signal -1
	s_barrier_wait -1
	global_inv scope:SCOPE_SE
	v_fma_f64 v[16:17], v[16:17], v[24:25], -v[112:113]
	v_fma_f64 v[18:19], v[18:19], v[24:25], v[26:27]
	v_mul_f64_e32 v[24:25], v[14:15], v[38:39]
	v_mul_f64_e32 v[26:27], v[12:13], v[38:39]
	v_fma_f64 v[20:21], v[20:21], v[40:41], -v[114:115]
	v_fma_f64 v[22:23], v[22:23], v[40:41], v[42:43]
	v_add_f64_e32 v[4:5], v[4:5], v[16:17]
	v_add_f64_e32 v[6:7], v[6:7], v[18:19]
	v_mul_f64_e32 v[16:17], v[10:11], v[34:35]
	v_mul_f64_e32 v[18:19], v[8:9], v[34:35]
	v_fma_f64 v[12:13], v[12:13], v[36:37], -v[24:25]
	v_fma_f64 v[14:15], v[14:15], v[36:37], v[26:27]
	v_add_f64_e32 v[4:5], v[4:5], v[20:21]
	v_add_f64_e32 v[6:7], v[6:7], v[22:23]
	;; [unrolled: 6-line block ×14, first 2 shown]
	v_fma_f64 v[8:9], v[124:125], v[128:129], -v[8:9]
	v_fma_f64 v[10:11], v[126:127], v[128:129], v[10:11]
	s_delay_alu instid0(VALU_DEP_4) | instskip(NEXT) | instid1(VALU_DEP_4)
	v_add_f64_e32 v[4:5], v[4:5], v[12:13]
	v_add_f64_e32 v[6:7], v[6:7], v[14:15]
	s_delay_alu instid0(VALU_DEP_2) | instskip(NEXT) | instid1(VALU_DEP_2)
	v_add_f64_e32 v[4:5], v[4:5], v[8:9]
	v_add_f64_e32 v[6:7], v[6:7], v[10:11]
	s_cbranch_scc1 .LBB26_118
.LBB26_114:                             ;   Parent Loop BB26_4 Depth=1
                                        ; =>  This Inner Loop Header: Depth=2
	s_and_saveexec_b32 s76, s0
	s_cbranch_execz .LBB26_116
; %bb.115:                              ;   in Loop: Header=BB26_114 Depth=2
	s_wait_alu 0xfffe
	s_ashr_i32 s71, s70, 31
	s_wait_alu 0xfffe
	s_lshl_b64 s[78:79], s[70:71], 4
	s_wait_alu 0xfffe
	v_add_co_u32 v8, vcc_lo, v183, s78
	s_wait_alu 0xfffd
	v_add_co_ci_u32_e64 v9, null, s79, v184, vcc_lo
	global_load_b128 v[8:11], v[8:9], off
	s_wait_loadcnt 0x0
	ds_store_2addr_b64 v170, v[8:9], v[10:11] offset1:1
.LBB26_116:                             ;   in Loop: Header=BB26_114 Depth=2
	s_or_b32 exec_lo, exec_lo, s76
	v_add_co_u32 v8, vcc_lo, v2, s56
	s_wait_alu 0xfffd
	v_add_co_ci_u32_e64 v9, null, s57, v3, vcc_lo
	s_wait_loadcnt_dscnt 0x0
	s_delay_alu instid0(VALU_DEP_2) | instskip(SKIP_1) | instid1(VALU_DEP_2)
	v_add_co_u32 v10, vcc_lo, v8, s56
	s_wait_alu 0xfffd
	v_add_co_ci_u32_e64 v11, null, s57, v9, vcc_lo
	s_barrier_signal -1
	s_barrier_wait -1
	global_inv scope:SCOPE_SE
	global_load_b128 v[16:19], v[2:3], off
	v_add_co_u32 v2, vcc_lo, v10, s56
	s_wait_alu 0xfffd
	v_add_co_ci_u32_e64 v3, null, s57, v11, vcc_lo
	s_clause 0x2
	global_load_b128 v[20:23], v[8:9], off
	global_load_b128 v[12:15], v[10:11], off
	;; [unrolled: 1-line block ×3, first 2 shown]
	ds_load_b128 v[28:31], v154
	ds_load_b128 v[24:27], v171
	v_add_co_u32 v2, vcc_lo, v2, s58
	s_wait_alu 0xfffd
	v_add_co_ci_u32_e64 v3, null, s59, v3, vcc_lo
	s_wait_loadcnt_dscnt 0x301
	v_mul_f64_e32 v[32:33], v[18:19], v[30:31]
	v_mul_f64_e32 v[34:35], v[18:19], v[28:29]
	s_wait_loadcnt 0x2
	v_mul_f64_e32 v[36:37], v[22:23], v[30:31]
	v_mul_f64_e32 v[38:39], v[22:23], v[28:29]
	s_wait_loadcnt 0x1
	;; [unrolled: 3-line block ×3, first 2 shown]
	v_mul_f64_e32 v[56:57], v[10:11], v[30:31]
	v_mul_f64_e32 v[58:59], v[10:11], v[28:29]
	v_fma_f64 v[44:45], v[16:17], v[28:29], v[32:33]
	v_fma_f64 v[46:47], v[16:17], v[30:31], -v[34:35]
	v_fma_f64 v[48:49], v[20:21], v[28:29], v[36:37]
	v_fma_f64 v[50:51], v[20:21], v[30:31], -v[38:39]
	;; [unrolled: 2-line block ×4, first 2 shown]
	v_add_co_u32 v56, vcc_lo, v2, s56
	s_wait_alu 0xfffd
	v_add_co_ci_u32_e64 v57, null, s57, v3, vcc_lo
	ds_load_b128 v[40:43], v171 offset:16
	ds_load_b128 v[36:39], v171 offset:32
	v_add_co_u32 v58, vcc_lo, v56, s56
	s_wait_alu 0xfffd
	v_add_co_ci_u32_e64 v59, null, s57, v57, vcc_lo
	ds_load_b128 v[32:35], v171 offset:48
	ds_store_b128 v172, v[44:47]
	ds_store_b128 v172, v[48:51] offset:1072
	ds_store_b128 v172, v[52:55] offset:2144
	;; [unrolled: 1-line block ×3, first 2 shown]
	s_wait_dscnt 0x0
	s_barrier_signal -1
	s_barrier_wait -1
	global_inv scope:SCOPE_SE
	ds_load_b128 v[80:83], v173
	ds_load_b128 v[84:87], v173 offset:16
	ds_load_b128 v[88:91], v173 offset:32
	ds_load_b128 v[92:95], v173 offset:48
	s_wait_loadcnt_dscnt 0x0
	s_barrier_signal -1
	s_barrier_wait -1
	global_inv scope:SCOPE_SE
	global_load_b128 v[28:31], v[2:3], off
	v_add_co_u32 v2, vcc_lo, v58, s56
	s_wait_alu 0xfffd
	v_add_co_ci_u32_e64 v3, null, s57, v59, vcc_lo
	s_clause 0x2
	global_load_b128 v[52:55], v[56:57], off
	global_load_b128 v[48:51], v[58:59], off
	;; [unrolled: 1-line block ×3, first 2 shown]
	ds_load_b128 v[60:63], v154
	ds_load_b128 v[56:59], v171 offset:256
	v_add_co_u32 v2, vcc_lo, v2, s58
	s_wait_alu 0xfffd
	v_add_co_ci_u32_e64 v3, null, s59, v3, vcc_lo
	v_add_f64_e32 v[80:81], 0, v[80:81]
	v_add_f64_e32 v[82:83], 0, v[82:83]
	s_delay_alu instid0(VALU_DEP_2) | instskip(NEXT) | instid1(VALU_DEP_2)
	v_add_f64_e32 v[80:81], v[80:81], v[84:85]
	v_add_f64_e32 v[82:83], v[82:83], v[86:87]
	s_delay_alu instid0(VALU_DEP_2) | instskip(NEXT) | instid1(VALU_DEP_2)
	;; [unrolled: 3-line block ×3, first 2 shown]
	v_add_f64_e32 v[112:113], v[80:81], v[92:93]
	v_add_f64_e32 v[114:115], v[82:83], v[94:95]
	s_wait_loadcnt_dscnt 0x301
	v_mul_f64_e32 v[64:65], v[30:31], v[62:63]
	v_mul_f64_e32 v[66:67], v[30:31], v[60:61]
	s_wait_loadcnt 0x2
	v_mul_f64_e32 v[68:69], v[54:55], v[62:63]
	v_mul_f64_e32 v[70:71], v[54:55], v[60:61]
	s_wait_loadcnt 0x1
	;; [unrolled: 3-line block ×3, first 2 shown]
	v_mul_f64_e32 v[104:105], v[46:47], v[62:63]
	v_mul_f64_e32 v[106:107], v[46:47], v[60:61]
	v_fma_f64 v[76:77], v[28:29], v[60:61], v[64:65]
	v_fma_f64 v[78:79], v[28:29], v[62:63], -v[66:67]
	v_fma_f64 v[96:97], v[52:53], v[60:61], v[68:69]
	v_fma_f64 v[98:99], v[52:53], v[62:63], -v[70:71]
	;; [unrolled: 2-line block ×4, first 2 shown]
	ds_load_b128 v[72:75], v171 offset:272
	ds_load_b128 v[68:71], v171 offset:288
	;; [unrolled: 1-line block ×3, first 2 shown]
	ds_store_b128 v172, v[76:79]
	ds_store_b128 v172, v[96:99] offset:1072
	ds_store_b128 v172, v[100:103] offset:2144
	;; [unrolled: 1-line block ×3, first 2 shown]
	s_wait_dscnt 0x0
	s_barrier_signal -1
	s_barrier_wait -1
	global_inv scope:SCOPE_SE
	ds_load_b128 v[96:99], v173
	ds_load_b128 v[100:103], v173 offset:16
	ds_load_b128 v[104:107], v173 offset:32
	;; [unrolled: 1-line block ×3, first 2 shown]
	s_wait_loadcnt_dscnt 0x0
	s_barrier_signal -1
	s_barrier_wait -1
	global_inv scope:SCOPE_SE
	global_load_b128 v[60:63], v[2:3], off
	v_add_co_u32 v2, vcc_lo, v2, s56
	s_wait_alu 0xfffd
	v_add_co_ci_u32_e64 v3, null, s57, v3, vcc_lo
	ds_load_b128 v[116:119], v154
	ds_load_b128 v[80:83], v171 offset:512
	global_load_b128 v[76:79], v[2:3], off
	v_add_co_u32 v2, vcc_lo, v2, s56
	s_wait_alu 0xfffd
	v_add_co_ci_u32_e64 v3, null, s57, v3, vcc_lo
	s_delay_alu instid0(VALU_DEP_2) | instskip(SKIP_1) | instid1(VALU_DEP_2)
	v_add_co_u32 v128, vcc_lo, v2, s56
	s_wait_alu 0xfffd
	v_add_co_ci_u32_e64 v129, null, s57, v3, vcc_lo
	s_wait_loadcnt_dscnt 0x101
	v_mul_f64_e32 v[84:85], v[62:63], v[118:119]
	v_mul_f64_e32 v[86:87], v[62:63], v[116:117]
	s_wait_loadcnt 0x0
	v_mul_f64_e32 v[88:89], v[78:79], v[118:119]
	s_delay_alu instid0(VALU_DEP_3) | instskip(SKIP_1) | instid1(VALU_DEP_4)
	v_fma_f64 v[92:93], v[60:61], v[116:117], v[84:85]
	v_mul_f64_e32 v[84:85], v[78:79], v[116:117]
	v_fma_f64 v[94:95], v[60:61], v[118:119], -v[86:87]
	s_delay_alu instid0(VALU_DEP_4) | instskip(NEXT) | instid1(VALU_DEP_3)
	v_fma_f64 v[120:121], v[76:77], v[116:117], v[88:89]
	v_fma_f64 v[122:123], v[76:77], v[118:119], -v[84:85]
	global_load_b128 v[84:87], v[2:3], off
	ds_store_b128 v172, v[92:95]
	s_wait_loadcnt 0x0
	v_mul_f64_e32 v[88:89], v[86:87], v[116:117]
	v_mul_f64_e32 v[2:3], v[86:87], v[118:119]
	s_delay_alu instid0(VALU_DEP_2)
	v_fma_f64 v[126:127], v[84:85], v[118:119], -v[88:89]
	global_load_b128 v[88:91], v[128:129], off
	v_fma_f64 v[124:125], v[84:85], v[116:117], v[2:3]
	ds_store_b128 v172, v[120:123] offset:1072
	ds_store_b128 v172, v[124:127] offset:2144
	s_wait_loadcnt 0x0
	v_mul_f64_e32 v[2:3], v[90:91], v[118:119]
	v_mul_f64_e32 v[130:131], v[90:91], v[116:117]
	s_delay_alu instid0(VALU_DEP_2) | instskip(SKIP_2) | instid1(VALU_DEP_4)
	v_fma_f64 v[116:117], v[88:89], v[116:117], v[2:3]
	v_add_f64_e32 v[2:3], 0, v[96:97]
	v_add_f64_e32 v[96:97], 0, v[98:99]
	v_fma_f64 v[118:119], v[88:89], v[118:119], -v[130:131]
	s_delay_alu instid0(VALU_DEP_3) | instskip(NEXT) | instid1(VALU_DEP_3)
	v_add_f64_e32 v[2:3], v[2:3], v[100:101]
	v_add_f64_e32 v[96:97], v[96:97], v[102:103]
	s_delay_alu instid0(VALU_DEP_2) | instskip(NEXT) | instid1(VALU_DEP_2)
	v_add_f64_e32 v[2:3], v[2:3], v[104:105]
	v_add_f64_e32 v[96:97], v[96:97], v[106:107]
	s_delay_alu instid0(VALU_DEP_2) | instskip(SKIP_3) | instid1(VALU_DEP_4)
	v_add_f64_e32 v[185:186], v[2:3], v[108:109]
	v_add_co_u32 v2, vcc_lo, v128, s58
	s_wait_alu 0xfffd
	v_add_co_ci_u32_e64 v3, null, s59, v129, vcc_lo
	v_add_f64_e32 v[187:188], v[96:97], v[110:111]
	ds_load_b128 v[108:111], v171 offset:528
	ds_load_b128 v[104:107], v171 offset:544
	ds_store_b128 v172, v[116:119] offset:3216
	ds_load_b128 v[100:103], v171 offset:560
	s_wait_dscnt 0x0
	s_barrier_signal -1
	s_barrier_wait -1
	global_inv scope:SCOPE_SE
	ds_load_b128 v[128:131], v173
	ds_load_b128 v[132:135], v173 offset:16
	ds_load_b128 v[136:139], v173 offset:32
	;; [unrolled: 1-line block ×3, first 2 shown]
	s_wait_loadcnt_dscnt 0x0
	s_barrier_signal -1
	s_barrier_wait -1
	global_inv scope:SCOPE_SE
	global_load_b128 v[92:95], v[2:3], off
	ds_load_b128 v[193:196], v154
	ds_load_b128 v[96:99], v171 offset:768
	v_add_co_u32 v201, vcc_lo, v2, s56
	s_wait_alu 0xfffd
	v_add_co_ci_u32_e64 v202, null, s57, v3, vcc_lo
	s_delay_alu instid0(VALU_DEP_2) | instskip(SKIP_1) | instid1(VALU_DEP_2)
	v_add_co_u32 v120, vcc_lo, v201, s56
	s_wait_alu 0xfffd
	v_add_co_ci_u32_e64 v121, null, s57, v202, vcc_lo
	v_add_f64_e32 v[128:129], 0, v[128:129]
	v_add_f64_e32 v[130:131], 0, v[130:131]
	s_delay_alu instid0(VALU_DEP_2) | instskip(NEXT) | instid1(VALU_DEP_2)
	v_add_f64_e32 v[128:129], v[128:129], v[132:133]
	v_add_f64_e32 v[130:131], v[130:131], v[134:135]
	s_delay_alu instid0(VALU_DEP_2) | instskip(NEXT) | instid1(VALU_DEP_2)
	;; [unrolled: 3-line block ×3, first 2 shown]
	v_add_f64_e32 v[189:190], v[128:129], v[189:190]
	v_add_f64_e32 v[191:192], v[130:131], v[191:192]
	s_wait_loadcnt_dscnt 0x1
	v_mul_f64_e32 v[116:117], v[94:95], v[193:194]
	v_mul_f64_e32 v[2:3], v[94:95], v[195:196]
	s_delay_alu instid0(VALU_DEP_2)
	v_fma_f64 v[199:200], v[92:93], v[195:196], -v[116:117]
	global_load_b128 v[116:119], v[201:202], off
	v_fma_f64 v[197:198], v[92:93], v[193:194], v[2:3]
	s_wait_loadcnt 0x0
	v_mul_f64_e32 v[2:3], v[118:119], v[195:196]
	v_mul_f64_e32 v[122:123], v[118:119], v[193:194]
	s_delay_alu instid0(VALU_DEP_2) | instskip(SKIP_1) | instid1(VALU_DEP_3)
	v_fma_f64 v[201:202], v[116:117], v[193:194], v[2:3]
	v_add_co_u32 v2, vcc_lo, v120, s56
	v_fma_f64 v[203:204], v[116:117], v[195:196], -v[122:123]
	s_wait_alu 0xfffd
	v_add_co_ci_u32_e64 v3, null, s57, v121, vcc_lo
	global_load_b128 v[120:123], v[120:121], off
	s_wait_loadcnt 0x0
	v_mul_f64_e32 v[124:125], v[122:123], v[195:196]
	v_mul_f64_e32 v[126:127], v[122:123], v[193:194]
	s_delay_alu instid0(VALU_DEP_2) | instskip(NEXT) | instid1(VALU_DEP_2)
	v_fma_f64 v[205:206], v[120:121], v[193:194], v[124:125]
	v_fma_f64 v[207:208], v[120:121], v[195:196], -v[126:127]
	global_load_b128 v[124:127], v[2:3], off
	s_wait_loadcnt 0x0
	v_mul_f64_e32 v[209:210], v[126:127], v[195:196]
	v_mul_f64_e32 v[211:212], v[126:127], v[193:194]
	s_delay_alu instid0(VALU_DEP_2) | instskip(NEXT) | instid1(VALU_DEP_2)
	v_fma_f64 v[193:194], v[124:125], v[193:194], v[209:210]
	v_fma_f64 v[195:196], v[124:125], v[195:196], -v[211:212]
	ds_store_b128 v172, v[197:200]
	ds_store_b128 v172, v[201:204] offset:1072
	ds_store_b128 v172, v[205:208] offset:2144
	;; [unrolled: 1-line block ×3, first 2 shown]
	ds_load_b128 v[136:139], v171 offset:784
	ds_load_b128 v[132:135], v171 offset:800
	;; [unrolled: 1-line block ×3, first 2 shown]
	s_wait_dscnt 0x0
	s_barrier_signal -1
	s_barrier_wait -1
	global_inv scope:SCOPE_SE
	ds_load_b128 v[193:196], v173
	ds_load_b128 v[197:200], v173 offset:16
	s_wait_dscnt 0x1
	v_add_f64_e32 v[193:194], 0, v[193:194]
	v_add_f64_e32 v[195:196], 0, v[195:196]
	s_wait_dscnt 0x0
	s_delay_alu instid0(VALU_DEP_2) | instskip(NEXT) | instid1(VALU_DEP_2)
	v_add_f64_e32 v[201:202], v[193:194], v[197:198]
	v_add_f64_e32 v[203:204], v[195:196], v[199:200]
	ds_load_b128 v[193:196], v173 offset:32
	ds_load_b128 v[197:200], v173 offset:48
	s_wait_loadcnt_dscnt 0x0
	s_barrier_signal -1
	s_barrier_wait -1
	global_inv scope:SCOPE_SE
	v_add_f64_e32 v[193:194], v[201:202], v[193:194]
	v_add_f64_e32 v[195:196], v[203:204], v[195:196]
	s_delay_alu instid0(VALU_DEP_2) | instskip(NEXT) | instid1(VALU_DEP_2)
	v_add_f64_e32 v[193:194], v[193:194], v[197:198]
	v_add_f64_e32 v[195:196], v[195:196], v[199:200]
	ds_store_b128 v181, v[112:115]
	ds_store_b128 v181, v[185:188] offset:256
	ds_store_b128 v181, v[189:192] offset:512
	;; [unrolled: 1-line block ×3, first 2 shown]
	s_wait_loadcnt_dscnt 0x0
	s_barrier_signal -1
	s_barrier_wait -1
	global_inv scope:SCOPE_SE
	s_and_saveexec_b32 s71, s22
	s_cbranch_execz .LBB26_113
; %bb.117:                              ;   in Loop: Header=BB26_114 Depth=2
	ds_load_b128 v[112:115], v174
	ds_load_b128 v[185:188], v174 offset:16
	s_wait_dscnt 0x0
	v_add_f64_e32 v[189:190], v[185:186], v[112:113]
	v_add_f64_e32 v[191:192], v[187:188], v[114:115]
	ds_load_b128 v[112:115], v174 offset:32
	ds_load_b128 v[185:188], v174 offset:48
	s_wait_dscnt 0x1
	v_add_f64_e32 v[112:113], v[189:190], v[112:113]
	v_add_f64_e32 v[114:115], v[191:192], v[114:115]
	s_wait_dscnt 0x0
	s_delay_alu instid0(VALU_DEP_2) | instskip(NEXT) | instid1(VALU_DEP_2)
	v_add_f64_e32 v[189:190], v[112:113], v[185:186]
	v_add_f64_e32 v[191:192], v[114:115], v[187:188]
	ds_load_b128 v[112:115], v174 offset:64
	ds_load_b128 v[185:188], v174 offset:80
	s_wait_dscnt 0x1
	v_add_f64_e32 v[112:113], v[189:190], v[112:113]
	v_add_f64_e32 v[114:115], v[191:192], v[114:115]
	s_wait_dscnt 0x0
	s_delay_alu instid0(VALU_DEP_2) | instskip(NEXT) | instid1(VALU_DEP_2)
	;; [unrolled: 9-line block ×6, first 2 shown]
	v_add_f64_e32 v[189:190], v[112:113], v[185:186]
	v_add_f64_e32 v[191:192], v[114:115], v[187:188]
	ds_load_b128 v[112:115], v174 offset:224
	ds_load_b128 v[185:188], v175
	s_wait_dscnt 0x1
	v_add_f64_e32 v[112:113], v[189:190], v[112:113]
	v_add_f64_e32 v[114:115], v[191:192], v[114:115]
	s_wait_dscnt 0x0
	s_delay_alu instid0(VALU_DEP_2) | instskip(NEXT) | instid1(VALU_DEP_2)
	v_add_f64_e32 v[112:113], v[112:113], v[185:186]
	v_add_f64_e32 v[114:115], v[114:115], v[187:188]
	v_lshlrev_b64_e32 v[185:186], 4, v[0:1]
	s_wait_alu 0xfffe
	s_delay_alu instid0(VALU_DEP_1) | instskip(SKIP_1) | instid1(VALU_DEP_2)
	v_add_co_u32 v185, vcc_lo, s68, v185
	s_wait_alu 0xfffd
	v_add_co_ci_u32_e64 v186, null, s69, v186, vcc_lo
	global_store_b128 v[185:186], v[112:115], off
	s_branch .LBB26_113
.LBB26_118:                             ;   in Loop: Header=BB26_4 Depth=1
	ds_store_b128 v176, v[4:7]
	s_wait_loadcnt_dscnt 0x0
	s_barrier_signal -1
	s_barrier_wait -1
	global_inv scope:SCOPE_SE
	s_and_saveexec_b32 s23, s75
	s_cbranch_execz .LBB26_2
; %bb.119:                              ;   in Loop: Header=BB26_4 Depth=1
	ds_load_b128 v[2:5], v153 offset:1072
	ds_load_b128 v[6:9], v153
	s_wait_dscnt 0x0
	v_add_f64_e32 v[10:11], v[2:3], v[6:7]
	v_add_f64_e32 v[12:13], v[4:5], v[8:9]
	ds_load_b128 v[2:5], v153 offset:2144
	ds_load_b128 v[6:9], v153 offset:3216
	s_wait_dscnt 0x1
	v_add_f64_e32 v[2:3], v[10:11], v[2:3]
	v_add_f64_e32 v[4:5], v[12:13], v[4:5]
	s_wait_dscnt 0x0
	s_delay_alu instid0(VALU_DEP_2) | instskip(NEXT) | instid1(VALU_DEP_2)
	v_add_f64_e32 v[2:3], v[2:3], v[6:7]
	v_add_f64_e32 v[4:5], v[4:5], v[8:9]
	s_wait_alu 0xfffe
	v_add_co_u32 v6, vcc_lo, s68, v148
	s_wait_alu 0xfffd
	v_add_co_ci_u32_e64 v7, null, s69, v149, vcc_lo
	global_store_b128 v[6:7], v[2:5], off
	s_branch .LBB26_2
.LBB26_120:                             ;   in Loop: Header=BB26_4 Depth=1
	global_load_b128 v[10:13], v[4:5], off
	s_wait_loadcnt 0x0
	ds_store_2addr_b64 v155, v[10:11], v[12:13] offset1:1
	s_or_b32 exec_lo, exec_lo, s23
	s_and_saveexec_b32 s23, s4
	s_wait_alu 0xfffe
	s_xor_b32 s23, exec_lo, s23
	s_cbranch_execz .LBB26_20
.LBB26_121:                             ;   in Loop: Header=BB26_4 Depth=1
	v_dual_mov_b32 v0, v1 :: v_dual_mov_b32 v3, v1
	v_mov_b32_e32 v2, v1
	ds_store_b128 v158, v[0:3]
	s_wait_alu 0xfffe
	s_and_not1_saveexec_b32 s23, s23
	s_cbranch_execz .LBB26_21
.LBB26_122:                             ;   in Loop: Header=BB26_4 Depth=1
	s_lshl_b64 s[68:69], s[46:47], 4
	s_wait_alu 0xfffe
	v_add_co_u32 v2, vcc_lo, v4, s68
	s_wait_alu 0xfffd
	v_add_co_ci_u32_e64 v3, null, s69, v5, vcc_lo
	global_load_b128 v[10:13], v[2:3], off
	s_wait_loadcnt 0x0
	ds_store_2addr_b64 v158, v[10:11], v[12:13] offset1:1
	s_or_b32 exec_lo, exec_lo, s23
	s_and_saveexec_b32 s23, s5
	s_wait_alu 0xfffe
	s_xor_b32 s23, exec_lo, s23
	s_cbranch_execz .LBB26_22
.LBB26_123:                             ;   in Loop: Header=BB26_4 Depth=1
	v_dual_mov_b32 v0, v1 :: v_dual_mov_b32 v3, v1
	v_mov_b32_e32 v2, v1
	ds_store_b128 v159, v[0:3]
	s_wait_alu 0xfffe
	s_and_not1_saveexec_b32 s23, s23
	s_cbranch_execz .LBB26_23
.LBB26_124:                             ;   in Loop: Header=BB26_4 Depth=1
	s_lshl_b64 s[68:69], s[48:49], 4
	s_wait_alu 0xfffe
	v_add_co_u32 v2, vcc_lo, v4, s68
	s_wait_alu 0xfffd
	v_add_co_ci_u32_e64 v3, null, s69, v5, vcc_lo
	global_load_b128 v[10:13], v[2:3], off
	s_wait_loadcnt 0x0
	ds_store_2addr_b64 v159, v[10:11], v[12:13] offset1:1
	s_or_b32 exec_lo, exec_lo, s23
	s_and_saveexec_b32 s23, s6
	s_wait_alu 0xfffe
	s_xor_b32 s23, exec_lo, s23
	s_cbranch_execz .LBB26_24
.LBB26_125:                             ;   in Loop: Header=BB26_4 Depth=1
	v_dual_mov_b32 v0, v1 :: v_dual_mov_b32 v3, v1
	v_mov_b32_e32 v2, v1
	ds_store_b128 v160, v[0:3]
	s_wait_alu 0xfffe
	s_and_not1_saveexec_b32 s23, s23
	s_cbranch_execnz .LBB26_25
	s_branch .LBB26_26
.LBB26_126:                             ;   in Loop: Header=BB26_4 Depth=1
	global_load_b128 v[14:17], v[8:9], off
	s_wait_loadcnt 0x0
	ds_store_2addr_b64 v155, v[14:15], v[16:17] offset1:1
	s_or_b32 exec_lo, exec_lo, s23
	s_and_saveexec_b32 s23, s18
	s_wait_alu 0xfffe
	s_xor_b32 s23, exec_lo, s23
	s_cbranch_execz .LBB26_60
.LBB26_127:                             ;   in Loop: Header=BB26_4 Depth=1
	v_dual_mov_b32 v0, v1 :: v_dual_mov_b32 v3, v1
	v_mov_b32_e32 v2, v1
	ds_store_b128 v158, v[0:3]
	s_wait_alu 0xfffe
	s_and_not1_saveexec_b32 s23, s23
	s_cbranch_execz .LBB26_61
.LBB26_128:                             ;   in Loop: Header=BB26_4 Depth=1
	s_lshl_b64 s[68:69], s[46:47], 4
	s_wait_alu 0xfffe
	v_add_co_u32 v2, vcc_lo, v8, s68
	s_wait_alu 0xfffd
	v_add_co_ci_u32_e64 v3, null, s69, v9, vcc_lo
	global_load_b128 v[14:17], v[2:3], off
	s_wait_loadcnt 0x0
	ds_store_2addr_b64 v158, v[14:15], v[16:17] offset1:1
	s_or_b32 exec_lo, exec_lo, s23
	s_and_saveexec_b32 s23, s19
	s_wait_alu 0xfffe
	s_xor_b32 s23, exec_lo, s23
	s_cbranch_execz .LBB26_62
.LBB26_129:                             ;   in Loop: Header=BB26_4 Depth=1
	v_dual_mov_b32 v0, v1 :: v_dual_mov_b32 v3, v1
	v_mov_b32_e32 v2, v1
	ds_store_b128 v159, v[0:3]
	s_wait_alu 0xfffe
	s_and_not1_saveexec_b32 s23, s23
	s_cbranch_execz .LBB26_63
.LBB26_130:                             ;   in Loop: Header=BB26_4 Depth=1
	s_lshl_b64 s[68:69], s[48:49], 4
	s_wait_alu 0xfffe
	v_add_co_u32 v2, vcc_lo, v8, s68
	s_wait_alu 0xfffd
	v_add_co_ci_u32_e64 v3, null, s69, v9, vcc_lo
	global_load_b128 v[14:17], v[2:3], off
	s_wait_loadcnt 0x0
	ds_store_2addr_b64 v159, v[14:15], v[16:17] offset1:1
	s_or_b32 exec_lo, exec_lo, s23
	s_and_saveexec_b32 s23, s20
	s_wait_alu 0xfffe
	s_xor_b32 s23, exec_lo, s23
	s_cbranch_execz .LBB26_64
.LBB26_131:                             ;   in Loop: Header=BB26_4 Depth=1
	v_dual_mov_b32 v0, v1 :: v_dual_mov_b32 v3, v1
	v_mov_b32_e32 v2, v1
	ds_store_b128 v160, v[0:3]
	s_wait_alu 0xfffe
	s_and_not1_saveexec_b32 s23, s23
	s_cbranch_execnz .LBB26_65
	s_branch .LBB26_66
.LBB26_132:                             ;   in Loop: Header=BB26_4 Depth=1
	global_load_b128 v[10:13], v[8:9], off
	s_wait_loadcnt 0x0
	ds_store_2addr_b64 v155, v[10:11], v[12:13] offset1:1
	s_or_b32 exec_lo, exec_lo, s23
	s_and_saveexec_b32 s23, s4
	s_wait_alu 0xfffe
	s_xor_b32 s23, exec_lo, s23
	s_cbranch_execz .LBB26_100
.LBB26_133:                             ;   in Loop: Header=BB26_4 Depth=1
	v_dual_mov_b32 v0, v1 :: v_dual_mov_b32 v3, v1
	v_mov_b32_e32 v2, v1
	ds_store_b128 v158, v[0:3]
	s_wait_alu 0xfffe
	s_and_not1_saveexec_b32 s23, s23
	s_cbranch_execz .LBB26_101
.LBB26_134:                             ;   in Loop: Header=BB26_4 Depth=1
	s_lshl_b64 s[68:69], s[46:47], 4
	s_wait_alu 0xfffe
	v_add_co_u32 v2, vcc_lo, v8, s68
	s_wait_alu 0xfffd
	v_add_co_ci_u32_e64 v3, null, s69, v9, vcc_lo
	global_load_b128 v[10:13], v[2:3], off
	s_wait_loadcnt 0x0
	ds_store_2addr_b64 v158, v[10:11], v[12:13] offset1:1
	s_or_b32 exec_lo, exec_lo, s23
	s_and_saveexec_b32 s23, s5
	s_wait_alu 0xfffe
	s_xor_b32 s23, exec_lo, s23
	s_cbranch_execz .LBB26_102
.LBB26_135:                             ;   in Loop: Header=BB26_4 Depth=1
	v_dual_mov_b32 v0, v1 :: v_dual_mov_b32 v3, v1
	v_mov_b32_e32 v2, v1
	ds_store_b128 v159, v[0:3]
	s_wait_alu 0xfffe
	s_and_not1_saveexec_b32 s23, s23
	s_cbranch_execz .LBB26_103
.LBB26_136:                             ;   in Loop: Header=BB26_4 Depth=1
	s_lshl_b64 s[68:69], s[48:49], 4
	s_wait_alu 0xfffe
	v_add_co_u32 v2, vcc_lo, v8, s68
	s_wait_alu 0xfffd
	v_add_co_ci_u32_e64 v3, null, s69, v9, vcc_lo
	global_load_b128 v[10:13], v[2:3], off
	s_wait_loadcnt 0x0
	ds_store_2addr_b64 v159, v[10:11], v[12:13] offset1:1
	s_or_b32 exec_lo, exec_lo, s23
	s_and_saveexec_b32 s23, s6
	s_wait_alu 0xfffe
	s_xor_b32 s23, exec_lo, s23
	s_cbranch_execz .LBB26_104
.LBB26_137:                             ;   in Loop: Header=BB26_4 Depth=1
	v_dual_mov_b32 v0, v1 :: v_dual_mov_b32 v3, v1
	v_mov_b32_e32 v2, v1
	ds_store_b128 v160, v[0:3]
	s_wait_alu 0xfffe
	s_and_not1_saveexec_b32 s23, s23
	s_cbranch_execnz .LBB26_105
	s_branch .LBB26_106
.LBB26_138:
	s_nop 0
	s_sendmsg sendmsg(MSG_DEALLOC_VGPRS)
	s_endpgm
	.section	.rodata,"a",@progbits
	.p2align	6, 0x0
	.amdhsa_kernel _ZL26rocblas_hemvn_kernel_lowerILb1ELi64ELi4ELi33ELi32ELi16EiPK19rocblas_complex_numIdES3_PS1_EviT6_lT7_lT5_lS6_lS7_lS5_lT8_i
		.amdhsa_group_segment_fixed_size 19200
		.amdhsa_private_segment_fixed_size 0
		.amdhsa_kernarg_size 376
		.amdhsa_user_sgpr_count 2
		.amdhsa_user_sgpr_dispatch_ptr 0
		.amdhsa_user_sgpr_queue_ptr 0
		.amdhsa_user_sgpr_kernarg_segment_ptr 1
		.amdhsa_user_sgpr_dispatch_id 0
		.amdhsa_user_sgpr_private_segment_size 0
		.amdhsa_wavefront_size32 1
		.amdhsa_uses_dynamic_stack 0
		.amdhsa_enable_private_segment 0
		.amdhsa_system_sgpr_workgroup_id_x 1
		.amdhsa_system_sgpr_workgroup_id_y 0
		.amdhsa_system_sgpr_workgroup_id_z 1
		.amdhsa_system_sgpr_workgroup_info 0
		.amdhsa_system_vgpr_workitem_id 1
		.amdhsa_next_free_vgpr 213
		.amdhsa_next_free_sgpr 80
		.amdhsa_reserve_vcc 1
		.amdhsa_float_round_mode_32 0
		.amdhsa_float_round_mode_16_64 0
		.amdhsa_float_denorm_mode_32 3
		.amdhsa_float_denorm_mode_16_64 3
		.amdhsa_fp16_overflow 0
		.amdhsa_workgroup_processor_mode 1
		.amdhsa_memory_ordered 1
		.amdhsa_forward_progress 1
		.amdhsa_inst_pref_size 83
		.amdhsa_round_robin_scheduling 0
		.amdhsa_exception_fp_ieee_invalid_op 0
		.amdhsa_exception_fp_denorm_src 0
		.amdhsa_exception_fp_ieee_div_zero 0
		.amdhsa_exception_fp_ieee_overflow 0
		.amdhsa_exception_fp_ieee_underflow 0
		.amdhsa_exception_fp_ieee_inexact 0
		.amdhsa_exception_int_div_zero 0
	.end_amdhsa_kernel
	.section	.text._ZL26rocblas_hemvn_kernel_lowerILb1ELi64ELi4ELi33ELi32ELi16EiPK19rocblas_complex_numIdES3_PS1_EviT6_lT7_lT5_lS6_lS7_lS5_lT8_i,"axG",@progbits,_ZL26rocblas_hemvn_kernel_lowerILb1ELi64ELi4ELi33ELi32ELi16EiPK19rocblas_complex_numIdES3_PS1_EviT6_lT7_lT5_lS6_lS7_lS5_lT8_i,comdat
.Lfunc_end26:
	.size	_ZL26rocblas_hemvn_kernel_lowerILb1ELi64ELi4ELi33ELi32ELi16EiPK19rocblas_complex_numIdES3_PS1_EviT6_lT7_lT5_lS6_lS7_lS5_lT8_i, .Lfunc_end26-_ZL26rocblas_hemvn_kernel_lowerILb1ELi64ELi4ELi33ELi32ELi16EiPK19rocblas_complex_numIdES3_PS1_EviT6_lT7_lT5_lS6_lS7_lS5_lT8_i
                                        ; -- End function
	.set _ZL26rocblas_hemvn_kernel_lowerILb1ELi64ELi4ELi33ELi32ELi16EiPK19rocblas_complex_numIdES3_PS1_EviT6_lT7_lT5_lS6_lS7_lS5_lT8_i.num_vgpr, 213
	.set _ZL26rocblas_hemvn_kernel_lowerILb1ELi64ELi4ELi33ELi32ELi16EiPK19rocblas_complex_numIdES3_PS1_EviT6_lT7_lT5_lS6_lS7_lS5_lT8_i.num_agpr, 0
	.set _ZL26rocblas_hemvn_kernel_lowerILb1ELi64ELi4ELi33ELi32ELi16EiPK19rocblas_complex_numIdES3_PS1_EviT6_lT7_lT5_lS6_lS7_lS5_lT8_i.numbered_sgpr, 80
	.set _ZL26rocblas_hemvn_kernel_lowerILb1ELi64ELi4ELi33ELi32ELi16EiPK19rocblas_complex_numIdES3_PS1_EviT6_lT7_lT5_lS6_lS7_lS5_lT8_i.num_named_barrier, 0
	.set _ZL26rocblas_hemvn_kernel_lowerILb1ELi64ELi4ELi33ELi32ELi16EiPK19rocblas_complex_numIdES3_PS1_EviT6_lT7_lT5_lS6_lS7_lS5_lT8_i.private_seg_size, 0
	.set _ZL26rocblas_hemvn_kernel_lowerILb1ELi64ELi4ELi33ELi32ELi16EiPK19rocblas_complex_numIdES3_PS1_EviT6_lT7_lT5_lS6_lS7_lS5_lT8_i.uses_vcc, 1
	.set _ZL26rocblas_hemvn_kernel_lowerILb1ELi64ELi4ELi33ELi32ELi16EiPK19rocblas_complex_numIdES3_PS1_EviT6_lT7_lT5_lS6_lS7_lS5_lT8_i.uses_flat_scratch, 0
	.set _ZL26rocblas_hemvn_kernel_lowerILb1ELi64ELi4ELi33ELi32ELi16EiPK19rocblas_complex_numIdES3_PS1_EviT6_lT7_lT5_lS6_lS7_lS5_lT8_i.has_dyn_sized_stack, 0
	.set _ZL26rocblas_hemvn_kernel_lowerILb1ELi64ELi4ELi33ELi32ELi16EiPK19rocblas_complex_numIdES3_PS1_EviT6_lT7_lT5_lS6_lS7_lS5_lT8_i.has_recursion, 0
	.set _ZL26rocblas_hemvn_kernel_lowerILb1ELi64ELi4ELi33ELi32ELi16EiPK19rocblas_complex_numIdES3_PS1_EviT6_lT7_lT5_lS6_lS7_lS5_lT8_i.has_indirect_call, 0
	.section	.AMDGPU.csdata,"",@progbits
; Kernel info:
; codeLenInByte = 10548
; TotalNumSgprs: 82
; NumVgprs: 213
; ScratchSize: 0
; MemoryBound: 0
; FloatMode: 240
; IeeeMode: 1
; LDSByteSize: 19200 bytes/workgroup (compile time only)
; SGPRBlocks: 0
; VGPRBlocks: 26
; NumSGPRsForWavesPerEU: 82
; NumVGPRsForWavesPerEU: 213
; Occupancy: 7
; WaveLimiterHint : 0
; COMPUTE_PGM_RSRC2:SCRATCH_EN: 0
; COMPUTE_PGM_RSRC2:USER_SGPR: 2
; COMPUTE_PGM_RSRC2:TRAP_HANDLER: 0
; COMPUTE_PGM_RSRC2:TGID_X_EN: 1
; COMPUTE_PGM_RSRC2:TGID_Y_EN: 0
; COMPUTE_PGM_RSRC2:TGID_Z_EN: 1
; COMPUTE_PGM_RSRC2:TIDIG_COMP_CNT: 1
	.section	.text._ZL36rocblas_hemvn_kernel_lower_block_sumILi64EiPK19rocblas_complex_numIdEPS1_S1_EviT1_lS5_lT2_lT0_lPT3_i,"axG",@progbits,_ZL36rocblas_hemvn_kernel_lower_block_sumILi64EiPK19rocblas_complex_numIdEPS1_S1_EviT1_lS5_lT2_lT0_lPT3_i,comdat
	.globl	_ZL36rocblas_hemvn_kernel_lower_block_sumILi64EiPK19rocblas_complex_numIdEPS1_S1_EviT1_lS5_lT2_lT0_lPT3_i ; -- Begin function _ZL36rocblas_hemvn_kernel_lower_block_sumILi64EiPK19rocblas_complex_numIdEPS1_S1_EviT1_lS5_lT2_lT0_lPT3_i
	.p2align	8
	.type	_ZL36rocblas_hemvn_kernel_lower_block_sumILi64EiPK19rocblas_complex_numIdEPS1_S1_EviT1_lS5_lT2_lT0_lPT3_i,@function
_ZL36rocblas_hemvn_kernel_lower_block_sumILi64EiPK19rocblas_complex_numIdEPS1_S1_EviT1_lS5_lT2_lT0_lPT3_i: ; @_ZL36rocblas_hemvn_kernel_lower_block_sumILi64EiPK19rocblas_complex_numIdEPS1_S1_EviT1_lS5_lT2_lT0_lPT3_i
; %bb.0:
	s_load_b32 s3, s[0:1], 0x50
	s_lshr_b32 s24, ttmp7, 16
	s_wait_kmcnt 0x0
	s_cmp_ge_u32 s24, s3
	s_cbranch_scc1 .LBB27_26
; %bb.1:
	s_clause 0x2
	s_load_b32 s20, s[0:1], 0x0
	s_load_b32 s2, s[0:1], 0x38
	s_load_b128 s[16:19], s[0:1], 0x28
	v_lshl_or_b32 v0, ttmp9, 6, v0
	s_clause 0x1
	s_load_b128 s[12:15], s[0:1], 0x40
	s_load_b256 s[4:11], s[0:1], 0x8
	s_add_nc_u64 s[0:1], s[0:1], 0x58
	s_mov_b32 s25, 0
	s_wait_kmcnt 0x0
	s_wait_alu 0xfffe
	v_mad_co_u64_u32 v[1:2], null, s20, ttmp9, v[0:1]
	v_mul_lo_u32 v3, s2, v0
	v_cmp_gt_i32_e64 s2, s20, v0
	s_lshl_b64 s[18:19], s[18:19], 4
	s_ashr_i32 s21, s20, 31
	s_add_nc_u64 s[26:27], s[16:17], s[18:19]
	v_ashrrev_i32_e32 v2, 31, v1
	v_ashrrev_i32_e32 v4, 31, v3
	s_delay_alu instid0(VALU_DEP_2) | instskip(NEXT) | instid1(VALU_DEP_2)
	v_lshlrev_b64_e32 v[1:2], 4, v[1:2]
	v_lshlrev_b64_e32 v[4:5], 4, v[3:4]
	s_delay_alu instid0(VALU_DEP_2) | instskip(NEXT) | instid1(VALU_DEP_1)
	v_add_co_u32 v0, vcc_lo, s14, v1
	v_add_co_ci_u32_e64 v1, null, s15, v2, vcc_lo
	s_wait_alu 0xfffe
	s_lshl_b64 s[14:15], s[20:21], 4
	s_delay_alu instid0(VALU_DEP_2)
	v_add_co_u32 v6, vcc_lo, v0, 8
	s_wait_alu 0xfffd
	v_add_co_ci_u32_e64 v7, null, 0, v1, vcc_lo
	s_branch .LBB27_4
.LBB27_2:                               ;   in Loop: Header=BB27_4 Depth=1
	s_wait_alu 0xfffe
	s_or_b32 exec_lo, exec_lo, s16
.LBB27_3:                               ;   in Loop: Header=BB27_4 Depth=1
	s_add_co_i32 s24, s24, 0x10000
	s_wait_alu 0xfffe
	s_cmp_lt_u32 s24, s3
	s_cbranch_scc0 .LBB27_26
.LBB27_4:                               ; =>This Loop Header: Depth=1
                                        ;     Child Loop BB27_17 Depth 2
	s_mul_u64 s[16:17], s[6:7], s[24:25]
	s_wait_alu 0xfffe
	s_lshl_b64 s[16:17], s[16:17], 4
	s_wait_alu 0xfffe
	s_add_nc_u64 s[16:17], s[4:5], s[16:17]
	s_load_b128 s[20:23], s[16:17], 0x0
	s_mul_u64 s[16:17], s[10:11], s[24:25]
	s_wait_alu 0xfffe
	s_lshl_b64 s[16:17], s[16:17], 4
	s_wait_alu 0xfffe
	s_add_nc_u64 s[16:17], s[8:9], s[16:17]
	s_load_b128 s[16:19], s[16:17], 0x0
	s_wait_kmcnt 0x0
	v_cmp_neq_f64_e64 s28, s[20:21], 0
	v_cmp_neq_f64_e64 s29, s[22:23], 0
	s_or_b32 s28, s28, s29
	s_mov_b32 s29, -1
	s_wait_alu 0xfffe
	s_and_b32 vcc_lo, exec_lo, s28
	s_wait_alu 0xfffe
	s_cbranch_vccz .LBB27_6
; %bb.5:                                ;   in Loop: Header=BB27_4 Depth=1
	s_and_not1_b32 vcc_lo, exec_lo, s29
	s_wait_alu 0xfffe
	s_cbranch_vccnz .LBB27_3
	s_branch .LBB27_7
.LBB27_6:                               ;   in Loop: Header=BB27_4 Depth=1
	v_cmp_neq_f64_e64 s29, s[16:17], 1.0
	v_cmp_neq_f64_e64 s30, s[18:19], 0
	s_or_b32 s29, s29, s30
	s_wait_alu 0xfffe
	s_and_not1_b32 vcc_lo, exec_lo, s29
	s_wait_alu 0xfffe
	s_cbranch_vccnz .LBB27_3
.LBB27_7:                               ;   in Loop: Header=BB27_4 Depth=1
	s_xor_b32 s30, s28, -1
	s_mul_u64 s[28:29], s[12:13], s[24:25]
	s_and_not1_b32 vcc_lo, exec_lo, s30
	s_wait_alu 0xfffe
	s_lshl_b64 s[28:29], s[28:29], 4
	s_wait_alu 0xfffe
	s_add_nc_u64 s[28:29], s[26:27], s[28:29]
	s_cbranch_vccnz .LBB27_12
; %bb.8:                                ;   in Loop: Header=BB27_4 Depth=1
	s_mov_b32 s30, 0
	s_mov_b32 s33, 0
                                        ; implicit-def: $vgpr2_vgpr3
	s_and_saveexec_b32 s31, s2
	s_cbranch_execz .LBB27_13
; %bb.9:                                ;   in Loop: Header=BB27_4 Depth=1
	v_cmp_neq_f64_e64 s33, s[16:17], 0
	v_cmp_neq_f64_e64 s34, s[18:19], 0
	v_mov_b32_e32 v2, 0
	v_dual_mov_b32 v3, 0 :: v_dual_mov_b32 v0, 0
	v_mov_b32_e32 v1, 0
	s_or_b32 s33, s33, s34
	s_delay_alu instid0(SALU_CYCLE_1)
	s_and_not1_b32 vcc_lo, exec_lo, s33
	s_wait_alu 0xfffe
	s_cbranch_vccnz .LBB27_11
; %bb.10:                               ;   in Loop: Header=BB27_4 Depth=1
	v_add_co_u32 v0, vcc_lo, s28, v4
	s_wait_alu 0xfffd
	v_add_co_ci_u32_e64 v1, null, s29, v5, vcc_lo
	global_load_b128 v[8:11], v[0:1], off
	s_wait_loadcnt 0x0
	v_mul_f64_e32 v[0:1], s[18:19], v[10:11]
	v_mul_f64_e32 v[2:3], s[16:17], v[10:11]
	s_delay_alu instid0(VALU_DEP_2) | instskip(NEXT) | instid1(VALU_DEP_2)
	v_fma_f64 v[0:1], s[16:17], v[8:9], -v[0:1]
	v_fma_f64 v[2:3], s[18:19], v[8:9], v[2:3]
.LBB27_11:                              ;   in Loop: Header=BB27_4 Depth=1
	s_mov_b32 s33, exec_lo
	s_or_b32 exec_lo, exec_lo, s31
	s_delay_alu instid0(SALU_CYCLE_1)
	s_and_b32 vcc_lo, exec_lo, s30
	s_wait_alu 0xfffe
	s_cbranch_vccnz .LBB27_14
	s_branch .LBB27_24
.LBB27_12:                              ;   in Loop: Header=BB27_4 Depth=1
	s_mov_b32 s33, 0
                                        ; implicit-def: $vgpr2_vgpr3
	s_cbranch_execnz .LBB27_14
	s_branch .LBB27_24
.LBB27_13:                              ;   in Loop: Header=BB27_4 Depth=1
	s_or_b32 exec_lo, exec_lo, s31
	s_delay_alu instid0(SALU_CYCLE_1)
	s_and_b32 vcc_lo, exec_lo, s30
	s_wait_alu 0xfffe
	s_cbranch_vccz .LBB27_24
.LBB27_14:                              ;   in Loop: Header=BB27_4 Depth=1
                                        ; implicit-def: $vgpr2_vgpr3
	s_and_saveexec_b32 s34, s2
	s_cbranch_execz .LBB27_23
; %bb.15:                               ;   in Loop: Header=BB27_4 Depth=1
	s_load_b32 s30, s[0:1], 0x0
	v_mov_b32_e32 v0, 0
	v_dual_mov_b32 v1, 0 :: v_dual_mov_b32 v2, 0
	v_mov_b32_e32 v3, 0
	s_wait_kmcnt 0x0
	s_cmp_ge_i32 ttmp9, s30
	s_cbranch_scc1 .LBB27_18
; %bb.16:                               ;   in Loop: Header=BB27_4 Depth=1
	s_mov_b32 s31, s25
	v_mov_b32_e32 v2, 0
	s_mul_u64 s[36:37], s[14:15], s[30:31]
	s_mov_b32 s35, ttmp9
	s_wait_alu 0xfffe
	v_mad_co_u64_u32 v[8:9], null, s36, s24, v[6:7]
	s_delay_alu instid0(VALU_DEP_1) | instskip(NEXT) | instid1(VALU_DEP_1)
	v_dual_mov_b32 v3, 0 :: v_dual_mov_b32 v0, v9
	v_mad_co_u64_u32 v[9:10], null, s37, s24, v[0:1]
	v_mov_b32_e32 v0, 0
	v_mov_b32_e32 v1, 0
.LBB27_17:                              ;   Parent Loop BB27_4 Depth=1
                                        ; =>  This Inner Loop Header: Depth=2
	global_load_b128 v[10:13], v[8:9], off offset:-8
	v_add_co_u32 v8, vcc_lo, v8, s14
	s_wait_alu 0xfffd
	v_add_co_ci_u32_e64 v9, null, s15, v9, vcc_lo
	s_add_co_i32 s35, s35, 1
	s_delay_alu instid0(SALU_CYCLE_1)
	s_cmp_ge_i32 s35, s30
	s_wait_loadcnt 0x0
	v_add_f64_e32 v[2:3], v[2:3], v[10:11]
	v_add_f64_e32 v[0:1], v[0:1], v[12:13]
	s_cbranch_scc0 .LBB27_17
.LBB27_18:                              ;   in Loop: Header=BB27_4 Depth=1
	s_delay_alu instid0(VALU_DEP_1) | instskip(SKIP_3) | instid1(VALU_DEP_4)
	v_mul_f64_e32 v[8:9], s[22:23], v[0:1]
	v_mul_f64_e32 v[10:11], s[20:21], v[0:1]
	v_cmp_neq_f64_e64 s30, s[16:17], 0
	v_cmp_neq_f64_e64 s31, s[18:19], 0
	v_fma_f64 v[0:1], s[20:21], v[2:3], -v[8:9]
	s_delay_alu instid0(VALU_DEP_4)
	v_fma_f64 v[2:3], s[22:23], v[2:3], v[10:11]
	s_or_b32 s20, s30, s31
	s_wait_alu 0xfffe
	s_and_not1_b32 vcc_lo, exec_lo, s20
	s_mov_b32 s20, -1
	s_wait_alu 0xfffe
	s_cbranch_vccz .LBB27_20
; %bb.19:                               ;   in Loop: Header=BB27_4 Depth=1
	s_mov_b32 s20, 0
.LBB27_20:                              ;   in Loop: Header=BB27_4 Depth=1
	s_wait_alu 0xfffe
	s_and_not1_b32 vcc_lo, exec_lo, s20
	s_wait_alu 0xfffe
	s_cbranch_vccnz .LBB27_22
; %bb.21:                               ;   in Loop: Header=BB27_4 Depth=1
	v_add_co_u32 v8, vcc_lo, s28, v4
	s_wait_alu 0xfffd
	v_add_co_ci_u32_e64 v9, null, s29, v5, vcc_lo
	global_load_b128 v[8:11], v[8:9], off
	s_wait_loadcnt 0x0
	v_mul_f64_e32 v[12:13], s[18:19], v[10:11]
	v_mul_f64_e32 v[10:11], s[16:17], v[10:11]
	s_delay_alu instid0(VALU_DEP_2) | instskip(NEXT) | instid1(VALU_DEP_2)
	v_fma_f64 v[12:13], s[16:17], v[8:9], -v[12:13]
	v_fma_f64 v[8:9], s[18:19], v[8:9], v[10:11]
	s_delay_alu instid0(VALU_DEP_2) | instskip(NEXT) | instid1(VALU_DEP_2)
	v_add_f64_e32 v[0:1], v[0:1], v[12:13]
	v_add_f64_e32 v[2:3], v[2:3], v[8:9]
.LBB27_22:                              ;   in Loop: Header=BB27_4 Depth=1
	s_or_b32 s33, s33, exec_lo
.LBB27_23:                              ;   in Loop: Header=BB27_4 Depth=1
	s_or_b32 exec_lo, exec_lo, s34
.LBB27_24:                              ;   in Loop: Header=BB27_4 Depth=1
	s_and_saveexec_b32 s16, s33
	s_cbranch_execz .LBB27_2
; %bb.25:                               ;   in Loop: Header=BB27_4 Depth=1
	s_wait_alu 0xfffe
	v_add_co_u32 v8, vcc_lo, s28, v4
	s_wait_alu 0xfffd
	v_add_co_ci_u32_e64 v9, null, s29, v5, vcc_lo
	global_store_b128 v[8:9], v[0:3], off
	s_branch .LBB27_2
.LBB27_26:
	s_endpgm
	.section	.rodata,"a",@progbits
	.p2align	6, 0x0
	.amdhsa_kernel _ZL36rocblas_hemvn_kernel_lower_block_sumILi64EiPK19rocblas_complex_numIdEPS1_S1_EviT1_lS5_lT2_lT0_lPT3_i
		.amdhsa_group_segment_fixed_size 0
		.amdhsa_private_segment_fixed_size 0
		.amdhsa_kernarg_size 344
		.amdhsa_user_sgpr_count 2
		.amdhsa_user_sgpr_dispatch_ptr 0
		.amdhsa_user_sgpr_queue_ptr 0
		.amdhsa_user_sgpr_kernarg_segment_ptr 1
		.amdhsa_user_sgpr_dispatch_id 0
		.amdhsa_user_sgpr_private_segment_size 0
		.amdhsa_wavefront_size32 1
		.amdhsa_uses_dynamic_stack 0
		.amdhsa_enable_private_segment 0
		.amdhsa_system_sgpr_workgroup_id_x 1
		.amdhsa_system_sgpr_workgroup_id_y 0
		.amdhsa_system_sgpr_workgroup_id_z 1
		.amdhsa_system_sgpr_workgroup_info 0
		.amdhsa_system_vgpr_workitem_id 0
		.amdhsa_next_free_vgpr 14
		.amdhsa_next_free_sgpr 38
		.amdhsa_reserve_vcc 1
		.amdhsa_float_round_mode_32 0
		.amdhsa_float_round_mode_16_64 0
		.amdhsa_float_denorm_mode_32 3
		.amdhsa_float_denorm_mode_16_64 3
		.amdhsa_fp16_overflow 0
		.amdhsa_workgroup_processor_mode 1
		.amdhsa_memory_ordered 1
		.amdhsa_forward_progress 1
		.amdhsa_inst_pref_size 8
		.amdhsa_round_robin_scheduling 0
		.amdhsa_exception_fp_ieee_invalid_op 0
		.amdhsa_exception_fp_denorm_src 0
		.amdhsa_exception_fp_ieee_div_zero 0
		.amdhsa_exception_fp_ieee_overflow 0
		.amdhsa_exception_fp_ieee_underflow 0
		.amdhsa_exception_fp_ieee_inexact 0
		.amdhsa_exception_int_div_zero 0
	.end_amdhsa_kernel
	.section	.text._ZL36rocblas_hemvn_kernel_lower_block_sumILi64EiPK19rocblas_complex_numIdEPS1_S1_EviT1_lS5_lT2_lT0_lPT3_i,"axG",@progbits,_ZL36rocblas_hemvn_kernel_lower_block_sumILi64EiPK19rocblas_complex_numIdEPS1_S1_EviT1_lS5_lT2_lT0_lPT3_i,comdat
.Lfunc_end27:
	.size	_ZL36rocblas_hemvn_kernel_lower_block_sumILi64EiPK19rocblas_complex_numIdEPS1_S1_EviT1_lS5_lT2_lT0_lPT3_i, .Lfunc_end27-_ZL36rocblas_hemvn_kernel_lower_block_sumILi64EiPK19rocblas_complex_numIdEPS1_S1_EviT1_lS5_lT2_lT0_lPT3_i
                                        ; -- End function
	.set _ZL36rocblas_hemvn_kernel_lower_block_sumILi64EiPK19rocblas_complex_numIdEPS1_S1_EviT1_lS5_lT2_lT0_lPT3_i.num_vgpr, 14
	.set _ZL36rocblas_hemvn_kernel_lower_block_sumILi64EiPK19rocblas_complex_numIdEPS1_S1_EviT1_lS5_lT2_lT0_lPT3_i.num_agpr, 0
	.set _ZL36rocblas_hemvn_kernel_lower_block_sumILi64EiPK19rocblas_complex_numIdEPS1_S1_EviT1_lS5_lT2_lT0_lPT3_i.numbered_sgpr, 38
	.set _ZL36rocblas_hemvn_kernel_lower_block_sumILi64EiPK19rocblas_complex_numIdEPS1_S1_EviT1_lS5_lT2_lT0_lPT3_i.num_named_barrier, 0
	.set _ZL36rocblas_hemvn_kernel_lower_block_sumILi64EiPK19rocblas_complex_numIdEPS1_S1_EviT1_lS5_lT2_lT0_lPT3_i.private_seg_size, 0
	.set _ZL36rocblas_hemvn_kernel_lower_block_sumILi64EiPK19rocblas_complex_numIdEPS1_S1_EviT1_lS5_lT2_lT0_lPT3_i.uses_vcc, 1
	.set _ZL36rocblas_hemvn_kernel_lower_block_sumILi64EiPK19rocblas_complex_numIdEPS1_S1_EviT1_lS5_lT2_lT0_lPT3_i.uses_flat_scratch, 0
	.set _ZL36rocblas_hemvn_kernel_lower_block_sumILi64EiPK19rocblas_complex_numIdEPS1_S1_EviT1_lS5_lT2_lT0_lPT3_i.has_dyn_sized_stack, 0
	.set _ZL36rocblas_hemvn_kernel_lower_block_sumILi64EiPK19rocblas_complex_numIdEPS1_S1_EviT1_lS5_lT2_lT0_lPT3_i.has_recursion, 0
	.set _ZL36rocblas_hemvn_kernel_lower_block_sumILi64EiPK19rocblas_complex_numIdEPS1_S1_EviT1_lS5_lT2_lT0_lPT3_i.has_indirect_call, 0
	.section	.AMDGPU.csdata,"",@progbits
; Kernel info:
; codeLenInByte = 1004
; TotalNumSgprs: 40
; NumVgprs: 14
; ScratchSize: 0
; MemoryBound: 0
; FloatMode: 240
; IeeeMode: 1
; LDSByteSize: 0 bytes/workgroup (compile time only)
; SGPRBlocks: 0
; VGPRBlocks: 1
; NumSGPRsForWavesPerEU: 40
; NumVGPRsForWavesPerEU: 14
; Occupancy: 16
; WaveLimiterHint : 0
; COMPUTE_PGM_RSRC2:SCRATCH_EN: 0
; COMPUTE_PGM_RSRC2:USER_SGPR: 2
; COMPUTE_PGM_RSRC2:TRAP_HANDLER: 0
; COMPUTE_PGM_RSRC2:TGID_X_EN: 1
; COMPUTE_PGM_RSRC2:TGID_Y_EN: 0
; COMPUTE_PGM_RSRC2:TGID_Z_EN: 1
; COMPUTE_PGM_RSRC2:TIDIG_COMP_CNT: 0
	.section	.text._ZL26rocblas_hemvn_kernel_lowerILb1ELi64ELi4ELi33ELi32ELi16El19rocblas_complex_numIdEPKS1_PS1_EviT6_lT7_lT5_lS6_lS7_lS5_lT8_i,"axG",@progbits,_ZL26rocblas_hemvn_kernel_lowerILb1ELi64ELi4ELi33ELi32ELi16El19rocblas_complex_numIdEPKS1_PS1_EviT6_lT7_lT5_lS6_lS7_lS5_lT8_i,comdat
	.globl	_ZL26rocblas_hemvn_kernel_lowerILb1ELi64ELi4ELi33ELi32ELi16El19rocblas_complex_numIdEPKS1_PS1_EviT6_lT7_lT5_lS6_lS7_lS5_lT8_i ; -- Begin function _ZL26rocblas_hemvn_kernel_lowerILb1ELi64ELi4ELi33ELi32ELi16El19rocblas_complex_numIdEPKS1_PS1_EviT6_lT7_lT5_lS6_lS7_lS5_lT8_i
	.p2align	8
	.type	_ZL26rocblas_hemvn_kernel_lowerILb1ELi64ELi4ELi33ELi32ELi16El19rocblas_complex_numIdEPKS1_PS1_EviT6_lT7_lT5_lS6_lS7_lS5_lT8_i,@function
_ZL26rocblas_hemvn_kernel_lowerILb1ELi64ELi4ELi33ELi32ELi16El19rocblas_complex_numIdEPKS1_PS1_EviT6_lT7_lT5_lS6_lS7_lS5_lT8_i: ; @_ZL26rocblas_hemvn_kernel_lowerILb1ELi64ELi4ELi33ELi32ELi16El19rocblas_complex_numIdEPKS1_PS1_EviT6_lT7_lT5_lS6_lS7_lS5_lT8_i
; %bb.0:
	s_clause 0x1
	s_load_b64 s[2:3], s[0:1], 0x94
	s_load_b32 s33, s[0:1], 0x80
	s_lshr_b32 s24, ttmp7, 16
	s_wait_kmcnt 0x0
	s_lshr_b32 s4, s2, 16
	s_and_b32 s2, s2, 0xffff
	s_and_b32 s3, s3, 0xffff
	s_mul_i32 s2, s4, s2
	s_delay_alu instid0(SALU_CYCLE_1) | instskip(NEXT) | instid1(SALU_CYCLE_1)
	s_mul_i32 s2, s2, s3
	s_cmp_lg_u32 s2, 0x100
	s_cselect_b32 s2, -1, 0
	s_cmp_ge_u32 s24, s33
	s_cselect_b32 s3, -1, 0
	s_delay_alu instid0(SALU_CYCLE_1) | instskip(NEXT) | instid1(SALU_CYCLE_1)
	s_or_b32 s2, s2, s3
	s_and_b32 vcc_lo, exec_lo, s2
	s_cbranch_vccnz .LBB28_136
; %bb.1:
	s_clause 0x1
	s_load_b128 s[8:11], s[0:1], 0x8
	s_load_b32 s2, s[0:1], 0x0
	s_add_nc_u64 s[14:15], s[0:1], 0x88
	s_clause 0x2
	s_load_b512 s[36:51], s[0:1], 0x20
	s_load_b64 s[12:13], s[0:1], 0x78
	s_load_b128 s[4:7], s[0:1], 0x60
	v_bfe_u32 v13, v0, 10, 10
	v_dual_mov_b32 v2, 0 :: v_dual_and_b32 v161, 0x3ff, v0
	s_lshl_b32 s22, ttmp9, 6
	s_load_b32 s26, s[14:15], 0x0
	s_delay_alu instid0(VALU_DEP_2) | instskip(NEXT) | instid1(VALU_DEP_2)
	v_lshlrev_b32_e32 v14, 6, v13
	v_add_nc_u32_e32 v3, s22, v161
	v_and_b32_e32 v1, 31, v0
	s_mov_b32 s27, 0
	v_lshlrev_b32_e32 v162, 4, v161
	v_add_nc_u32_e32 v15, v14, v161
	v_ashrrev_i32_e32 v4, 31, v3
	v_add_nc_u32_e32 v182, 0x4300, v14
	v_cmp_eq_u32_e64 s0, 0, v13
	v_or_b32_e32 v14, 0xf0, v162
	s_wait_kmcnt 0x0
	v_cmp_neq_f64_e64 s1, s[8:9], 0
	v_cmp_neq_f64_e64 s16, s[10:11], 0
	v_lshrrev_b32_e32 v12, 5, v15
	v_mul_lo_u32 v9, s48, v4
	v_mul_lo_u32 v10, s49, v3
	v_mad_co_u64_u32 v[5:6], null, s48, v3, 0
	s_delay_alu instid0(VALU_DEP_4)
	v_mad_co_u64_u32 v[7:8], null, s40, v12, v[1:2]
	s_ashr_i32 s3, s2, 31
	v_cmp_neq_f64_e64 s25, s[4:5], 1.0
	s_lshr_b32 s5, s3, 26
	s_lshl_b64 s[8:9], s[46:47], 4
	v_add3_u32 v6, v6, v9, v10
	s_wait_alu 0xfffe
	s_add_co_i32 s5, s2, s5
	v_mad_co_u64_u32 v[9:10], null, s41, v12, v[8:9]
	s_lshl_b64 s[10:11], s[38:39], 4
	s_wait_alu 0xfffe
	s_and_not1_b32 s5, s5, 63
	v_cmp_neq_f64_e64 s62, s[6:7], 0
	s_add_nc_u64 s[6:7], s[44:45], s[8:9]
	s_add_nc_u64 s[8:9], s[36:37], s[10:11]
	s_add_co_i32 s10, s26, -1
	s_mul_i32 s4, s2, ttmp9
	s_mul_u64 s[28:29], s[26:27], s[2:3]
	s_wait_alu 0xfffe
	s_sub_co_i32 s2, s2, s5
	v_mov_b32_e32 v8, v9
	v_lshlrev_b32_e32 v16, 4, v1
	v_lshlrev_b64_e32 v[5:6], 4, v[5:6]
	v_lshlrev_b32_e32 v11, 2, v12
	v_lshlrev_b32_e32 v19, 6, v12
	v_add_nc_u32_e32 v10, 16, v12
	v_lshl_or_b32 v18, v1, 9, v16
	v_mul_u32_u24_e32 v22, 33, v1
	v_add_co_u32 v165, vcc_lo, s6, v5
	s_delay_alu instid0(VALU_DEP_1)
	v_add_co_ci_u32_e64 v166, null, s7, v6, vcc_lo
	v_cmp_ge_u32_e64 s7, v11, v1
	s_or_b32 s26, s1, s16
	s_cmp_eq_u32 ttmp9, s10
	v_or_b32_e32 v20, 1, v11
	s_cselect_b32 s30, s2, 0
	v_add_nc_u32_e32 v173, v18, v19
	s_cmp_eq_u32 s30, 0
	v_or_b32_e32 v18, 2, v11
	s_cselect_b32 s64, -1, 0
	s_cmp_lg_u32 s30, 0
	v_add_nc_u32_e32 v178, 0x4700, v19
	s_cselect_b32 s1, -1, 0
	s_ashr_i32 s5, s4, 31
	s_ashr_i32 s23, s22, 31
	s_wait_alu 0xfffe
	s_lshl_b64 s[2:3], s[4:5], 4
	s_lshl_b64 s[4:5], s[22:23], 4
	s_add_nc_u64 s[34:35], s[12:13], s[2:3]
	s_wait_alu 0xfffe
	s_add_nc_u64 s[2:3], s[8:9], s[4:5]
	v_cmp_eq_u32_e64 s8, v11, v1
	v_or_b32_e32 v11, 3, v11
	v_lshlrev_b32_e32 v19, 2, v13
	v_lshlrev_b64_e32 v[5:6], 4, v[7:8]
	s_sub_co_i32 s20, s30, 32
	v_cmp_le_i32_e32 vcc_lo, s30, v161
	v_cmp_ge_u32_e64 s13, v11, v1
	v_cmp_eq_u32_e64 s14, v11, v1
	v_or_b32_e32 v11, 32, v1
	v_cmp_le_i32_e64 s5, s30, v10
	v_cmp_le_i32_e64 s19, s20, v10
	v_add_nc_u32_e32 v8, 8, v12
	v_cmp_ge_u32_e64 s11, v18, v1
	v_cmp_gt_i32_e64 s16, s30, v11
	v_mad_co_u64_u32 v[10:11], null, s40, v19, 0
	v_cmp_eq_u32_e64 s12, v18, v1
	v_lshlrev_b32_e32 v18, 4, v12
	v_lshlrev_b32_e32 v176, 4, v22
	s_and_b32 s1, s1, vcc_lo
	v_add_co_u32 v5, vcc_lo, s2, v5
	s_mul_u64 s[52:53], s[40:41], s[22:23]
	s_wait_alu 0xfffd
	v_add_co_ci_u32_e64 v6, null, s3, v6, vcc_lo
	s_lshl_b64 s[2:3], s[52:53], 4
	v_add_nc_u32_e32 v17, 24, v12
	v_cmp_le_i32_e64 s4, s30, v8
	v_add_nc_u32_e32 v179, v176, v18
	v_cmp_le_i32_e64 s18, s20, v8
	v_mov_b32_e32 v8, v11
	s_wait_alu 0xfffe
	v_add_co_u32 v167, vcc_lo, v5, s2
	s_wait_alu 0xfffd
	v_add_co_ci_u32_e64 v168, null, s3, v6, vcc_lo
	v_sub_co_u32 v5, s3, 0, v1
	v_mad_u32_u24 v164, 0x210, v12, v16
	s_wait_alu 0xf1ff
	v_sub_co_ci_u32_e64 v6, null, 0, 0, s3
	v_cmp_le_i32_e64 s3, s30, v12
	v_cmp_le_i32_e64 s6, s30, v17
	v_mul_u32_u24_e32 v21, 0x840, v12
	v_cmp_le_i32_e64 s17, s20, v12
	v_cmp_le_i32_e64 s20, s20, v17
	v_cmp_eq_u32_e64 s21, 1, v12
	v_mul_i32_i24_e32 v17, 0xffffffd0, v12
	v_mad_u32_u24 v180, v12, 48, v179
	v_mad_co_u64_u32 v[11:12], null, s41, v19, v[8:9]
	v_lshrrev_b32_e32 v12, 4, v15
	v_sub_co_u32 v7, vcc_lo, 0, v7
	v_and_b32_e32 v19, 15, v0
	s_wait_alu 0xfffd
	v_sub_co_ci_u32_e64 v8, null, 0, v9, vcc_lo
	v_and_b32_e32 v0, 48, v0
	v_lshlrev_b32_e32 v9, 6, v12
	v_cmp_ge_u32_e64 s9, v20, v1
	v_cmp_eq_u32_e64 s10, v20, v1
	v_mul_u32_u24_e32 v20, 0x210, v20
	v_lshlrev_b32_e32 v0, 4, v0
	v_mad_u32_u24 v184, 0x430, v19, v9
	v_mul_i32_i24_e32 v9, 0xffffffd0, v12
	s_lshl_b64 s[36:37], s[40:41], 7
	s_lshl_b64 s[38:39], s[40:41], 8
	s_ashr_i32 s31, s30, 31
	s_lshl_b64 s[46:47], s[40:41], 5
	s_xor_b32 s54, s1, -1
	s_mul_u64 s[22:23], s[48:49], s[22:23]
	s_cmp_gt_i32 ttmp9, 0
	v_lshlrev_b64_e32 v[153:154], 4, v[5:6]
	v_lshlrev_b64_e32 v[155:156], 4, v[7:8]
	;; [unrolled: 1-line block ×4, first 2 shown]
	v_add_nc_u32_e32 v163, 0x4700, v162
	v_add_nc_u32_e32 v169, 0x1080, v164
	;; [unrolled: 1-line block ×4, first 2 shown]
	v_cmp_gt_i32_e64 s2, s30, v1
	v_mad_u32_u24 v172, 0x210, v1, v16
	v_add_nc_u32_e32 v174, 16, v173
	v_add_nc_u32_e32 v175, 32, v173
	;; [unrolled: 1-line block ×3, first 2 shown]
	v_cmp_gt_u32_e64 s15, 32, v15
	s_wait_alu 0xfffe
	s_sub_nc_u64 s[58:59], 0, s[22:23]
	v_add_nc_u32_e32 v181, 0x4300, v162
	v_mad_u32_u24 v183, 0x10c0, v13, v162
	v_cmp_gt_u32_e64 s22, 64, v15
	v_mad_u32_u24 v185, 0x430, v19, v0
	v_mad_u32_u24 v186, 0x430, v19, v14
	;; [unrolled: 1-line block ×3, first 2 shown]
	v_cndmask_b32_e64 v188, 0, 1, s26
	v_add_nc_u32_e32 v189, 0x4700, v18
	v_add_nc_u32_e32 v190, v16, v21
	;; [unrolled: 1-line block ×5, first 2 shown]
	v_lshlrev_b32_e32 v194, 4, v1
	s_sub_nc_u64 s[56:57], 0, s[46:47]
	s_cselect_b32 s23, -1, 0
	s_sub_nc_u64 s[60:61], 0, s[52:53]
	s_or_b32 s25, s26, s25
	s_mul_u64 s[44:45], s[40:41], 0x180
	s_and_b32 s65, s0, s54
	s_sub_nc_u64 s[52:53], 0, s[30:31]
	s_lshl_b64 s[54:55], s[40:41], 4
	s_mul_u64 s[40:41], s[40:41], 0xd0
	s_or_b32 s66, s25, s62
	s_lshl_b64 s[56:57], s[56:57], 4
	s_lshl_b64 s[58:59], s[58:59], 4
	s_lshl_b64 s[60:61], s[60:61], 4
	s_branch .LBB28_4
.LBB28_2:                               ;   in Loop: Header=BB28_4 Depth=1
	s_or_b32 exec_lo, exec_lo, s25
.LBB28_3:                               ;   in Loop: Header=BB28_4 Depth=1
	s_add_co_i32 s24, s24, 0x10000
	s_delay_alu instid0(SALU_CYCLE_1)
	s_cmp_lt_u32 s24, s33
	s_cbranch_scc0 .LBB28_136
.LBB28_4:                               ; =>This Loop Header: Depth=1
                                        ;     Child Loop BB28_112 Depth 2
	s_and_not1_b32 vcc_lo, exec_lo, s66
	s_wait_alu 0xfffe
	s_cbranch_vccnz .LBB28_3
; %bb.5:                                ;   in Loop: Header=BB28_4 Depth=1
	v_cmp_ne_u32_e32 vcc_lo, 1, v188
	s_cbranch_vccnz .LBB28_3
; %bb.6:                                ;   in Loop: Header=BB28_4 Depth=1
	s_mov_b32 s25, s27
	s_delay_alu instid0(SALU_CYCLE_1)
	s_mul_u64 s[62:63], s[50:51], s[24:25]
	s_wait_alu 0xfffe
	s_lshl_b64 s[62:63], s[62:63], 4
	s_wait_alu 0xfffe
	v_add_co_u32 v41, vcc_lo, v165, s62
	s_wait_alu 0xfffd
	v_add_co_ci_u32_e64 v42, null, s63, v166, vcc_lo
	s_and_saveexec_b32 s26, s0
	s_cbranch_execz .LBB28_11
; %bb.7:                                ;   in Loop: Header=BB28_4 Depth=1
	s_and_saveexec_b32 s62, s1
	s_wait_alu 0xfffe
	s_xor_b32 s62, exec_lo, s62
; %bb.8:                                ;   in Loop: Header=BB28_4 Depth=1
	v_dual_mov_b32 v1, v2 :: v_dual_mov_b32 v4, v2
	v_mov_b32_e32 v3, v2
	ds_store_b128 v163, v[1:4]
; %bb.9:                                ;   in Loop: Header=BB28_4 Depth=1
	s_wait_alu 0xfffe
	s_and_not1_saveexec_b32 s62, s62
	s_cbranch_execz .LBB28_11
; %bb.10:                               ;   in Loop: Header=BB28_4 Depth=1
	global_load_b128 v[3:6], v[41:42], off
	s_wait_loadcnt 0x0
	ds_store_2addr_b64 v163, v[3:4], v[5:6] offset1:1
.LBB28_11:                              ;   in Loop: Header=BB28_4 Depth=1
	s_wait_alu 0xfffe
	s_or_b32 exec_lo, exec_lo, s26
	s_mul_u64 s[62:63], s[42:43], s[24:25]
	s_mov_b32 s26, -1
	s_wait_alu 0xfffe
	s_lshl_b64 s[62:63], s[62:63], 4
	s_wait_alu 0xfffe
	v_add_co_u32 v9, vcc_lo, v167, s62
	s_wait_alu 0xfffd
	v_add_co_ci_u32_e64 v10, null, s63, v168, vcc_lo
	s_and_not1_b32 vcc_lo, exec_lo, s64
	s_wait_alu 0xfffe
	s_cbranch_vccnz .LBB28_13
; %bb.12:                               ;   in Loop: Header=BB28_4 Depth=1
	v_add_co_u32 v0, vcc_lo, v9, s36
	s_wait_alu 0xfffd
	v_add_co_ci_u32_e64 v1, null, s37, v10, vcc_lo
	s_mov_b32 s26, 0
	v_add_co_u32 v7, vcc_lo, v0, s36
	s_wait_alu 0xfffd
	v_add_co_ci_u32_e64 v8, null, s37, v1, vcc_lo
	s_delay_alu instid0(VALU_DEP_2) | instskip(SKIP_1) | instid1(VALU_DEP_2)
	v_add_co_u32 v19, vcc_lo, v7, s36
	s_wait_alu 0xfffd
	v_add_co_ci_u32_e64 v20, null, s37, v8, vcc_lo
	s_clause 0x3
	global_load_b128 v[3:6], v[9:10], off
	global_load_b128 v[11:14], v[0:1], off
	;; [unrolled: 1-line block ×4, first 2 shown]
	s_wait_loadcnt 0x3
	ds_store_2addr_b64 v164, v[3:4], v[5:6] offset1:1
	s_wait_loadcnt 0x2
	ds_store_2addr_b64 v169, v[11:12], v[13:14] offset1:1
	;; [unrolled: 2-line block ×4, first 2 shown]
.LBB28_13:                              ;   in Loop: Header=BB28_4 Depth=1
	s_wait_alu 0xfffe
	s_and_not1_b32 vcc_lo, exec_lo, s26
	s_wait_alu 0xfffe
	s_cbranch_vccnz .LBB28_25
; %bb.14:                               ;   in Loop: Header=BB28_4 Depth=1
	s_and_saveexec_b32 s26, s3
	s_wait_alu 0xfffe
	s_xor_b32 s26, exec_lo, s26
; %bb.15:                               ;   in Loop: Header=BB28_4 Depth=1
	v_dual_mov_b32 v1, v2 :: v_dual_mov_b32 v4, v2
	v_mov_b32_e32 v3, v2
	ds_store_b128 v164, v[1:4]
; %bb.16:                               ;   in Loop: Header=BB28_4 Depth=1
	s_wait_alu 0xfffe
	s_or_saveexec_b32 s26, s26
	v_add_co_u32 v0, vcc_lo, v9, v153
	s_wait_alu 0xfffd
	v_add_co_ci_u32_e64 v1, null, v10, v154, vcc_lo
	s_lshl_b64 s[62:63], s[30:31], 4
	s_wait_alu 0xfffe
	v_add_co_u32 v0, vcc_lo, v0, s62
	s_wait_alu 0xfffd
	v_add_co_ci_u32_e64 v1, null, s63, v1, vcc_lo
	s_delay_alu instid0(VALU_DEP_2) | instskip(SKIP_1) | instid1(VALU_DEP_2)
	v_add_co_u32 v0, vcc_lo, v0, -16
	s_wait_alu 0xfffd
	v_add_co_ci_u32_e64 v1, null, -1, v1, vcc_lo
	s_delay_alu instid0(VALU_DEP_2) | instskip(NEXT) | instid1(VALU_DEP_2)
	v_cndmask_b32_e64 v5, v0, v9, s2
	v_cndmask_b32_e64 v6, v1, v10, s2
	s_xor_b32 exec_lo, exec_lo, s26
	s_cbranch_execnz .LBB28_118
; %bb.17:                               ;   in Loop: Header=BB28_4 Depth=1
	s_or_b32 exec_lo, exec_lo, s26
	s_and_saveexec_b32 s26, s4
	s_wait_alu 0xfffe
	s_xor_b32 s26, exec_lo, s26
	s_cbranch_execnz .LBB28_119
.LBB28_18:                              ;   in Loop: Header=BB28_4 Depth=1
	s_wait_alu 0xfffe
	s_and_not1_saveexec_b32 s26, s26
	s_cbranch_execnz .LBB28_120
.LBB28_19:                              ;   in Loop: Header=BB28_4 Depth=1
	s_wait_alu 0xfffe
	s_or_b32 exec_lo, exec_lo, s26
	s_and_saveexec_b32 s26, s5
	s_wait_alu 0xfffe
	s_xor_b32 s26, exec_lo, s26
	s_cbranch_execnz .LBB28_121
.LBB28_20:                              ;   in Loop: Header=BB28_4 Depth=1
	s_wait_alu 0xfffe
	s_and_not1_saveexec_b32 s26, s26
	s_cbranch_execnz .LBB28_122
.LBB28_21:                              ;   in Loop: Header=BB28_4 Depth=1
	s_wait_alu 0xfffe
	s_or_b32 exec_lo, exec_lo, s26
	s_and_saveexec_b32 s26, s6
	s_wait_alu 0xfffe
	s_xor_b32 s26, exec_lo, s26
	s_cbranch_execnz .LBB28_123
.LBB28_22:                              ;   in Loop: Header=BB28_4 Depth=1
	s_wait_alu 0xfffe
	s_and_not1_saveexec_b32 s26, s26
	s_cbranch_execz .LBB28_24
.LBB28_23:                              ;   in Loop: Header=BB28_4 Depth=1
	v_add_co_u32 v0, vcc_lo, v5, s44
	s_wait_alu 0xfffd
	v_add_co_ci_u32_e64 v1, null, s45, v6, vcc_lo
	global_load_b128 v[11:14], v[0:1], off
	s_wait_loadcnt 0x0
	ds_store_2addr_b64 v171, v[11:12], v[13:14] offset1:1
.LBB28_24:                              ;   in Loop: Header=BB28_4 Depth=1
	s_wait_alu 0xfffe
	s_or_b32 exec_lo, exec_lo, s26
	v_add_co_u32 v0, vcc_lo, v5, v194
	s_wait_alu 0xfffd
	v_add_co_ci_u32_e64 v1, null, 0, v6, vcc_lo
	s_lshl_b64 s[62:63], s[52:53], 4
	s_wait_alu 0xfffe
	v_add_co_u32 v0, vcc_lo, v0, s62
	s_wait_alu 0xfffd
	v_add_co_ci_u32_e64 v1, null, s63, v1, vcc_lo
	s_delay_alu instid0(VALU_DEP_2) | instskip(SKIP_1) | instid1(VALU_DEP_2)
	v_add_co_u32 v0, vcc_lo, v0, 16
	s_wait_alu 0xfffd
	v_add_co_ci_u32_e64 v1, null, 0, v1, vcc_lo
	s_delay_alu instid0(VALU_DEP_2) | instskip(NEXT) | instid1(VALU_DEP_2)
	v_cndmask_b32_e64 v9, v0, v9, s2
	v_cndmask_b32_e64 v10, v1, v10, s2
.LBB28_25:                              ;   in Loop: Header=BB28_4 Depth=1
	s_mov_b32 s26, 0
	s_wait_dscnt 0x0
	s_barrier_signal -1
	s_barrier_wait -1
	global_inv scope:SCOPE_SE
	s_and_saveexec_b32 s62, s7
	s_wait_alu 0xfffe
	s_xor_b32 s62, exec_lo, s62
; %bb.26:                               ;   in Loop: Header=BB28_4 Depth=1
	s_and_b32 s26, s8, exec_lo
; %bb.27:                               ;   in Loop: Header=BB28_4 Depth=1
	s_wait_alu 0xfffe
	s_or_saveexec_b32 s62, s62
	v_dual_mov_b32 v5, 0 :: v_dual_mov_b32 v0, v172
	v_mov_b32_e32 v6, 0
	s_wait_alu 0xfffe
	s_xor_b32 exec_lo, exec_lo, s62
	s_cbranch_execz .LBB28_29
; %bb.28:                               ;   in Loop: Header=BB28_4 Depth=1
	ds_load_b128 v[3:6], v190
	v_mov_b32_e32 v0, v173
	s_or_b32 s26, s26, exec_lo
	s_wait_dscnt 0x0
	v_xor_b32_e32 v6, 0x80000000, v6
	ds_store_b64 v173, v[3:4]
.LBB28_29:                              ;   in Loop: Header=BB28_4 Depth=1
	s_or_b32 exec_lo, exec_lo, s62
	s_wait_alu 0xfffe
	s_and_saveexec_b32 s62, s26
; %bb.30:                               ;   in Loop: Header=BB28_4 Depth=1
	ds_store_b64 v0, v[5:6] offset:8
; %bb.31:                               ;   in Loop: Header=BB28_4 Depth=1
	s_wait_alu 0xfffe
	s_or_b32 exec_lo, exec_lo, s62
	s_mov_b32 s26, 0
	s_and_saveexec_b32 s62, s9
	s_wait_alu 0xfffe
	s_xor_b32 s62, exec_lo, s62
; %bb.32:                               ;   in Loop: Header=BB28_4 Depth=1
	s_and_b32 s26, s10, exec_lo
; %bb.33:                               ;   in Loop: Header=BB28_4 Depth=1
	s_wait_alu 0xfffe
	s_or_saveexec_b32 s62, s62
	v_dual_mov_b32 v5, 0 :: v_dual_mov_b32 v0, v172
	v_mov_b32_e32 v6, 0
	s_wait_alu 0xfffe
	s_xor_b32 exec_lo, exec_lo, s62
	s_cbranch_execz .LBB28_35
; %bb.34:                               ;   in Loop: Header=BB28_4 Depth=1
	ds_load_b128 v[3:6], v191
	v_mov_b32_e32 v0, v174
	s_or_b32 s26, s26, exec_lo
	s_wait_dscnt 0x0
	v_xor_b32_e32 v6, 0x80000000, v6
	ds_store_b64 v174, v[3:4]
.LBB28_35:                              ;   in Loop: Header=BB28_4 Depth=1
	s_or_b32 exec_lo, exec_lo, s62
	s_wait_alu 0xfffe
	s_and_saveexec_b32 s62, s26
; %bb.36:                               ;   in Loop: Header=BB28_4 Depth=1
	ds_store_b64 v0, v[5:6] offset:8
; %bb.37:                               ;   in Loop: Header=BB28_4 Depth=1
	s_wait_alu 0xfffe
	s_or_b32 exec_lo, exec_lo, s62
	s_mov_b32 s26, 0
	s_and_saveexec_b32 s62, s11
	s_wait_alu 0xfffe
	s_xor_b32 s62, exec_lo, s62
; %bb.38:                               ;   in Loop: Header=BB28_4 Depth=1
	s_and_b32 s26, s12, exec_lo
; %bb.39:                               ;   in Loop: Header=BB28_4 Depth=1
	s_wait_alu 0xfffe
	s_or_saveexec_b32 s62, s62
	v_dual_mov_b32 v5, 0 :: v_dual_mov_b32 v0, v172
	v_mov_b32_e32 v6, 0
	s_wait_alu 0xfffe
	s_xor_b32 exec_lo, exec_lo, s62
	s_cbranch_execz .LBB28_41
; %bb.40:                               ;   in Loop: Header=BB28_4 Depth=1
	ds_load_b128 v[3:6], v191 offset:528
	v_mov_b32_e32 v0, v175
	s_or_b32 s26, s26, exec_lo
	s_wait_dscnt 0x0
	v_xor_b32_e32 v6, 0x80000000, v6
	ds_store_b64 v175, v[3:4]
.LBB28_41:                              ;   in Loop: Header=BB28_4 Depth=1
	s_or_b32 exec_lo, exec_lo, s62
	s_wait_alu 0xfffe
	s_and_saveexec_b32 s62, s26
; %bb.42:                               ;   in Loop: Header=BB28_4 Depth=1
	ds_store_b64 v0, v[5:6] offset:8
; %bb.43:                               ;   in Loop: Header=BB28_4 Depth=1
	s_wait_alu 0xfffe
	s_or_b32 exec_lo, exec_lo, s62
	s_mov_b32 s26, 0
	s_and_saveexec_b32 s62, s13
	s_wait_alu 0xfffe
	s_xor_b32 s62, exec_lo, s62
; %bb.44:                               ;   in Loop: Header=BB28_4 Depth=1
	s_and_b32 s26, s14, exec_lo
; %bb.45:                               ;   in Loop: Header=BB28_4 Depth=1
	s_wait_alu 0xfffe
	s_or_saveexec_b32 s62, s62
	v_dual_mov_b32 v5, 0 :: v_dual_mov_b32 v0, v172
	v_mov_b32_e32 v6, 0
	s_wait_alu 0xfffe
	s_xor_b32 exec_lo, exec_lo, s62
	s_cbranch_execz .LBB28_47
; %bb.46:                               ;   in Loop: Header=BB28_4 Depth=1
	ds_load_b128 v[3:6], v191 offset:1056
	v_mov_b32_e32 v0, v177
	s_or_b32 s26, s26, exec_lo
	s_wait_dscnt 0x0
	v_xor_b32_e32 v6, 0x80000000, v6
	ds_store_b64 v177, v[3:4]
.LBB28_47:                              ;   in Loop: Header=BB28_4 Depth=1
	s_or_b32 exec_lo, exec_lo, s62
	s_wait_alu 0xfffe
	s_and_saveexec_b32 s62, s26
; %bb.48:                               ;   in Loop: Header=BB28_4 Depth=1
	ds_store_b64 v0, v[5:6] offset:8
; %bb.49:                               ;   in Loop: Header=BB28_4 Depth=1
	s_wait_alu 0xfffe
	s_or_b32 exec_lo, exec_lo, s62
	s_wait_loadcnt_dscnt 0x0
	s_barrier_signal -1
	s_barrier_wait -1
	global_inv scope:SCOPE_SE
	ds_load_b128 v[3:6], v190
	ds_load_b128 v[11:14], v178
	ds_load_b128 v[15:18], v178 offset:16
	ds_load_b128 v[19:22], v191
	s_wait_dscnt 0x2
	v_mul_f64_e32 v[0:1], v[13:14], v[5:6]
	v_mul_f64_e32 v[5:6], v[11:12], v[5:6]
	s_wait_dscnt 0x0
	v_mul_f64_e32 v[7:8], v[17:18], v[21:22]
	v_mul_f64_e32 v[29:30], v[15:16], v[21:22]
	s_delay_alu instid0(VALU_DEP_4) | instskip(NEXT) | instid1(VALU_DEP_4)
	v_fma_f64 v[0:1], v[11:12], v[3:4], -v[0:1]
	v_fma_f64 v[31:32], v[13:14], v[3:4], v[5:6]
	ds_load_b128 v[3:6], v191 offset:528
	ds_load_b128 v[11:14], v178 offset:32
	;; [unrolled: 1-line block ×4, first 2 shown]
	v_fma_f64 v[7:8], v[15:16], v[19:20], -v[7:8]
	v_fma_f64 v[15:16], v[17:18], v[19:20], v[29:30]
	s_wait_loadcnt_dscnt 0x0
	s_barrier_signal -1
	s_barrier_wait -1
	global_inv scope:SCOPE_SE
	v_mul_f64_e32 v[33:34], v[13:14], v[5:6]
	v_mul_f64_e32 v[5:6], v[11:12], v[5:6]
	;; [unrolled: 1-line block ×4, first 2 shown]
	v_add_f64_e32 v[0:1], 0, v[0:1]
	v_add_f64_e32 v[17:18], 0, v[31:32]
	v_fma_f64 v[11:12], v[11:12], v[3:4], -v[33:34]
	v_fma_f64 v[3:4], v[13:14], v[3:4], v[5:6]
	v_fma_f64 v[13:14], v[23:24], v[25:26], v[27:28]
	v_add_f64_e32 v[0:1], v[0:1], v[7:8]
	v_add_f64_e32 v[5:6], v[17:18], v[15:16]
	v_fma_f64 v[7:8], v[21:22], v[25:26], -v[19:20]
	s_delay_alu instid0(VALU_DEP_3) | instskip(NEXT) | instid1(VALU_DEP_3)
	v_add_f64_e32 v[0:1], v[0:1], v[11:12]
	v_add_f64_e32 v[3:4], v[5:6], v[3:4]
	v_mov_b32_e32 v5, 0
	v_mov_b32_e32 v6, 0
	s_delay_alu instid0(VALU_DEP_4) | instskip(NEXT) | instid1(VALU_DEP_4)
	v_add_f64_e32 v[11:12], v[0:1], v[7:8]
	v_add_f64_e32 v[13:14], v[3:4], v[13:14]
	v_mov_b32_e32 v7, 0
	v_mov_b32_e32 v8, 0
	ds_store_b128 v179, v[11:14]
	s_wait_loadcnt_dscnt 0x0
	s_barrier_signal -1
	s_barrier_wait -1
	global_inv scope:SCOPE_SE
	s_and_saveexec_b32 s26, s15
	s_cbranch_execz .LBB28_51
; %bb.50:                               ;   in Loop: Header=BB28_4 Depth=1
	ds_load_b128 v[3:6], v176
	ds_load_b128 v[11:14], v176 offset:16
	s_wait_dscnt 0x0
	v_add_f64_e32 v[0:1], v[11:12], v[3:4]
	v_add_f64_e32 v[7:8], v[13:14], v[5:6]
	ds_load_b128 v[3:6], v176 offset:32
	ds_load_b128 v[11:14], v176 offset:48
	s_wait_dscnt 0x1
	v_add_f64_e32 v[0:1], v[0:1], v[3:4]
	v_add_f64_e32 v[3:4], v[7:8], v[5:6]
	s_wait_dscnt 0x0
	s_delay_alu instid0(VALU_DEP_2) | instskip(NEXT) | instid1(VALU_DEP_2)
	v_add_f64_e32 v[0:1], v[0:1], v[11:12]
	v_add_f64_e32 v[7:8], v[3:4], v[13:14]
	ds_load_b128 v[3:6], v176 offset:64
	ds_load_b128 v[11:14], v176 offset:80
	s_wait_dscnt 0x1
	v_add_f64_e32 v[0:1], v[0:1], v[3:4]
	v_add_f64_e32 v[3:4], v[7:8], v[5:6]
	s_wait_dscnt 0x0
	s_delay_alu instid0(VALU_DEP_2) | instskip(NEXT) | instid1(VALU_DEP_2)
	;; [unrolled: 9-line block ×3, first 2 shown]
	v_add_f64_e32 v[5:6], v[0:1], v[11:12]
	v_add_f64_e32 v[7:8], v[3:4], v[13:14]
.LBB28_51:                              ;   in Loop: Header=BB28_4 Depth=1
	s_wait_alu 0xfffe
	s_or_b32 exec_lo, exec_lo, s26
	s_lshl_b64 s[62:63], s[46:47], 4
	s_mov_b32 s26, -1
	s_wait_alu 0xfffe
	v_add_co_u32 v0, vcc_lo, v9, s62
	s_wait_alu 0xfffd
	v_add_co_ci_u32_e64 v9, null, s63, v10, vcc_lo
	s_wait_loadcnt 0x0
	s_delay_alu instid0(VALU_DEP_2) | instskip(SKIP_1) | instid1(VALU_DEP_2)
	v_add_co_u32 v13, vcc_lo, 0x200, v0
	s_wait_alu 0xfffd
	v_add_co_ci_u32_e64 v14, null, 0, v9, vcc_lo
	s_and_not1_b32 vcc_lo, exec_lo, s64
	s_barrier_signal -1
	s_barrier_wait -1
	global_inv scope:SCOPE_SE
	s_wait_alu 0xfffe
	s_cbranch_vccnz .LBB28_53
; %bb.52:                               ;   in Loop: Header=BB28_4 Depth=1
	v_add_co_u32 v3, vcc_lo, v0, s36
	s_wait_alu 0xfffd
	v_add_co_ci_u32_e64 v4, null, s37, v9, vcc_lo
	s_mov_b32 s26, 0
	v_add_co_u32 v10, vcc_lo, v3, s36
	s_wait_alu 0xfffd
	v_add_co_ci_u32_e64 v11, null, s37, v4, vcc_lo
	s_delay_alu instid0(VALU_DEP_2) | instskip(SKIP_1) | instid1(VALU_DEP_2)
	v_add_co_u32 v27, vcc_lo, v10, s36
	s_wait_alu 0xfffd
	v_add_co_ci_u32_e64 v28, null, s37, v11, vcc_lo
	s_clause 0x3
	global_load_b128 v[15:18], v[13:14], off
	global_load_b128 v[19:22], v[3:4], off offset:512
	global_load_b128 v[23:26], v[10:11], off offset:512
	;; [unrolled: 1-line block ×3, first 2 shown]
	s_wait_loadcnt 0x3
	ds_store_2addr_b64 v164, v[15:16], v[17:18] offset1:1
	s_wait_loadcnt 0x2
	ds_store_2addr_b64 v169, v[19:20], v[21:22] offset1:1
	;; [unrolled: 2-line block ×4, first 2 shown]
.LBB28_53:                              ;   in Loop: Header=BB28_4 Depth=1
	s_wait_alu 0xfffe
	s_and_not1_b32 vcc_lo, exec_lo, s26
	s_wait_alu 0xfffe
	s_cbranch_vccnz .LBB28_65
; %bb.54:                               ;   in Loop: Header=BB28_4 Depth=1
	s_and_saveexec_b32 s26, s17
	s_wait_alu 0xfffe
	s_xor_b32 s26, exec_lo, s26
; %bb.55:                               ;   in Loop: Header=BB28_4 Depth=1
	v_dual_mov_b32 v1, v2 :: v_dual_mov_b32 v4, v2
	v_mov_b32_e32 v3, v2
	ds_store_b128 v164, v[1:4]
; %bb.56:                               ;   in Loop: Header=BB28_4 Depth=1
	s_wait_alu 0xfffe
	s_or_saveexec_b32 s26, s26
	v_add_co_u32 v0, vcc_lo, v0, v153
	s_wait_alu 0xfffd
	v_add_co_ci_u32_e64 v1, null, v9, v154, vcc_lo
	s_lshl_b64 s[62:63], s[30:31], 4
	s_wait_alu 0xfffe
	v_add_co_u32 v0, vcc_lo, v0, s62
	s_wait_alu 0xfffd
	v_add_co_ci_u32_e64 v1, null, s63, v1, vcc_lo
	s_delay_alu instid0(VALU_DEP_2) | instskip(SKIP_1) | instid1(VALU_DEP_2)
	v_add_co_u32 v0, vcc_lo, v0, -16
	s_wait_alu 0xfffd
	v_add_co_ci_u32_e64 v1, null, -1, v1, vcc_lo
	s_delay_alu instid0(VALU_DEP_2) | instskip(NEXT) | instid1(VALU_DEP_2)
	v_cndmask_b32_e64 v9, v0, v13, s16
	v_cndmask_b32_e64 v10, v1, v14, s16
	s_xor_b32 exec_lo, exec_lo, s26
	s_cbranch_execnz .LBB28_124
; %bb.57:                               ;   in Loop: Header=BB28_4 Depth=1
	s_or_b32 exec_lo, exec_lo, s26
	s_and_saveexec_b32 s26, s18
	s_wait_alu 0xfffe
	s_xor_b32 s26, exec_lo, s26
	s_cbranch_execnz .LBB28_125
.LBB28_58:                              ;   in Loop: Header=BB28_4 Depth=1
	s_wait_alu 0xfffe
	s_and_not1_saveexec_b32 s26, s26
	s_cbranch_execnz .LBB28_126
.LBB28_59:                              ;   in Loop: Header=BB28_4 Depth=1
	s_wait_alu 0xfffe
	s_or_b32 exec_lo, exec_lo, s26
	s_and_saveexec_b32 s26, s19
	s_wait_alu 0xfffe
	s_xor_b32 s26, exec_lo, s26
	s_cbranch_execnz .LBB28_127
.LBB28_60:                              ;   in Loop: Header=BB28_4 Depth=1
	s_wait_alu 0xfffe
	s_and_not1_saveexec_b32 s26, s26
	s_cbranch_execnz .LBB28_128
.LBB28_61:                              ;   in Loop: Header=BB28_4 Depth=1
	s_wait_alu 0xfffe
	s_or_b32 exec_lo, exec_lo, s26
	s_and_saveexec_b32 s26, s20
	s_wait_alu 0xfffe
	s_xor_b32 s26, exec_lo, s26
	s_cbranch_execnz .LBB28_129
.LBB28_62:                              ;   in Loop: Header=BB28_4 Depth=1
	s_wait_alu 0xfffe
	s_and_not1_saveexec_b32 s26, s26
	s_cbranch_execz .LBB28_64
.LBB28_63:                              ;   in Loop: Header=BB28_4 Depth=1
	v_add_co_u32 v0, vcc_lo, v9, s44
	s_wait_alu 0xfffd
	v_add_co_ci_u32_e64 v1, null, s45, v10, vcc_lo
	global_load_b128 v[15:18], v[0:1], off
	s_wait_loadcnt 0x0
	ds_store_2addr_b64 v171, v[15:16], v[17:18] offset1:1
.LBB28_64:                              ;   in Loop: Header=BB28_4 Depth=1
	s_wait_alu 0xfffe
	s_or_b32 exec_lo, exec_lo, s26
	v_add_co_u32 v0, vcc_lo, v9, v194
	s_wait_alu 0xfffd
	v_add_co_ci_u32_e64 v1, null, 0, v10, vcc_lo
	s_lshl_b64 s[62:63], s[52:53], 4
	s_wait_alu 0xfffe
	v_add_co_u32 v0, vcc_lo, v0, s62
	s_wait_alu 0xfffd
	v_add_co_ci_u32_e64 v1, null, s63, v1, vcc_lo
	s_delay_alu instid0(VALU_DEP_2) | instskip(SKIP_1) | instid1(VALU_DEP_2)
	v_add_co_u32 v0, vcc_lo, 0x210, v0
	s_wait_alu 0xfffd
	v_add_co_ci_u32_e64 v1, null, 0, v1, vcc_lo
	s_delay_alu instid0(VALU_DEP_2) | instskip(NEXT) | instid1(VALU_DEP_2)
	v_cndmask_b32_e64 v13, v0, v13, s16
	v_cndmask_b32_e64 v14, v1, v14, s16
.LBB28_65:                              ;   in Loop: Header=BB28_4 Depth=1
	s_mov_b32 s26, 0
	s_wait_loadcnt_dscnt 0x0
	s_barrier_signal -1
	s_barrier_wait -1
	global_inv scope:SCOPE_SE
	s_and_saveexec_b32 s62, s7
	s_wait_alu 0xfffe
	s_xor_b32 s62, exec_lo, s62
; %bb.66:                               ;   in Loop: Header=BB28_4 Depth=1
	s_and_b32 s26, s8, exec_lo
; %bb.67:                               ;   in Loop: Header=BB28_4 Depth=1
	s_wait_alu 0xfffe
	s_or_saveexec_b32 s62, s62
	v_dual_mov_b32 v11, 0 :: v_dual_mov_b32 v0, v172
	v_mov_b32_e32 v12, 0
	s_wait_alu 0xfffe
	s_xor_b32 exec_lo, exec_lo, s62
	s_cbranch_execz .LBB28_69
; %bb.68:                               ;   in Loop: Header=BB28_4 Depth=1
	ds_load_b128 v[9:12], v190
	v_mov_b32_e32 v0, v173
	s_or_b32 s26, s26, exec_lo
	s_wait_dscnt 0x0
	v_xor_b32_e32 v12, 0x80000000, v12
	ds_store_b64 v173, v[9:10]
.LBB28_69:                              ;   in Loop: Header=BB28_4 Depth=1
	s_or_b32 exec_lo, exec_lo, s62
	s_wait_alu 0xfffe
	s_and_saveexec_b32 s62, s26
; %bb.70:                               ;   in Loop: Header=BB28_4 Depth=1
	ds_store_b64 v0, v[11:12] offset:8
; %bb.71:                               ;   in Loop: Header=BB28_4 Depth=1
	s_wait_alu 0xfffe
	s_or_b32 exec_lo, exec_lo, s62
	s_mov_b32 s26, 0
	s_and_saveexec_b32 s62, s9
	s_wait_alu 0xfffe
	s_xor_b32 s62, exec_lo, s62
; %bb.72:                               ;   in Loop: Header=BB28_4 Depth=1
	s_and_b32 s26, s10, exec_lo
; %bb.73:                               ;   in Loop: Header=BB28_4 Depth=1
	s_wait_alu 0xfffe
	s_or_saveexec_b32 s62, s62
	v_dual_mov_b32 v11, 0 :: v_dual_mov_b32 v0, v172
	v_mov_b32_e32 v12, 0
	s_wait_alu 0xfffe
	s_xor_b32 exec_lo, exec_lo, s62
	s_cbranch_execz .LBB28_75
; %bb.74:                               ;   in Loop: Header=BB28_4 Depth=1
	ds_load_b128 v[9:12], v191
	v_mov_b32_e32 v0, v174
	s_or_b32 s26, s26, exec_lo
	s_wait_dscnt 0x0
	v_xor_b32_e32 v12, 0x80000000, v12
	ds_store_b64 v174, v[9:10]
.LBB28_75:                              ;   in Loop: Header=BB28_4 Depth=1
	s_or_b32 exec_lo, exec_lo, s62
	s_wait_alu 0xfffe
	s_and_saveexec_b32 s62, s26
; %bb.76:                               ;   in Loop: Header=BB28_4 Depth=1
	ds_store_b64 v0, v[11:12] offset:8
; %bb.77:                               ;   in Loop: Header=BB28_4 Depth=1
	s_wait_alu 0xfffe
	s_or_b32 exec_lo, exec_lo, s62
	s_mov_b32 s26, 0
	s_and_saveexec_b32 s62, s11
	s_wait_alu 0xfffe
	s_xor_b32 s62, exec_lo, s62
; %bb.78:                               ;   in Loop: Header=BB28_4 Depth=1
	s_and_b32 s26, s12, exec_lo
; %bb.79:                               ;   in Loop: Header=BB28_4 Depth=1
	s_wait_alu 0xfffe
	s_or_saveexec_b32 s62, s62
	v_dual_mov_b32 v11, 0 :: v_dual_mov_b32 v0, v172
	v_mov_b32_e32 v12, 0
	s_wait_alu 0xfffe
	s_xor_b32 exec_lo, exec_lo, s62
	s_cbranch_execz .LBB28_81
; %bb.80:                               ;   in Loop: Header=BB28_4 Depth=1
	ds_load_b128 v[9:12], v191 offset:528
	v_mov_b32_e32 v0, v175
	s_or_b32 s26, s26, exec_lo
	s_wait_dscnt 0x0
	v_xor_b32_e32 v12, 0x80000000, v12
	ds_store_b64 v175, v[9:10]
.LBB28_81:                              ;   in Loop: Header=BB28_4 Depth=1
	s_or_b32 exec_lo, exec_lo, s62
	s_wait_alu 0xfffe
	s_and_saveexec_b32 s62, s26
; %bb.82:                               ;   in Loop: Header=BB28_4 Depth=1
	ds_store_b64 v0, v[11:12] offset:8
; %bb.83:                               ;   in Loop: Header=BB28_4 Depth=1
	s_wait_alu 0xfffe
	s_or_b32 exec_lo, exec_lo, s62
	s_mov_b32 s26, 0
	s_and_saveexec_b32 s62, s13
	s_wait_alu 0xfffe
	s_xor_b32 s62, exec_lo, s62
; %bb.84:                               ;   in Loop: Header=BB28_4 Depth=1
	s_and_b32 s26, s14, exec_lo
; %bb.85:                               ;   in Loop: Header=BB28_4 Depth=1
	s_wait_alu 0xfffe
	s_or_saveexec_b32 s62, s62
	v_dual_mov_b32 v11, 0 :: v_dual_mov_b32 v0, v172
	v_mov_b32_e32 v12, 0
	s_wait_alu 0xfffe
	s_xor_b32 exec_lo, exec_lo, s62
	s_cbranch_execz .LBB28_87
; %bb.86:                               ;   in Loop: Header=BB28_4 Depth=1
	ds_load_b128 v[9:12], v191 offset:1056
	v_mov_b32_e32 v0, v177
	s_or_b32 s26, s26, exec_lo
	s_wait_dscnt 0x0
	v_xor_b32_e32 v12, 0x80000000, v12
	ds_store_b64 v177, v[9:10]
.LBB28_87:                              ;   in Loop: Header=BB28_4 Depth=1
	s_or_b32 exec_lo, exec_lo, s62
	s_wait_alu 0xfffe
	s_and_saveexec_b32 s62, s26
; %bb.88:                               ;   in Loop: Header=BB28_4 Depth=1
	ds_store_b64 v0, v[11:12] offset:8
; %bb.89:                               ;   in Loop: Header=BB28_4 Depth=1
	s_wait_alu 0xfffe
	s_or_b32 exec_lo, exec_lo, s62
	s_wait_loadcnt_dscnt 0x0
	s_barrier_signal -1
	s_barrier_wait -1
	global_inv scope:SCOPE_SE
	ds_load_b128 v[9:12], v190
	ds_load_b128 v[15:18], v178 offset:512
	ds_load_b128 v[19:22], v178 offset:528
	ds_load_b128 v[23:26], v191
	s_wait_dscnt 0x2
	v_mul_f64_e32 v[0:1], v[17:18], v[11:12]
	v_mul_f64_e32 v[3:4], v[15:16], v[11:12]
	s_wait_dscnt 0x0
	v_mul_f64_e32 v[33:34], v[21:22], v[25:26]
	v_mul_f64_e32 v[35:36], v[19:20], v[25:26]
	s_delay_alu instid0(VALU_DEP_4) | instskip(NEXT) | instid1(VALU_DEP_4)
	v_fma_f64 v[0:1], v[15:16], v[9:10], -v[0:1]
	v_fma_f64 v[3:4], v[17:18], v[9:10], v[3:4]
	ds_load_b128 v[9:12], v191 offset:528
	ds_load_b128 v[15:18], v178 offset:544
	;; [unrolled: 1-line block ×4, first 2 shown]
	v_fma_f64 v[19:20], v[19:20], v[23:24], -v[33:34]
	v_fma_f64 v[21:22], v[21:22], v[23:24], v[35:36]
	s_wait_loadcnt_dscnt 0x0
	s_barrier_signal -1
	s_barrier_wait -1
	global_inv scope:SCOPE_SE
	v_mul_f64_e32 v[37:38], v[17:18], v[11:12]
	v_mul_f64_e32 v[11:12], v[15:16], v[11:12]
	;; [unrolled: 1-line block ×4, first 2 shown]
	v_add_f64_e32 v[0:1], 0, v[0:1]
	v_add_f64_e32 v[3:4], 0, v[3:4]
	v_fma_f64 v[15:16], v[15:16], v[9:10], -v[37:38]
	v_fma_f64 v[9:10], v[17:18], v[9:10], v[11:12]
	v_fma_f64 v[11:12], v[25:26], v[29:30], -v[23:24]
	v_fma_f64 v[17:18], v[27:28], v[29:30], v[31:32]
	v_add_f64_e32 v[0:1], v[0:1], v[19:20]
	v_add_f64_e32 v[3:4], v[3:4], v[21:22]
	s_delay_alu instid0(VALU_DEP_2) | instskip(NEXT) | instid1(VALU_DEP_2)
	v_add_f64_e32 v[0:1], v[0:1], v[15:16]
	v_add_f64_e32 v[3:4], v[3:4], v[9:10]
	s_delay_alu instid0(VALU_DEP_2) | instskip(NEXT) | instid1(VALU_DEP_2)
	v_add_f64_e32 v[9:10], v[0:1], v[11:12]
	v_add_f64_e32 v[11:12], v[3:4], v[17:18]
	ds_store_b128 v179, v[9:12]
	s_wait_loadcnt_dscnt 0x0
	s_barrier_signal -1
	s_barrier_wait -1
	global_inv scope:SCOPE_SE
	s_and_saveexec_b32 s26, s21
	s_cbranch_execz .LBB28_91
; %bb.90:                               ;   in Loop: Header=BB28_4 Depth=1
	ds_load_b128 v[3:6], v176
	ds_load_b128 v[7:10], v176 offset:16
	s_wait_dscnt 0x0
	v_add_f64_e32 v[0:1], v[7:8], v[3:4]
	v_add_f64_e32 v[11:12], v[9:10], v[5:6]
	ds_load_b128 v[3:6], v176 offset:32
	ds_load_b128 v[7:10], v176 offset:48
	s_wait_dscnt 0x1
	v_add_f64_e32 v[0:1], v[0:1], v[3:4]
	v_add_f64_e32 v[3:4], v[11:12], v[5:6]
	s_wait_dscnt 0x0
	s_delay_alu instid0(VALU_DEP_2) | instskip(NEXT) | instid1(VALU_DEP_2)
	v_add_f64_e32 v[0:1], v[0:1], v[7:8]
	v_add_f64_e32 v[11:12], v[3:4], v[9:10]
	ds_load_b128 v[3:6], v176 offset:64
	ds_load_b128 v[7:10], v176 offset:80
	s_wait_dscnt 0x1
	v_add_f64_e32 v[0:1], v[0:1], v[3:4]
	v_add_f64_e32 v[3:4], v[11:12], v[5:6]
	s_wait_dscnt 0x0
	s_delay_alu instid0(VALU_DEP_2) | instskip(NEXT) | instid1(VALU_DEP_2)
	;; [unrolled: 9-line block ×3, first 2 shown]
	v_add_f64_e32 v[5:6], v[0:1], v[7:8]
	v_add_f64_e32 v[7:8], v[3:4], v[9:10]
.LBB28_91:                              ;   in Loop: Header=BB28_4 Depth=1
	s_wait_alu 0xfffe
	s_or_b32 exec_lo, exec_lo, s26
	v_add_co_u32 v43, vcc_lo, v13, s56
	s_wait_alu 0xfffd
	v_add_co_ci_u32_e64 v44, null, s57, v14, vcc_lo
	s_and_not1_b32 vcc_lo, exec_lo, s64
	s_mov_b32 s26, -1
	s_wait_loadcnt 0x0
	s_barrier_signal -1
	s_barrier_wait -1
	global_inv scope:SCOPE_SE
	s_wait_alu 0xfffe
	s_cbranch_vccnz .LBB28_93
; %bb.92:                               ;   in Loop: Header=BB28_4 Depth=1
	v_add_co_u32 v0, vcc_lo, v43, s36
	s_wait_alu 0xfffd
	v_add_co_ci_u32_e64 v1, null, s37, v44, vcc_lo
	s_mov_b32 s26, 0
	v_add_co_u32 v3, vcc_lo, v0, s36
	s_wait_alu 0xfffd
	v_add_co_ci_u32_e64 v4, null, s37, v1, vcc_lo
	s_delay_alu instid0(VALU_DEP_2) | instskip(SKIP_1) | instid1(VALU_DEP_2)
	v_add_co_u32 v21, vcc_lo, v3, s36
	s_wait_alu 0xfffd
	v_add_co_ci_u32_e64 v22, null, s37, v4, vcc_lo
	s_clause 0x3
	global_load_b128 v[9:12], v[43:44], off
	global_load_b128 v[13:16], v[0:1], off
	;; [unrolled: 1-line block ×4, first 2 shown]
	s_wait_loadcnt 0x3
	ds_store_2addr_b64 v164, v[9:10], v[11:12] offset1:1
	s_wait_loadcnt 0x2
	ds_store_2addr_b64 v169, v[13:14], v[15:16] offset1:1
	;; [unrolled: 2-line block ×4, first 2 shown]
.LBB28_93:                              ;   in Loop: Header=BB28_4 Depth=1
	s_wait_alu 0xfffe
	s_and_not1_b32 vcc_lo, exec_lo, s26
	s_wait_alu 0xfffe
	s_cbranch_vccnz .LBB28_105
; %bb.94:                               ;   in Loop: Header=BB28_4 Depth=1
	s_and_saveexec_b32 s26, s3
	s_wait_alu 0xfffe
	s_xor_b32 s26, exec_lo, s26
; %bb.95:                               ;   in Loop: Header=BB28_4 Depth=1
	v_dual_mov_b32 v1, v2 :: v_dual_mov_b32 v4, v2
	v_mov_b32_e32 v3, v2
	ds_store_b128 v164, v[1:4]
; %bb.96:                               ;   in Loop: Header=BB28_4 Depth=1
	s_wait_alu 0xfffe
	s_or_saveexec_b32 s26, s26
	v_add_co_u32 v0, vcc_lo, v43, v153
	s_wait_alu 0xfffd
	v_add_co_ci_u32_e64 v1, null, v44, v154, vcc_lo
	s_lshl_b64 s[62:63], s[30:31], 4
	s_wait_alu 0xfffe
	v_add_co_u32 v0, vcc_lo, v0, s62
	s_wait_alu 0xfffd
	v_add_co_ci_u32_e64 v1, null, s63, v1, vcc_lo
	s_delay_alu instid0(VALU_DEP_2) | instskip(SKIP_1) | instid1(VALU_DEP_2)
	v_add_co_u32 v0, vcc_lo, 0xfffffdf0, v0
	s_wait_alu 0xfffd
	v_add_co_ci_u32_e64 v1, null, -1, v1, vcc_lo
	s_delay_alu instid0(VALU_DEP_2) | instskip(NEXT) | instid1(VALU_DEP_2)
	v_cndmask_b32_e64 v9, v0, v43, s16
	v_cndmask_b32_e64 v10, v1, v44, s16
	s_xor_b32 exec_lo, exec_lo, s26
	s_cbranch_execnz .LBB28_130
; %bb.97:                               ;   in Loop: Header=BB28_4 Depth=1
	s_or_b32 exec_lo, exec_lo, s26
	s_and_saveexec_b32 s26, s4
	s_wait_alu 0xfffe
	s_xor_b32 s26, exec_lo, s26
	s_cbranch_execnz .LBB28_131
.LBB28_98:                              ;   in Loop: Header=BB28_4 Depth=1
	s_wait_alu 0xfffe
	s_and_not1_saveexec_b32 s26, s26
	s_cbranch_execnz .LBB28_132
.LBB28_99:                              ;   in Loop: Header=BB28_4 Depth=1
	s_wait_alu 0xfffe
	s_or_b32 exec_lo, exec_lo, s26
	s_and_saveexec_b32 s26, s5
	s_wait_alu 0xfffe
	s_xor_b32 s26, exec_lo, s26
	s_cbranch_execnz .LBB28_133
.LBB28_100:                             ;   in Loop: Header=BB28_4 Depth=1
	s_wait_alu 0xfffe
	s_and_not1_saveexec_b32 s26, s26
	s_cbranch_execnz .LBB28_134
.LBB28_101:                             ;   in Loop: Header=BB28_4 Depth=1
	s_wait_alu 0xfffe
	s_or_b32 exec_lo, exec_lo, s26
	s_and_saveexec_b32 s26, s6
	s_wait_alu 0xfffe
	s_xor_b32 s26, exec_lo, s26
	s_cbranch_execnz .LBB28_135
.LBB28_102:                             ;   in Loop: Header=BB28_4 Depth=1
	s_wait_alu 0xfffe
	s_and_not1_saveexec_b32 s26, s26
	s_cbranch_execz .LBB28_104
.LBB28_103:                             ;   in Loop: Header=BB28_4 Depth=1
	v_add_co_u32 v0, vcc_lo, v9, s44
	s_wait_alu 0xfffd
	v_add_co_ci_u32_e64 v1, null, s45, v10, vcc_lo
	global_load_b128 v[11:14], v[0:1], off
	s_wait_loadcnt 0x0
	ds_store_2addr_b64 v171, v[11:12], v[13:14] offset1:1
.LBB28_104:                             ;   in Loop: Header=BB28_4 Depth=1
	s_wait_alu 0xfffe
	s_or_b32 exec_lo, exec_lo, s26
	v_add_co_u32 v0, vcc_lo, v9, v194
	s_wait_alu 0xfffd
	v_add_co_ci_u32_e64 v1, null, 0, v10, vcc_lo
	s_lshl_b64 s[62:63], s[52:53], 4
	s_wait_alu 0xfffe
	v_add_co_u32 v0, vcc_lo, v0, s62
	s_wait_alu 0xfffd
	v_add_co_ci_u32_e64 v1, null, s63, v1, vcc_lo
	s_delay_alu instid0(VALU_DEP_2) | instskip(SKIP_1) | instid1(VALU_DEP_2)
	v_add_co_u32 v0, vcc_lo, 0x210, v0
	s_wait_alu 0xfffd
	v_add_co_ci_u32_e64 v1, null, 0, v1, vcc_lo
	s_delay_alu instid0(VALU_DEP_2) | instskip(NEXT) | instid1(VALU_DEP_2)
	v_cndmask_b32_e64 v43, v0, v43, s16
	v_cndmask_b32_e64 v44, v1, v44, s16
.LBB28_105:                             ;   in Loop: Header=BB28_4 Depth=1
	s_wait_loadcnt_dscnt 0x0
	s_barrier_signal -1
	s_barrier_wait -1
	global_inv scope:SCOPE_SE
	ds_load_b128 v[9:12], v192
	ds_load_b128 v[13:16], v164
	;; [unrolled: 1-line block ×3, first 2 shown]
	ds_load_b128 v[21:24], v189 offset:384
	ds_load_b128 v[25:28], v189 offset:128
	;; [unrolled: 1-line block ×3, first 2 shown]
	s_wait_dscnt 0x4
	v_mul_f64_e32 v[0:1], v[11:12], v[15:16]
	v_mul_f64_e32 v[3:4], v[9:10], v[15:16]
	s_wait_dscnt 0x1
	v_mul_f64_e32 v[33:34], v[27:28], v[19:20]
	v_mul_f64_e32 v[19:20], v[25:26], v[19:20]
	s_delay_alu instid0(VALU_DEP_4) | instskip(NEXT) | instid1(VALU_DEP_4)
	v_fma_f64 v[0:1], v[9:10], v[13:14], -v[0:1]
	v_fma_f64 v[3:4], v[11:12], v[13:14], v[3:4]
	ds_load_b128 v[9:12], v170
	ds_load_b128 v[13:16], v171
	v_fma_f64 v[25:26], v[25:26], v[17:18], -v[33:34]
	v_fma_f64 v[17:18], v[27:28], v[17:18], v[19:20]
	s_wait_dscnt 0x1
	v_mul_f64_e32 v[35:36], v[31:32], v[11:12]
	v_mul_f64_e32 v[11:12], v[29:30], v[11:12]
	s_wait_dscnt 0x0
	v_mul_f64_e32 v[19:20], v[23:24], v[15:16]
	v_mul_f64_e32 v[15:16], v[21:22], v[15:16]
	v_add_f64_e32 v[0:1], 0, v[0:1]
	v_add_f64_e32 v[3:4], 0, v[3:4]
	v_fma_f64 v[27:28], v[29:30], v[9:10], -v[35:36]
	v_fma_f64 v[9:10], v[31:32], v[9:10], v[11:12]
	v_fma_f64 v[11:12], v[21:22], v[13:14], -v[19:20]
	v_fma_f64 v[13:14], v[23:24], v[13:14], v[15:16]
	v_add_f64_e32 v[0:1], v[0:1], v[25:26]
	v_add_f64_e32 v[3:4], v[3:4], v[17:18]
	s_delay_alu instid0(VALU_DEP_2) | instskip(NEXT) | instid1(VALU_DEP_2)
	v_add_f64_e32 v[0:1], v[0:1], v[27:28]
	v_add_f64_e32 v[3:4], v[3:4], v[9:10]
	s_delay_alu instid0(VALU_DEP_2) | instskip(NEXT) | instid1(VALU_DEP_2)
	v_add_f64_e32 v[45:46], v[0:1], v[11:12]
	v_add_f64_e32 v[47:48], v[3:4], v[13:14]
	ds_load_b128 v[33:36], v180
	ds_load_b128 v[25:28], v180 offset:16
	ds_load_b128 v[13:16], v180 offset:32
	;; [unrolled: 1-line block ×7, first 2 shown]
	s_wait_loadcnt_dscnt 0x0
	s_barrier_signal -1
	s_barrier_wait -1
	global_inv scope:SCOPE_SE
	ds_store_b128 v179, v[45:48]
	s_wait_loadcnt_dscnt 0x0
	s_barrier_signal -1
	s_barrier_wait -1
	global_inv scope:SCOPE_SE
	s_and_saveexec_b32 s26, s21
	s_cbranch_execz .LBB28_107
; %bb.106:                              ;   in Loop: Header=BB28_4 Depth=1
	ds_load_b128 v[45:48], v176
	ds_load_b128 v[49:52], v176 offset:16
	s_wait_dscnt 0x1
	v_add_f64_e32 v[0:1], v[5:6], v[45:46]
	v_add_f64_e32 v[3:4], v[7:8], v[47:48]
	s_wait_dscnt 0x0
	s_delay_alu instid0(VALU_DEP_2) | instskip(NEXT) | instid1(VALU_DEP_2)
	v_add_f64_e32 v[0:1], v[0:1], v[49:50]
	v_add_f64_e32 v[7:8], v[3:4], v[51:52]
	ds_load_b128 v[3:6], v176 offset:32
	ds_load_b128 v[45:48], v176 offset:48
	s_wait_dscnt 0x1
	v_add_f64_e32 v[0:1], v[0:1], v[3:4]
	v_add_f64_e32 v[3:4], v[7:8], v[5:6]
	s_wait_dscnt 0x0
	s_delay_alu instid0(VALU_DEP_2) | instskip(NEXT) | instid1(VALU_DEP_2)
	v_add_f64_e32 v[0:1], v[0:1], v[45:46]
	v_add_f64_e32 v[7:8], v[3:4], v[47:48]
	ds_load_b128 v[3:6], v176 offset:64
	;; [unrolled: 9-line block ×3, first 2 shown]
	ds_load_b128 v[45:48], v176 offset:112
	s_wait_dscnt 0x1
	v_add_f64_e32 v[0:1], v[0:1], v[3:4]
	v_add_f64_e32 v[3:4], v[7:8], v[5:6]
	s_wait_dscnt 0x0
	s_delay_alu instid0(VALU_DEP_2) | instskip(NEXT) | instid1(VALU_DEP_2)
	v_add_f64_e32 v[5:6], v[0:1], v[45:46]
	v_add_f64_e32 v[7:8], v[3:4], v[47:48]
.LBB28_107:                             ;   in Loop: Header=BB28_4 Depth=1
	s_wait_alu 0xfffe
	s_or_b32 exec_lo, exec_lo, s26
	v_mul_f64_e32 v[0:1], v[35:36], v[39:40]
	v_mul_f64_e32 v[3:4], v[35:36], v[37:38]
	;; [unrolled: 1-line block ×4, first 2 shown]
	s_wait_loadcnt 0x0
	s_barrier_signal -1
	s_barrier_wait -1
	global_inv scope:SCOPE_SE
	v_fma_f64 v[0:1], v[33:34], v[37:38], v[0:1]
	v_fma_f64 v[3:4], v[33:34], v[39:40], -v[3:4]
	v_mul_f64_e32 v[33:34], v[15:16], v[23:24]
	v_mul_f64_e32 v[15:16], v[15:16], v[21:22]
	v_fma_f64 v[29:30], v[25:26], v[29:30], v[35:36]
	v_fma_f64 v[25:26], v[25:26], v[31:32], -v[27:28]
	v_mul_f64_e32 v[27:28], v[11:12], v[19:20]
	v_mul_f64_e32 v[11:12], v[11:12], v[17:18]
	v_add_f64_e32 v[0:1], 0, v[0:1]
	v_add_f64_e32 v[3:4], 0, v[3:4]
	v_fma_f64 v[21:22], v[13:14], v[21:22], v[33:34]
	v_fma_f64 v[13:14], v[13:14], v[23:24], -v[15:16]
	v_fma_f64 v[15:16], v[9:10], v[17:18], v[27:28]
	v_fma_f64 v[11:12], v[9:10], v[19:20], -v[11:12]
	v_add_f64_e32 v[0:1], v[0:1], v[29:30]
	v_add_f64_e32 v[3:4], v[3:4], v[25:26]
	s_delay_alu instid0(VALU_DEP_2) | instskip(NEXT) | instid1(VALU_DEP_2)
	v_add_f64_e32 v[0:1], v[0:1], v[21:22]
	v_add_f64_e32 v[3:4], v[3:4], v[13:14]
	s_delay_alu instid0(VALU_DEP_2) | instskip(NEXT) | instid1(VALU_DEP_2)
	v_add_f64_e32 v[9:10], v[0:1], v[15:16]
	v_add_f64_e32 v[11:12], v[3:4], v[11:12]
	ds_store_b128 v179, v[9:12]
	s_wait_loadcnt_dscnt 0x0
	s_barrier_signal -1
	s_barrier_wait -1
	global_inv scope:SCOPE_SE
	s_and_saveexec_b32 s26, s15
	s_cbranch_execz .LBB28_109
; %bb.108:                              ;   in Loop: Header=BB28_4 Depth=1
	ds_load_b128 v[9:12], v176
	ds_load_b128 v[13:16], v176 offset:16
	s_wait_dscnt 0x1
	v_add_f64_e32 v[0:1], v[5:6], v[9:10]
	v_add_f64_e32 v[3:4], v[7:8], v[11:12]
	s_wait_dscnt 0x0
	s_delay_alu instid0(VALU_DEP_2) | instskip(NEXT) | instid1(VALU_DEP_2)
	v_add_f64_e32 v[0:1], v[0:1], v[13:14]
	v_add_f64_e32 v[11:12], v[3:4], v[15:16]
	ds_load_b128 v[3:6], v176 offset:32
	ds_load_b128 v[7:10], v176 offset:48
	s_wait_dscnt 0x1
	v_add_f64_e32 v[0:1], v[0:1], v[3:4]
	v_add_f64_e32 v[3:4], v[11:12], v[5:6]
	s_wait_dscnt 0x0
	s_delay_alu instid0(VALU_DEP_2) | instskip(NEXT) | instid1(VALU_DEP_2)
	v_add_f64_e32 v[0:1], v[0:1], v[7:8]
	v_add_f64_e32 v[11:12], v[3:4], v[9:10]
	ds_load_b128 v[3:6], v176 offset:64
	;; [unrolled: 9-line block ×3, first 2 shown]
	ds_load_b128 v[7:10], v176 offset:112
	s_wait_dscnt 0x1
	v_add_f64_e32 v[0:1], v[0:1], v[3:4]
	v_add_f64_e32 v[3:4], v[11:12], v[5:6]
	s_wait_dscnt 0x0
	s_delay_alu instid0(VALU_DEP_2) | instskip(NEXT) | instid1(VALU_DEP_2)
	v_add_f64_e32 v[5:6], v[0:1], v[7:8]
	v_add_f64_e32 v[7:8], v[3:4], v[9:10]
.LBB28_109:                             ;   in Loop: Header=BB28_4 Depth=1
	s_wait_alu 0xfffe
	s_or_b32 exec_lo, exec_lo, s26
	s_mul_u64 s[62:63], s[28:29], s[24:25]
	s_and_not1_b32 vcc_lo, exec_lo, s23
	s_wait_alu 0xfffe
	s_lshl_b64 s[62:63], s[62:63], 4
	s_wait_loadcnt 0x0
	s_wait_alu 0xfffe
	s_add_nc_u64 s[62:63], s[34:35], s[62:63]
	s_barrier_signal -1
	s_barrier_wait -1
	global_inv scope:SCOPE_SE
	s_cbranch_vccnz .LBB28_116
; %bb.110:                              ;   in Loop: Header=BB28_4 Depth=1
	v_add_co_u32 v0, vcc_lo, v43, s60
	s_wait_alu 0xfffd
	v_add_co_ci_u32_e64 v1, null, s61, v44, vcc_lo
	v_lshlrev_b32_e32 v3, 4, v161
	s_delay_alu instid0(VALU_DEP_3) | instskip(SKIP_1) | instid1(VALU_DEP_3)
	v_add_co_u32 v0, vcc_lo, v0, v155
	s_wait_alu 0xfffd
	v_add_co_ci_u32_e64 v1, null, v1, v156, vcc_lo
	s_lshl_b64 s[68:69], s[30:31], 4
	v_add_co_u32 v0, vcc_lo, v0, v157
	s_wait_alu 0xfffd
	v_add_co_ci_u32_e64 v1, null, v1, v158, vcc_lo
	s_mov_b32 s25, ttmp9
	s_wait_alu 0xfffe
	v_add_co_u32 v4, vcc_lo, v0, s68
	s_wait_alu 0xfffd
	v_add_co_ci_u32_e64 v9, null, s69, v1, vcc_lo
	v_add_co_u32 v0, vcc_lo, v0, v3
	s_wait_alu 0xfffd
	v_add_co_ci_u32_e64 v1, null, 0, v1, vcc_lo
	v_add_co_u32 v3, vcc_lo, 0xfffffdf0, v4
	s_wait_alu 0xfffd
	v_add_co_ci_u32_e64 v4, null, -1, v9, vcc_lo
	v_add_co_u32 v0, vcc_lo, 0xfffffe00, v0
	s_wait_alu 0xfffd
	v_add_co_ci_u32_e64 v1, null, -1, v1, vcc_lo
	v_add_co_u32 v195, vcc_lo, v41, s58
	s_wait_alu 0xfffd
	v_add_co_ci_u32_e64 v196, null, s59, v42, vcc_lo
	s_delay_alu instid0(VALU_DEP_3)
	v_cndmask_b32_e64 v1, v1, v4, s1
	v_cndmask_b32_e64 v0, v0, v3, s1
	s_mov_b32 s26, 0
	s_branch .LBB28_112
.LBB28_111:                             ;   in Loop: Header=BB28_112 Depth=2
	s_or_b32 exec_lo, exec_lo, s67
	v_mul_f64_e32 v[0:1], v[19:20], v[27:28]
	v_mul_f64_e32 v[27:28], v[17:18], v[27:28]
	;; [unrolled: 1-line block ×4, first 2 shown]
	s_add_co_i32 s25, s25, -1
	s_wait_alu 0xfffe
	s_add_co_i32 s26, s26, 64
	s_cmp_eq_u32 s25, 0
	s_wait_loadcnt 0x0
	s_wait_storecnt 0x0
	s_barrier_signal -1
	s_barrier_wait -1
	global_inv scope:SCOPE_SE
	v_fma_f64 v[0:1], v[17:18], v[25:26], -v[0:1]
	v_fma_f64 v[17:18], v[19:20], v[25:26], v[27:28]
	v_mul_f64_e32 v[19:20], v[15:16], v[39:40]
	v_mul_f64_e32 v[25:26], v[13:14], v[39:40]
	v_fma_f64 v[21:22], v[21:22], v[41:42], -v[89:90]
	v_fma_f64 v[23:24], v[23:24], v[41:42], v[43:44]
	v_add_f64_e32 v[0:1], v[5:6], v[0:1]
	v_add_f64_e32 v[5:6], v[7:8], v[17:18]
	v_mul_f64_e32 v[7:8], v[11:12], v[35:36]
	v_mul_f64_e32 v[17:18], v[9:10], v[35:36]
	v_fma_f64 v[13:14], v[13:14], v[37:38], -v[19:20]
	v_fma_f64 v[15:16], v[15:16], v[37:38], v[25:26]
	v_mul_f64_e32 v[19:20], v[31:32], v[59:60]
	v_add_f64_e32 v[0:1], v[0:1], v[21:22]
	v_add_f64_e32 v[5:6], v[5:6], v[23:24]
	v_mul_f64_e32 v[21:22], v[29:30], v[59:60]
	v_fma_f64 v[7:8], v[9:10], v[33:34], -v[7:8]
	v_fma_f64 v[9:10], v[11:12], v[33:34], v[17:18]
	v_mul_f64_e32 v[11:12], v[55:56], v[75:76]
	v_add_f64_e32 v[0:1], v[0:1], v[13:14]
	v_add_f64_e32 v[5:6], v[5:6], v[15:16]
	v_mul_f64_e32 v[13:14], v[53:54], v[75:76]
	v_fma_f64 v[15:16], v[29:30], v[57:58], -v[19:20]
	v_fma_f64 v[17:18], v[31:32], v[57:58], v[21:22]
	v_fma_f64 v[11:12], v[53:54], v[73:74], -v[11:12]
	v_add_f64_e32 v[0:1], v[0:1], v[7:8]
	v_add_f64_e32 v[5:6], v[5:6], v[9:10]
	v_mul_f64_e32 v[7:8], v[51:52], v[71:72]
	v_mul_f64_e32 v[9:10], v[49:50], v[71:72]
	v_fma_f64 v[13:14], v[55:56], v[73:74], v[13:14]
	v_add_f64_e32 v[0:1], v[0:1], v[15:16]
	v_add_f64_e32 v[5:6], v[5:6], v[17:18]
	v_mul_f64_e32 v[15:16], v[47:48], v[67:68]
	v_mul_f64_e32 v[17:18], v[45:46], v[67:68]
	v_fma_f64 v[7:8], v[49:50], v[69:70], -v[7:8]
	v_fma_f64 v[9:10], v[51:52], v[69:70], v[9:10]
	v_add_f64_e32 v[0:1], v[0:1], v[11:12]
	v_add_f64_e32 v[5:6], v[5:6], v[13:14]
	v_mul_f64_e32 v[11:12], v[63:64], v[95:96]
	v_mul_f64_e32 v[13:14], v[61:62], v[95:96]
	v_fma_f64 v[15:16], v[45:46], v[65:66], -v[15:16]
	;; [unrolled: 6-line block ×9, first 2 shown]
	v_fma_f64 v[13:14], v[127:128], v[145:146], v[13:14]
	v_add_f64_e32 v[0:1], v[0:1], v[15:16]
	v_add_f64_e32 v[5:6], v[5:6], v[17:18]
	v_fma_f64 v[7:8], v[133:134], v[141:142], -v[7:8]
	v_fma_f64 v[9:10], v[135:136], v[141:142], v[9:10]
	s_delay_alu instid0(VALU_DEP_4) | instskip(NEXT) | instid1(VALU_DEP_4)
	v_add_f64_e32 v[0:1], v[0:1], v[11:12]
	v_add_f64_e32 v[11:12], v[5:6], v[13:14]
	s_delay_alu instid0(VALU_DEP_2) | instskip(NEXT) | instid1(VALU_DEP_2)
	v_add_f64_e32 v[5:6], v[0:1], v[7:8]
	v_add_f64_e32 v[7:8], v[11:12], v[9:10]
	v_add_co_u32 v0, vcc_lo, v3, s40
	s_wait_alu 0xfffd
	v_add_co_ci_u32_e64 v1, null, s41, v4, vcc_lo
	s_cbranch_scc1 .LBB28_116
.LBB28_112:                             ;   Parent Loop BB28_4 Depth=1
                                        ; =>  This Inner Loop Header: Depth=2
	s_and_saveexec_b32 s67, s0
	s_cbranch_execz .LBB28_114
; %bb.113:                              ;   in Loop: Header=BB28_112 Depth=2
	s_wait_alu 0xfffe
	s_mul_u64 s[68:69], s[48:49], s[26:27]
	s_wait_alu 0xfffe
	s_lshl_b64 s[68:69], s[68:69], 4
	s_wait_alu 0xfffe
	v_add_co_u32 v3, vcc_lo, v195, s68
	s_wait_alu 0xfffd
	v_add_co_ci_u32_e64 v4, null, s69, v196, vcc_lo
	global_load_b128 v[9:12], v[3:4], off
	s_wait_loadcnt 0x0
	ds_store_2addr_b64 v181, v[9:10], v[11:12] offset1:1
.LBB28_114:                             ;   in Loop: Header=BB28_112 Depth=2
	s_or_b32 exec_lo, exec_lo, s67
	v_add_co_u32 v3, vcc_lo, v0, s54
	s_wait_alu 0xfffd
	v_add_co_ci_u32_e64 v4, null, s55, v1, vcc_lo
	s_wait_loadcnt_dscnt 0x0
	s_delay_alu instid0(VALU_DEP_2) | instskip(SKIP_1) | instid1(VALU_DEP_2)
	v_add_co_u32 v9, vcc_lo, v3, s54
	s_wait_alu 0xfffd
	v_add_co_ci_u32_e64 v10, null, s55, v4, vcc_lo
	s_barrier_signal -1
	s_barrier_wait -1
	global_inv scope:SCOPE_SE
	global_load_b128 v[17:20], v[0:1], off
	v_add_co_u32 v0, vcc_lo, v9, s54
	s_wait_alu 0xfffd
	v_add_co_ci_u32_e64 v1, null, s55, v10, vcc_lo
	s_clause 0x2
	global_load_b128 v[21:24], v[3:4], off
	global_load_b128 v[13:16], v[9:10], off
	;; [unrolled: 1-line block ×3, first 2 shown]
	ds_load_b128 v[29:32], v163
	ds_load_b128 v[25:28], v182
	v_add_co_u32 v0, vcc_lo, v0, s40
	s_wait_alu 0xfffd
	v_add_co_ci_u32_e64 v1, null, s41, v1, vcc_lo
	s_wait_loadcnt_dscnt 0x301
	v_mul_f64_e32 v[3:4], v[19:20], v[31:32]
	v_mul_f64_e32 v[33:34], v[19:20], v[29:30]
	s_wait_loadcnt 0x2
	v_mul_f64_e32 v[35:36], v[23:24], v[31:32]
	v_mul_f64_e32 v[37:38], v[23:24], v[29:30]
	s_wait_loadcnt 0x1
	;; [unrolled: 3-line block ×3, first 2 shown]
	v_mul_f64_e32 v[43:44], v[11:12], v[31:32]
	v_mul_f64_e32 v[57:58], v[11:12], v[29:30]
	v_fma_f64 v[45:46], v[17:18], v[29:30], v[3:4]
	v_fma_f64 v[47:48], v[17:18], v[31:32], -v[33:34]
	v_add_co_u32 v3, vcc_lo, v0, s54
	v_fma_f64 v[49:50], v[21:22], v[29:30], v[35:36]
	v_fma_f64 v[51:52], v[21:22], v[31:32], -v[37:38]
	v_fma_f64 v[53:54], v[13:14], v[29:30], v[39:40]
	v_fma_f64 v[55:56], v[13:14], v[31:32], -v[41:42]
	;; [unrolled: 2-line block ×3, first 2 shown]
	s_wait_alu 0xfffd
	v_add_co_ci_u32_e64 v4, null, s55, v1, vcc_lo
	v_add_co_u32 v57, vcc_lo, v3, s54
	ds_load_b128 v[41:44], v182 offset:16
	ds_load_b128 v[37:40], v182 offset:32
	s_wait_alu 0xfffd
	v_add_co_ci_u32_e64 v58, null, s55, v4, vcc_lo
	ds_load_b128 v[33:36], v182 offset:48
	ds_store_b128 v183, v[45:48]
	ds_store_b128 v183, v[49:52] offset:1072
	ds_store_b128 v183, v[53:56] offset:2144
	;; [unrolled: 1-line block ×3, first 2 shown]
	s_wait_dscnt 0x0
	s_barrier_signal -1
	s_barrier_wait -1
	global_inv scope:SCOPE_SE
	ds_load_b128 v[105:108], v184
	ds_load_b128 v[101:104], v184 offset:16
	ds_load_b128 v[97:100], v184 offset:32
	;; [unrolled: 1-line block ×3, first 2 shown]
	s_wait_loadcnt_dscnt 0x0
	s_barrier_signal -1
	s_barrier_wait -1
	global_inv scope:SCOPE_SE
	global_load_b128 v[29:32], v[0:1], off
	v_add_co_u32 v0, vcc_lo, v57, s54
	s_wait_alu 0xfffd
	v_add_co_ci_u32_e64 v1, null, s55, v58, vcc_lo
	s_clause 0x2
	global_load_b128 v[53:56], v[3:4], off
	global_load_b128 v[49:52], v[57:58], off
	global_load_b128 v[45:48], v[0:1], off
	ds_load_b128 v[61:64], v163
	ds_load_b128 v[57:60], v182 offset:256
	v_add_co_u32 v0, vcc_lo, v0, s40
	s_wait_alu 0xfffd
	v_add_co_ci_u32_e64 v1, null, s41, v1, vcc_lo
	s_wait_loadcnt_dscnt 0x301
	v_mul_f64_e32 v[3:4], v[31:32], v[63:64]
	v_mul_f64_e32 v[65:66], v[31:32], v[61:62]
	s_wait_loadcnt 0x2
	v_mul_f64_e32 v[67:68], v[55:56], v[63:64]
	v_mul_f64_e32 v[69:70], v[55:56], v[61:62]
	s_wait_loadcnt 0x1
	;; [unrolled: 3-line block ×3, first 2 shown]
	v_mul_f64_e32 v[75:76], v[47:48], v[63:64]
	v_mul_f64_e32 v[93:94], v[47:48], v[61:62]
	v_fma_f64 v[77:78], v[29:30], v[61:62], v[3:4]
	v_fma_f64 v[79:80], v[29:30], v[63:64], -v[65:66]
	v_add_co_u32 v3, vcc_lo, v0, s54
	v_fma_f64 v[81:82], v[53:54], v[61:62], v[67:68]
	v_fma_f64 v[83:84], v[53:54], v[63:64], -v[69:70]
	v_fma_f64 v[85:86], v[49:50], v[61:62], v[71:72]
	v_fma_f64 v[87:88], v[49:50], v[63:64], -v[73:74]
	;; [unrolled: 2-line block ×3, first 2 shown]
	s_wait_alu 0xfffd
	v_add_co_ci_u32_e64 v4, null, s55, v1, vcc_lo
	v_add_co_u32 v93, vcc_lo, v3, s54
	ds_load_b128 v[73:76], v182 offset:272
	ds_load_b128 v[69:72], v182 offset:288
	;; [unrolled: 1-line block ×3, first 2 shown]
	s_wait_alu 0xfffd
	v_add_co_ci_u32_e64 v94, null, s55, v4, vcc_lo
	ds_store_b128 v183, v[77:80]
	ds_store_b128 v183, v[81:84] offset:1072
	ds_store_b128 v183, v[85:88] offset:2144
	ds_store_b128 v183, v[61:64] offset:3216
	s_wait_dscnt 0x0
	s_barrier_signal -1
	s_barrier_wait -1
	global_inv scope:SCOPE_SE
	ds_load_b128 v[197:200], v184
	ds_load_b128 v[201:204], v184 offset:16
	ds_load_b128 v[205:208], v184 offset:32
	;; [unrolled: 1-line block ×3, first 2 shown]
	s_wait_loadcnt_dscnt 0x0
	s_barrier_signal -1
	s_barrier_wait -1
	global_inv scope:SCOPE_SE
	global_load_b128 v[61:64], v[0:1], off
	v_add_co_u32 v0, vcc_lo, v93, s54
	s_wait_alu 0xfffd
	v_add_co_ci_u32_e64 v1, null, s55, v94, vcc_lo
	s_clause 0x1
	global_load_b128 v[85:88], v[3:4], off
	global_load_b128 v[77:80], v[93:94], off
	global_load_b128 v[81:84], v[0:1], off
	ds_load_b128 v[109:112], v163
	ds_load_b128 v[93:96], v182 offset:512
	v_add_co_u32 v0, vcc_lo, v0, s40
	s_wait_alu 0xfffd
	v_add_co_ci_u32_e64 v1, null, s41, v1, vcc_lo
	v_add_f64_e32 v[197:198], 0, v[197:198]
	v_add_f64_e32 v[199:200], 0, v[199:200]
	s_delay_alu instid0(VALU_DEP_2) | instskip(NEXT) | instid1(VALU_DEP_2)
	v_add_f64_e32 v[197:198], v[197:198], v[201:202]
	v_add_f64_e32 v[199:200], v[199:200], v[203:204]
	s_delay_alu instid0(VALU_DEP_2) | instskip(NEXT) | instid1(VALU_DEP_2)
	v_add_f64_e32 v[197:198], v[197:198], v[205:206]
	v_add_f64_e32 v[199:200], v[199:200], v[207:208]
	s_wait_loadcnt_dscnt 0x301
	v_mul_f64_e32 v[3:4], v[63:64], v[111:112]
	v_mul_f64_e32 v[113:114], v[63:64], v[109:110]
	s_wait_loadcnt 0x2
	v_mul_f64_e32 v[115:116], v[87:88], v[111:112]
	v_mul_f64_e32 v[121:122], v[87:88], v[109:110]
	s_wait_loadcnt 0x1
	;; [unrolled: 3-line block ×3, first 2 shown]
	v_mul_f64_e32 v[131:132], v[83:84], v[111:112]
	v_mul_f64_e32 v[137:138], v[83:84], v[109:110]
	v_fma_f64 v[117:118], v[61:62], v[109:110], v[3:4]
	v_fma_f64 v[119:120], v[61:62], v[111:112], -v[113:114]
	v_fma_f64 v[125:126], v[85:86], v[109:110], v[115:116]
	v_fma_f64 v[127:128], v[85:86], v[111:112], -v[121:122]
	;; [unrolled: 2-line block ×4, first 2 shown]
	v_add_co_u32 v137, vcc_lo, v0, s54
	s_wait_alu 0xfffd
	v_add_co_ci_u32_e64 v138, null, s55, v1, vcc_lo
	ds_load_b128 v[129:132], v182 offset:528
	ds_load_b128 v[121:124], v182 offset:544
	;; [unrolled: 1-line block ×3, first 2 shown]
	v_add_co_u32 v139, vcc_lo, v137, s54
	s_wait_alu 0xfffd
	v_add_co_ci_u32_e64 v140, null, s55, v138, vcc_lo
	ds_store_b128 v183, v[117:120]
	ds_store_b128 v183, v[125:128] offset:1072
	ds_store_b128 v183, v[133:136] offset:2144
	;; [unrolled: 1-line block ×3, first 2 shown]
	v_add_co_u32 v3, vcc_lo, v139, s54
	s_wait_dscnt 0x0
	s_barrier_signal -1
	s_barrier_wait -1
	global_inv scope:SCOPE_SE
	ds_load_b128 v[213:216], v184
	ds_load_b128 v[217:220], v184 offset:16
	ds_load_b128 v[221:224], v184 offset:32
	;; [unrolled: 1-line block ×3, first 2 shown]
	s_wait_loadcnt_dscnt 0x0
	s_barrier_signal -1
	s_barrier_wait -1
	global_inv scope:SCOPE_SE
	global_load_b128 v[109:112], v[0:1], off
	s_wait_alu 0xfffd
	v_add_co_ci_u32_e64 v4, null, s55, v140, vcc_lo
	global_load_b128 v[117:120], v[137:138], off
	global_load_b128 v[125:128], v[139:140], off
	;; [unrolled: 1-line block ×3, first 2 shown]
	ds_load_b128 v[141:144], v163
	ds_load_b128 v[137:140], v182 offset:768
	v_add_f64_e32 v[213:214], 0, v[213:214]
	v_add_f64_e32 v[215:216], 0, v[215:216]
	s_delay_alu instid0(VALU_DEP_2) | instskip(NEXT) | instid1(VALU_DEP_2)
	v_add_f64_e32 v[201:202], v[213:214], v[217:218]
	v_add_f64_e32 v[203:204], v[215:216], v[219:220]
	s_delay_alu instid0(VALU_DEP_2) | instskip(NEXT) | instid1(VALU_DEP_2)
	v_add_f64_e32 v[201:202], v[201:202], v[221:222]
	v_add_f64_e32 v[203:204], v[203:204], v[223:224]
	s_wait_loadcnt_dscnt 0x301
	v_mul_f64_e32 v[0:1], v[111:112], v[143:144]
	v_mul_f64_e32 v[145:146], v[111:112], v[141:142]
	s_wait_loadcnt 0x2
	v_mul_f64_e32 v[147:148], v[119:120], v[143:144]
	v_mul_f64_e32 v[149:150], v[119:120], v[141:142]
	s_wait_loadcnt 0x1
	;; [unrolled: 3-line block ×3, first 2 shown]
	v_mul_f64_e32 v[241:242], v[135:136], v[143:144]
	v_mul_f64_e32 v[243:244], v[135:136], v[141:142]
	v_fma_f64 v[229:230], v[109:110], v[141:142], v[0:1]
	v_fma_f64 v[231:232], v[109:110], v[143:144], -v[145:146]
	v_fma_f64 v[233:234], v[117:118], v[141:142], v[147:148]
	v_fma_f64 v[235:236], v[117:118], v[143:144], -v[149:150]
	;; [unrolled: 2-line block ×4, first 2 shown]
	ds_load_b128 v[149:152], v182 offset:784
	ds_load_b128 v[145:148], v182 offset:800
	;; [unrolled: 1-line block ×3, first 2 shown]
	ds_store_b128 v183, v[229:232]
	ds_store_b128 v183, v[233:236] offset:1072
	ds_store_b128 v183, v[237:240] offset:2144
	;; [unrolled: 1-line block ×3, first 2 shown]
	s_wait_dscnt 0x0
	s_barrier_signal -1
	s_barrier_wait -1
	global_inv scope:SCOPE_SE
	ds_load_b128 v[229:232], v184
	v_add_f64_e32 v[0:1], 0, v[105:106]
	v_add_f64_e32 v[233:234], 0, v[107:108]
	ds_load_b128 v[105:108], v184 offset:16
	s_wait_dscnt 0x1
	v_add_f64_e32 v[229:230], 0, v[229:230]
	v_add_f64_e32 v[231:232], 0, v[231:232]
	;; [unrolled: 1-line block ×4, first 2 shown]
	ds_load_b128 v[101:104], v184 offset:32
	s_wait_dscnt 0x1
	v_add_f64_e32 v[105:106], v[229:230], v[105:106]
	v_add_f64_e32 v[107:108], v[231:232], v[107:108]
	;; [unrolled: 1-line block ×4, first 2 shown]
	ds_load_b128 v[97:100], v184 offset:48
	s_wait_loadcnt_dscnt 0x0
	s_barrier_signal -1
	s_barrier_wait -1
	global_inv scope:SCOPE_SE
	v_add_f64_e32 v[205:206], v[105:106], v[101:102]
	v_add_f64_e32 v[207:208], v[107:108], v[103:104]
	;; [unrolled: 1-line block ×10, first 2 shown]
	ds_store_b128 v193, v[89:92]
	ds_store_b128 v193, v[101:104] offset:256
	ds_store_b128 v193, v[105:108] offset:512
	;; [unrolled: 1-line block ×3, first 2 shown]
	s_wait_loadcnt_dscnt 0x0
	s_barrier_signal -1
	s_barrier_wait -1
	global_inv scope:SCOPE_SE
	s_and_saveexec_b32 s67, s22
	s_cbranch_execz .LBB28_111
; %bb.115:                              ;   in Loop: Header=BB28_112 Depth=2
	ds_load_b128 v[89:92], v185
	ds_load_b128 v[97:100], v185 offset:16
	s_wait_dscnt 0x0
	v_add_f64_e32 v[0:1], v[97:98], v[89:90]
	v_add_f64_e32 v[101:102], v[99:100], v[91:92]
	ds_load_b128 v[89:92], v185 offset:32
	ds_load_b128 v[97:100], v185 offset:48
	s_wait_dscnt 0x1
	v_add_f64_e32 v[0:1], v[0:1], v[89:90]
	v_add_f64_e32 v[89:90], v[101:102], v[91:92]
	s_wait_dscnt 0x0
	s_delay_alu instid0(VALU_DEP_2) | instskip(NEXT) | instid1(VALU_DEP_2)
	v_add_f64_e32 v[0:1], v[0:1], v[97:98]
	v_add_f64_e32 v[101:102], v[89:90], v[99:100]
	ds_load_b128 v[89:92], v185 offset:64
	ds_load_b128 v[97:100], v185 offset:80
	s_wait_dscnt 0x1
	v_add_f64_e32 v[0:1], v[0:1], v[89:90]
	v_add_f64_e32 v[89:90], v[101:102], v[91:92]
	s_wait_dscnt 0x0
	s_delay_alu instid0(VALU_DEP_2) | instskip(NEXT) | instid1(VALU_DEP_2)
	;; [unrolled: 9-line block ×6, first 2 shown]
	v_add_f64_e32 v[0:1], v[0:1], v[97:98]
	v_add_f64_e32 v[101:102], v[89:90], v[99:100]
	ds_load_b128 v[89:92], v185 offset:224
	ds_load_b128 v[97:100], v186
	s_wait_dscnt 0x1
	v_add_f64_e32 v[0:1], v[0:1], v[89:90]
	v_add_f64_e32 v[91:92], v[101:102], v[91:92]
	s_wait_dscnt 0x0
	s_delay_alu instid0(VALU_DEP_2) | instskip(NEXT) | instid1(VALU_DEP_2)
	v_add_f64_e32 v[89:90], v[0:1], v[97:98]
	v_add_f64_e32 v[91:92], v[91:92], v[99:100]
	s_wait_alu 0xfffe
	v_add_nc_u32_e32 v1, s26, v161
	s_delay_alu instid0(VALU_DEP_1) | instskip(NEXT) | instid1(VALU_DEP_1)
	v_lshlrev_b64_e32 v[0:1], 4, v[1:2]
	v_add_co_u32 v0, vcc_lo, s62, v0
	s_wait_alu 0xfffd
	s_delay_alu instid0(VALU_DEP_2)
	v_add_co_ci_u32_e64 v1, null, s63, v1, vcc_lo
	global_store_b128 v[0:1], v[89:92], off
	s_branch .LBB28_111
.LBB28_116:                             ;   in Loop: Header=BB28_4 Depth=1
	ds_store_b128 v187, v[5:8]
	s_wait_loadcnt_dscnt 0x0
	s_barrier_signal -1
	s_barrier_wait -1
	global_inv scope:SCOPE_SE
	s_and_saveexec_b32 s25, s65
	s_cbranch_execz .LBB28_2
; %bb.117:                              ;   in Loop: Header=BB28_4 Depth=1
	ds_load_b128 v[3:6], v162 offset:1072
	ds_load_b128 v[7:10], v162
	s_wait_dscnt 0x0
	v_add_f64_e32 v[0:1], v[3:4], v[7:8]
	v_add_f64_e32 v[11:12], v[5:6], v[9:10]
	ds_load_b128 v[3:6], v162 offset:2144
	ds_load_b128 v[7:10], v162 offset:3216
	s_wait_dscnt 0x1
	v_add_f64_e32 v[0:1], v[0:1], v[3:4]
	v_add_f64_e32 v[5:6], v[11:12], v[5:6]
	s_wait_dscnt 0x0
	s_delay_alu instid0(VALU_DEP_2) | instskip(NEXT) | instid1(VALU_DEP_2)
	v_add_f64_e32 v[3:4], v[0:1], v[7:8]
	v_add_f64_e32 v[5:6], v[5:6], v[9:10]
	s_wait_alu 0xfffe
	v_add_co_u32 v0, vcc_lo, s62, v159
	s_wait_alu 0xfffd
	v_add_co_ci_u32_e64 v1, null, s63, v160, vcc_lo
	global_store_b128 v[0:1], v[3:6], off
	s_branch .LBB28_2
.LBB28_118:                             ;   in Loop: Header=BB28_4 Depth=1
	global_load_b128 v[11:14], v[5:6], off
	s_wait_loadcnt 0x0
	ds_store_2addr_b64 v164, v[11:12], v[13:14] offset1:1
	s_or_b32 exec_lo, exec_lo, s26
	s_and_saveexec_b32 s26, s4
	s_wait_alu 0xfffe
	s_xor_b32 s26, exec_lo, s26
	s_cbranch_execz .LBB28_18
.LBB28_119:                             ;   in Loop: Header=BB28_4 Depth=1
	v_dual_mov_b32 v1, v2 :: v_dual_mov_b32 v4, v2
	v_mov_b32_e32 v3, v2
	ds_store_b128 v169, v[1:4]
	s_wait_alu 0xfffe
	s_and_not1_saveexec_b32 s26, s26
	s_cbranch_execz .LBB28_19
.LBB28_120:                             ;   in Loop: Header=BB28_4 Depth=1
	v_add_co_u32 v0, vcc_lo, v5, s36
	s_wait_alu 0xfffd
	v_add_co_ci_u32_e64 v1, null, s37, v6, vcc_lo
	global_load_b128 v[11:14], v[0:1], off
	s_wait_loadcnt 0x0
	ds_store_2addr_b64 v169, v[11:12], v[13:14] offset1:1
	s_wait_alu 0xfffe
	s_or_b32 exec_lo, exec_lo, s26
	s_and_saveexec_b32 s26, s5
	s_wait_alu 0xfffe
	s_xor_b32 s26, exec_lo, s26
	s_cbranch_execz .LBB28_20
.LBB28_121:                             ;   in Loop: Header=BB28_4 Depth=1
	v_dual_mov_b32 v1, v2 :: v_dual_mov_b32 v4, v2
	v_mov_b32_e32 v3, v2
	ds_store_b128 v170, v[1:4]
	s_wait_alu 0xfffe
	s_and_not1_saveexec_b32 s26, s26
	s_cbranch_execz .LBB28_21
.LBB28_122:                             ;   in Loop: Header=BB28_4 Depth=1
	v_add_co_u32 v0, vcc_lo, v5, s38
	s_wait_alu 0xfffd
	v_add_co_ci_u32_e64 v1, null, s39, v6, vcc_lo
	global_load_b128 v[11:14], v[0:1], off
	s_wait_loadcnt 0x0
	ds_store_2addr_b64 v170, v[11:12], v[13:14] offset1:1
	s_wait_alu 0xfffe
	s_or_b32 exec_lo, exec_lo, s26
	s_and_saveexec_b32 s26, s6
	s_wait_alu 0xfffe
	s_xor_b32 s26, exec_lo, s26
	s_cbranch_execz .LBB28_22
.LBB28_123:                             ;   in Loop: Header=BB28_4 Depth=1
	v_dual_mov_b32 v1, v2 :: v_dual_mov_b32 v4, v2
	v_mov_b32_e32 v3, v2
	ds_store_b128 v171, v[1:4]
	s_wait_alu 0xfffe
	s_and_not1_saveexec_b32 s26, s26
	s_cbranch_execnz .LBB28_23
	s_branch .LBB28_24
.LBB28_124:                             ;   in Loop: Header=BB28_4 Depth=1
	global_load_b128 v[15:18], v[9:10], off
	s_wait_loadcnt 0x0
	ds_store_2addr_b64 v164, v[15:16], v[17:18] offset1:1
	s_or_b32 exec_lo, exec_lo, s26
	s_and_saveexec_b32 s26, s18
	s_wait_alu 0xfffe
	s_xor_b32 s26, exec_lo, s26
	s_cbranch_execz .LBB28_58
.LBB28_125:                             ;   in Loop: Header=BB28_4 Depth=1
	v_dual_mov_b32 v1, v2 :: v_dual_mov_b32 v4, v2
	v_mov_b32_e32 v3, v2
	ds_store_b128 v169, v[1:4]
	s_wait_alu 0xfffe
	s_and_not1_saveexec_b32 s26, s26
	s_cbranch_execz .LBB28_59
.LBB28_126:                             ;   in Loop: Header=BB28_4 Depth=1
	v_add_co_u32 v0, vcc_lo, v9, s36
	s_wait_alu 0xfffd
	v_add_co_ci_u32_e64 v1, null, s37, v10, vcc_lo
	global_load_b128 v[15:18], v[0:1], off
	s_wait_loadcnt 0x0
	ds_store_2addr_b64 v169, v[15:16], v[17:18] offset1:1
	s_wait_alu 0xfffe
	s_or_b32 exec_lo, exec_lo, s26
	s_and_saveexec_b32 s26, s19
	s_wait_alu 0xfffe
	s_xor_b32 s26, exec_lo, s26
	s_cbranch_execz .LBB28_60
.LBB28_127:                             ;   in Loop: Header=BB28_4 Depth=1
	v_dual_mov_b32 v1, v2 :: v_dual_mov_b32 v4, v2
	v_mov_b32_e32 v3, v2
	ds_store_b128 v170, v[1:4]
	s_wait_alu 0xfffe
	s_and_not1_saveexec_b32 s26, s26
	s_cbranch_execz .LBB28_61
.LBB28_128:                             ;   in Loop: Header=BB28_4 Depth=1
	v_add_co_u32 v0, vcc_lo, v9, s38
	s_wait_alu 0xfffd
	v_add_co_ci_u32_e64 v1, null, s39, v10, vcc_lo
	global_load_b128 v[15:18], v[0:1], off
	s_wait_loadcnt 0x0
	ds_store_2addr_b64 v170, v[15:16], v[17:18] offset1:1
	s_wait_alu 0xfffe
	s_or_b32 exec_lo, exec_lo, s26
	s_and_saveexec_b32 s26, s20
	s_wait_alu 0xfffe
	s_xor_b32 s26, exec_lo, s26
	s_cbranch_execz .LBB28_62
.LBB28_129:                             ;   in Loop: Header=BB28_4 Depth=1
	v_dual_mov_b32 v1, v2 :: v_dual_mov_b32 v4, v2
	v_mov_b32_e32 v3, v2
	ds_store_b128 v171, v[1:4]
	s_wait_alu 0xfffe
	s_and_not1_saveexec_b32 s26, s26
	s_cbranch_execnz .LBB28_63
	s_branch .LBB28_64
.LBB28_130:                             ;   in Loop: Header=BB28_4 Depth=1
	global_load_b128 v[11:14], v[9:10], off
	s_wait_loadcnt 0x0
	ds_store_2addr_b64 v164, v[11:12], v[13:14] offset1:1
	s_or_b32 exec_lo, exec_lo, s26
	s_and_saveexec_b32 s26, s4
	s_wait_alu 0xfffe
	s_xor_b32 s26, exec_lo, s26
	s_cbranch_execz .LBB28_98
.LBB28_131:                             ;   in Loop: Header=BB28_4 Depth=1
	v_dual_mov_b32 v1, v2 :: v_dual_mov_b32 v4, v2
	v_mov_b32_e32 v3, v2
	ds_store_b128 v169, v[1:4]
	s_wait_alu 0xfffe
	s_and_not1_saveexec_b32 s26, s26
	s_cbranch_execz .LBB28_99
.LBB28_132:                             ;   in Loop: Header=BB28_4 Depth=1
	v_add_co_u32 v0, vcc_lo, v9, s36
	s_wait_alu 0xfffd
	v_add_co_ci_u32_e64 v1, null, s37, v10, vcc_lo
	global_load_b128 v[11:14], v[0:1], off
	s_wait_loadcnt 0x0
	ds_store_2addr_b64 v169, v[11:12], v[13:14] offset1:1
	s_wait_alu 0xfffe
	s_or_b32 exec_lo, exec_lo, s26
	s_and_saveexec_b32 s26, s5
	s_wait_alu 0xfffe
	s_xor_b32 s26, exec_lo, s26
	s_cbranch_execz .LBB28_100
.LBB28_133:                             ;   in Loop: Header=BB28_4 Depth=1
	v_dual_mov_b32 v1, v2 :: v_dual_mov_b32 v4, v2
	v_mov_b32_e32 v3, v2
	ds_store_b128 v170, v[1:4]
	s_wait_alu 0xfffe
	s_and_not1_saveexec_b32 s26, s26
	s_cbranch_execz .LBB28_101
.LBB28_134:                             ;   in Loop: Header=BB28_4 Depth=1
	v_add_co_u32 v0, vcc_lo, v9, s38
	s_wait_alu 0xfffd
	v_add_co_ci_u32_e64 v1, null, s39, v10, vcc_lo
	global_load_b128 v[11:14], v[0:1], off
	s_wait_loadcnt 0x0
	ds_store_2addr_b64 v170, v[11:12], v[13:14] offset1:1
	s_wait_alu 0xfffe
	s_or_b32 exec_lo, exec_lo, s26
	s_and_saveexec_b32 s26, s6
	s_wait_alu 0xfffe
	s_xor_b32 s26, exec_lo, s26
	s_cbranch_execz .LBB28_102
.LBB28_135:                             ;   in Loop: Header=BB28_4 Depth=1
	v_dual_mov_b32 v1, v2 :: v_dual_mov_b32 v4, v2
	v_mov_b32_e32 v3, v2
	ds_store_b128 v171, v[1:4]
	s_wait_alu 0xfffe
	s_and_not1_saveexec_b32 s26, s26
	s_cbranch_execnz .LBB28_103
	s_branch .LBB28_104
.LBB28_136:
	s_nop 0
	s_sendmsg sendmsg(MSG_DEALLOC_VGPRS)
	s_endpgm
	.section	.rodata,"a",@progbits
	.p2align	6, 0x0
	.amdhsa_kernel _ZL26rocblas_hemvn_kernel_lowerILb1ELi64ELi4ELi33ELi32ELi16El19rocblas_complex_numIdEPKS1_PS1_EviT6_lT7_lT5_lS6_lS7_lS5_lT8_i
		.amdhsa_group_segment_fixed_size 19200
		.amdhsa_private_segment_fixed_size 0
		.amdhsa_kernarg_size 392
		.amdhsa_user_sgpr_count 2
		.amdhsa_user_sgpr_dispatch_ptr 0
		.amdhsa_user_sgpr_queue_ptr 0
		.amdhsa_user_sgpr_kernarg_segment_ptr 1
		.amdhsa_user_sgpr_dispatch_id 0
		.amdhsa_user_sgpr_private_segment_size 0
		.amdhsa_wavefront_size32 1
		.amdhsa_uses_dynamic_stack 0
		.amdhsa_enable_private_segment 0
		.amdhsa_system_sgpr_workgroup_id_x 1
		.amdhsa_system_sgpr_workgroup_id_y 0
		.amdhsa_system_sgpr_workgroup_id_z 1
		.amdhsa_system_sgpr_workgroup_info 0
		.amdhsa_system_vgpr_workitem_id 1
		.amdhsa_next_free_vgpr 245
		.amdhsa_next_free_sgpr 70
		.amdhsa_reserve_vcc 1
		.amdhsa_float_round_mode_32 0
		.amdhsa_float_round_mode_16_64 0
		.amdhsa_float_denorm_mode_32 3
		.amdhsa_float_denorm_mode_16_64 3
		.amdhsa_fp16_overflow 0
		.amdhsa_workgroup_processor_mode 1
		.amdhsa_memory_ordered 1
		.amdhsa_forward_progress 1
		.amdhsa_inst_pref_size 81
		.amdhsa_round_robin_scheduling 0
		.amdhsa_exception_fp_ieee_invalid_op 0
		.amdhsa_exception_fp_denorm_src 0
		.amdhsa_exception_fp_ieee_div_zero 0
		.amdhsa_exception_fp_ieee_overflow 0
		.amdhsa_exception_fp_ieee_underflow 0
		.amdhsa_exception_fp_ieee_inexact 0
		.amdhsa_exception_int_div_zero 0
	.end_amdhsa_kernel
	.section	.text._ZL26rocblas_hemvn_kernel_lowerILb1ELi64ELi4ELi33ELi32ELi16El19rocblas_complex_numIdEPKS1_PS1_EviT6_lT7_lT5_lS6_lS7_lS5_lT8_i,"axG",@progbits,_ZL26rocblas_hemvn_kernel_lowerILb1ELi64ELi4ELi33ELi32ELi16El19rocblas_complex_numIdEPKS1_PS1_EviT6_lT7_lT5_lS6_lS7_lS5_lT8_i,comdat
.Lfunc_end28:
	.size	_ZL26rocblas_hemvn_kernel_lowerILb1ELi64ELi4ELi33ELi32ELi16El19rocblas_complex_numIdEPKS1_PS1_EviT6_lT7_lT5_lS6_lS7_lS5_lT8_i, .Lfunc_end28-_ZL26rocblas_hemvn_kernel_lowerILb1ELi64ELi4ELi33ELi32ELi16El19rocblas_complex_numIdEPKS1_PS1_EviT6_lT7_lT5_lS6_lS7_lS5_lT8_i
                                        ; -- End function
	.set _ZL26rocblas_hemvn_kernel_lowerILb1ELi64ELi4ELi33ELi32ELi16El19rocblas_complex_numIdEPKS1_PS1_EviT6_lT7_lT5_lS6_lS7_lS5_lT8_i.num_vgpr, 245
	.set _ZL26rocblas_hemvn_kernel_lowerILb1ELi64ELi4ELi33ELi32ELi16El19rocblas_complex_numIdEPKS1_PS1_EviT6_lT7_lT5_lS6_lS7_lS5_lT8_i.num_agpr, 0
	.set _ZL26rocblas_hemvn_kernel_lowerILb1ELi64ELi4ELi33ELi32ELi16El19rocblas_complex_numIdEPKS1_PS1_EviT6_lT7_lT5_lS6_lS7_lS5_lT8_i.numbered_sgpr, 70
	.set _ZL26rocblas_hemvn_kernel_lowerILb1ELi64ELi4ELi33ELi32ELi16El19rocblas_complex_numIdEPKS1_PS1_EviT6_lT7_lT5_lS6_lS7_lS5_lT8_i.num_named_barrier, 0
	.set _ZL26rocblas_hemvn_kernel_lowerILb1ELi64ELi4ELi33ELi32ELi16El19rocblas_complex_numIdEPKS1_PS1_EviT6_lT7_lT5_lS6_lS7_lS5_lT8_i.private_seg_size, 0
	.set _ZL26rocblas_hemvn_kernel_lowerILb1ELi64ELi4ELi33ELi32ELi16El19rocblas_complex_numIdEPKS1_PS1_EviT6_lT7_lT5_lS6_lS7_lS5_lT8_i.uses_vcc, 1
	.set _ZL26rocblas_hemvn_kernel_lowerILb1ELi64ELi4ELi33ELi32ELi16El19rocblas_complex_numIdEPKS1_PS1_EviT6_lT7_lT5_lS6_lS7_lS5_lT8_i.uses_flat_scratch, 0
	.set _ZL26rocblas_hemvn_kernel_lowerILb1ELi64ELi4ELi33ELi32ELi16El19rocblas_complex_numIdEPKS1_PS1_EviT6_lT7_lT5_lS6_lS7_lS5_lT8_i.has_dyn_sized_stack, 0
	.set _ZL26rocblas_hemvn_kernel_lowerILb1ELi64ELi4ELi33ELi32ELi16El19rocblas_complex_numIdEPKS1_PS1_EviT6_lT7_lT5_lS6_lS7_lS5_lT8_i.has_recursion, 0
	.set _ZL26rocblas_hemvn_kernel_lowerILb1ELi64ELi4ELi33ELi32ELi16El19rocblas_complex_numIdEPKS1_PS1_EviT6_lT7_lT5_lS6_lS7_lS5_lT8_i.has_indirect_call, 0
	.section	.AMDGPU.csdata,"",@progbits
; Kernel info:
; codeLenInByte = 10316
; TotalNumSgprs: 72
; NumVgprs: 245
; ScratchSize: 0
; MemoryBound: 0
; FloatMode: 240
; IeeeMode: 1
; LDSByteSize: 19200 bytes/workgroup (compile time only)
; SGPRBlocks: 0
; VGPRBlocks: 30
; NumSGPRsForWavesPerEU: 72
; NumVGPRsForWavesPerEU: 245
; Occupancy: 5
; WaveLimiterHint : 1
; COMPUTE_PGM_RSRC2:SCRATCH_EN: 0
; COMPUTE_PGM_RSRC2:USER_SGPR: 2
; COMPUTE_PGM_RSRC2:TRAP_HANDLER: 0
; COMPUTE_PGM_RSRC2:TGID_X_EN: 1
; COMPUTE_PGM_RSRC2:TGID_Y_EN: 0
; COMPUTE_PGM_RSRC2:TGID_Z_EN: 1
; COMPUTE_PGM_RSRC2:TIDIG_COMP_CNT: 1
	.section	.text._ZL36rocblas_hemvn_kernel_lower_block_sumILi64El19rocblas_complex_numIdEPS1_S1_EviT1_lS3_lT2_lT0_lPT3_i,"axG",@progbits,_ZL36rocblas_hemvn_kernel_lower_block_sumILi64El19rocblas_complex_numIdEPS1_S1_EviT1_lS3_lT2_lT0_lPT3_i,comdat
	.globl	_ZL36rocblas_hemvn_kernel_lower_block_sumILi64El19rocblas_complex_numIdEPS1_S1_EviT1_lS3_lT2_lT0_lPT3_i ; -- Begin function _ZL36rocblas_hemvn_kernel_lower_block_sumILi64El19rocblas_complex_numIdEPS1_S1_EviT1_lS3_lT2_lT0_lPT3_i
	.p2align	8
	.type	_ZL36rocblas_hemvn_kernel_lower_block_sumILi64El19rocblas_complex_numIdEPS1_S1_EviT1_lS3_lT2_lT0_lPT3_i,@function
_ZL36rocblas_hemvn_kernel_lower_block_sumILi64El19rocblas_complex_numIdEPS1_S1_EviT1_lS3_lT2_lT0_lPT3_i: ; @_ZL36rocblas_hemvn_kernel_lower_block_sumILi64El19rocblas_complex_numIdEPS1_S1_EviT1_lS3_lT2_lT0_lPT3_i
; %bb.0:
	s_load_b32 s24, s[0:1], 0x60
	s_lshr_b32 s2, ttmp7, 16
	s_wait_kmcnt 0x0
	s_cmp_ge_u32 s2, s24
	s_cbranch_scc1 .LBB29_24
; %bb.1:
	s_clause 0x3
	s_load_b128 s[12:15], s[0:1], 0x8
	s_load_b128 s[16:19], s[0:1], 0x20
	s_load_b32 s22, s[0:1], 0x0
	s_load_b256 s[4:11], s[0:1], 0x40
	s_lshl_b32 s20, ttmp9, 6
	s_load_b64 s[26:27], s[0:1], 0x38
	v_or_b32_e32 v0, s20, v0
	s_wait_kmcnt 0x0
	v_cmp_neq_f64_e64 s3, s[12:13], 0
	v_cmp_neq_f64_e64 s25, s[14:15], 0
	v_cmp_neq_f64_e64 s28, s[16:17], 1.0
	v_cmp_neq_f64_e64 s29, s[18:19], 0
	v_cmp_neq_f64_e64 s30, s[16:17], 0
	v_mad_co_u64_u32 v[1:2], null, s22, ttmp9, v[0:1]
	v_mul_lo_u32 v5, s7, v0
	v_mad_co_u64_u32 v[3:4], null, s6, v0, 0
	s_ashr_i32 s7, s20, 31
	s_add_nc_u64 s[20:21], s[0:1], 0x68
	s_wait_alu 0xfffe
	s_mul_i32 s0, s6, s7
	v_ashrrev_i32_e32 v2, 31, v1
	s_lshl_b64 s[4:5], s[4:5], 4
	s_ashr_i32 s23, s22, 31
	s_wait_alu 0xfffe
	v_add3_u32 v4, v4, s0, v5
	v_cmp_gt_i32_e64 s0, s22, v0
	v_lshlrev_b64_e32 v[1:2], 4, v[1:2]
	s_add_nc_u64 s[4:5], s[26:27], s[4:5]
	s_lshl_b64 s[6:7], s[22:23], 4
	v_lshlrev_b64_e32 v[4:5], 4, v[3:4]
	s_delay_alu instid0(VALU_DEP_2) | instskip(NEXT) | instid1(VALU_DEP_1)
	v_add_co_u32 v0, vcc_lo, s10, v1
	v_add_co_ci_u32_e64 v1, null, s11, v2, vcc_lo
	s_delay_alu instid0(VALU_DEP_2) | instskip(SKIP_1) | instid1(VALU_DEP_2)
	v_add_co_u32 v6, vcc_lo, v0, 8
	s_wait_alu 0xfffd
	v_add_co_ci_u32_e64 v7, null, 0, v1, vcc_lo
	s_or_b32 s1, s3, s25
	s_wait_alu 0xfffe
	s_or_b32 s3, s1, s28
	s_xor_b32 s1, s1, -1
	s_or_b32 s25, s3, s29
	s_or_b32 s3, s30, s29
	s_delay_alu instid0(SALU_CYCLE_1)
	v_cndmask_b32_e64 v10, 0, 1, s3
	s_xor_b32 s26, s3, -1
	s_mov_b32 s3, 0
	s_branch .LBB29_4
.LBB29_2:                               ;   in Loop: Header=BB29_4 Depth=1
	s_wait_alu 0xfffe
	s_or_b32 exec_lo, exec_lo, s22
.LBB29_3:                               ;   in Loop: Header=BB29_4 Depth=1
	s_add_co_i32 s2, s2, 0x10000
	s_wait_alu 0xfffe
	s_cmp_lt_u32 s2, s24
	s_cbranch_scc0 .LBB29_24
.LBB29_4:                               ; =>This Loop Header: Depth=1
                                        ;     Child Loop BB29_15 Depth 2
	s_and_not1_b32 vcc_lo, exec_lo, s25
	s_wait_alu 0xfffe
	s_cbranch_vccnz .LBB29_3
; %bb.5:                                ;   in Loop: Header=BB29_4 Depth=1
	s_mul_u64 s[10:11], s[8:9], s[2:3]
	s_and_not1_b32 vcc_lo, exec_lo, s1
	s_wait_alu 0xfffe
	s_lshl_b64 s[10:11], s[10:11], 4
	s_wait_alu 0xfffe
	s_add_nc_u64 s[10:11], s[4:5], s[10:11]
	s_cbranch_vccnz .LBB29_10
; %bb.6:                                ;   in Loop: Header=BB29_4 Depth=1
	s_mov_b32 s22, 0
	s_mov_b32 s27, 0
                                        ; implicit-def: $vgpr2_vgpr3
	s_and_saveexec_b32 s23, s0
	s_cbranch_execz .LBB29_11
; %bb.7:                                ;   in Loop: Header=BB29_4 Depth=1
	v_cmp_ne_u32_e32 vcc_lo, 1, v10
	v_mov_b32_e32 v2, 0
	v_dual_mov_b32 v3, 0 :: v_dual_mov_b32 v0, 0
	v_mov_b32_e32 v1, 0
	s_cbranch_vccnz .LBB29_9
; %bb.8:                                ;   in Loop: Header=BB29_4 Depth=1
	s_wait_alu 0xfffe
	v_add_co_u32 v0, vcc_lo, s10, v4
	s_wait_alu 0xfffd
	v_add_co_ci_u32_e64 v1, null, s11, v5, vcc_lo
	global_load_b128 v[11:14], v[0:1], off
	s_wait_loadcnt 0x0
	v_mul_f64_e32 v[0:1], s[18:19], v[13:14]
	v_mul_f64_e32 v[2:3], s[16:17], v[13:14]
	s_delay_alu instid0(VALU_DEP_2) | instskip(NEXT) | instid1(VALU_DEP_2)
	v_fma_f64 v[0:1], s[16:17], v[11:12], -v[0:1]
	v_fma_f64 v[2:3], s[18:19], v[11:12], v[2:3]
.LBB29_9:                               ;   in Loop: Header=BB29_4 Depth=1
	s_mov_b32 s27, exec_lo
	s_wait_alu 0xfffe
	s_or_b32 exec_lo, exec_lo, s23
	s_delay_alu instid0(SALU_CYCLE_1)
	s_and_b32 vcc_lo, exec_lo, s22
	s_wait_alu 0xfffe
	s_cbranch_vccnz .LBB29_12
	s_branch .LBB29_22
.LBB29_10:                              ;   in Loop: Header=BB29_4 Depth=1
	s_mov_b32 s27, 0
                                        ; implicit-def: $vgpr2_vgpr3
	s_cbranch_execnz .LBB29_12
	s_branch .LBB29_22
.LBB29_11:                              ;   in Loop: Header=BB29_4 Depth=1
	s_wait_alu 0xfffe
	s_or_b32 exec_lo, exec_lo, s23
	s_delay_alu instid0(SALU_CYCLE_1)
	s_and_b32 vcc_lo, exec_lo, s22
	s_wait_alu 0xfffe
	s_cbranch_vccz .LBB29_22
.LBB29_12:                              ;   in Loop: Header=BB29_4 Depth=1
                                        ; implicit-def: $vgpr2_vgpr3
	s_and_saveexec_b32 s28, s0
	s_cbranch_execz .LBB29_21
; %bb.13:                               ;   in Loop: Header=BB29_4 Depth=1
	s_load_b32 s22, s[20:21], 0x0
	v_mov_b32_e32 v0, 0
	v_dual_mov_b32 v1, 0 :: v_dual_mov_b32 v2, 0
	v_mov_b32_e32 v3, 0
	s_wait_kmcnt 0x0
	s_cmp_ge_i32 ttmp9, s22
	s_cbranch_scc1 .LBB29_16
; %bb.14:                               ;   in Loop: Header=BB29_4 Depth=1
	s_mov_b32 s23, s3
	v_mov_b32_e32 v2, 0
	s_wait_alu 0xfffe
	s_mul_u64 s[30:31], s[6:7], s[22:23]
	s_mov_b32 s29, ttmp9
	s_wait_alu 0xfffe
	v_mad_co_u64_u32 v[8:9], null, s30, s2, v[6:7]
	s_delay_alu instid0(VALU_DEP_1) | instskip(NEXT) | instid1(VALU_DEP_1)
	v_dual_mov_b32 v3, 0 :: v_dual_mov_b32 v0, v9
	v_mad_co_u64_u32 v[11:12], null, s31, s2, v[0:1]
	v_mov_b32_e32 v0, 0
	v_mov_b32_e32 v1, 0
	s_delay_alu instid0(VALU_DEP_3)
	v_mov_b32_e32 v9, v11
.LBB29_15:                              ;   Parent Loop BB29_4 Depth=1
                                        ; =>  This Inner Loop Header: Depth=2
	global_load_b128 v[11:14], v[8:9], off offset:-8
	v_add_co_u32 v8, vcc_lo, v8, s6
	s_wait_alu 0xfffd
	v_add_co_ci_u32_e64 v9, null, s7, v9, vcc_lo
	s_add_co_i32 s29, s29, 1
	s_delay_alu instid0(SALU_CYCLE_1)
	s_cmp_ge_i32 s29, s22
	s_wait_loadcnt 0x0
	v_add_f64_e32 v[2:3], v[2:3], v[11:12]
	v_add_f64_e32 v[0:1], v[0:1], v[13:14]
	s_cbranch_scc0 .LBB29_15
.LBB29_16:                              ;   in Loop: Header=BB29_4 Depth=1
	s_delay_alu instid0(VALU_DEP_1) | instskip(SKIP_3) | instid1(VALU_DEP_2)
	v_mul_f64_e32 v[8:9], s[14:15], v[0:1]
	v_mul_f64_e32 v[11:12], s[12:13], v[0:1]
	s_and_b32 vcc_lo, exec_lo, s26
	s_mov_b32 s22, -1
	v_fma_f64 v[0:1], s[12:13], v[2:3], -v[8:9]
	s_delay_alu instid0(VALU_DEP_2)
	v_fma_f64 v[2:3], s[14:15], v[2:3], v[11:12]
	s_wait_alu 0xfffe
	s_cbranch_vccz .LBB29_18
; %bb.17:                               ;   in Loop: Header=BB29_4 Depth=1
	s_mov_b32 s22, 0
.LBB29_18:                              ;   in Loop: Header=BB29_4 Depth=1
	s_wait_alu 0xfffe
	s_and_not1_b32 vcc_lo, exec_lo, s22
	s_wait_alu 0xfffe
	s_cbranch_vccnz .LBB29_20
; %bb.19:                               ;   in Loop: Header=BB29_4 Depth=1
	v_add_co_u32 v8, vcc_lo, s10, v4
	s_wait_alu 0xfffd
	v_add_co_ci_u32_e64 v9, null, s11, v5, vcc_lo
	global_load_b128 v[11:14], v[8:9], off
	s_wait_loadcnt 0x0
	v_mul_f64_e32 v[8:9], s[18:19], v[13:14]
	v_mul_f64_e32 v[13:14], s[16:17], v[13:14]
	s_delay_alu instid0(VALU_DEP_2) | instskip(NEXT) | instid1(VALU_DEP_2)
	v_fma_f64 v[8:9], s[16:17], v[11:12], -v[8:9]
	v_fma_f64 v[11:12], s[18:19], v[11:12], v[13:14]
	s_delay_alu instid0(VALU_DEP_2) | instskip(NEXT) | instid1(VALU_DEP_2)
	v_add_f64_e32 v[0:1], v[0:1], v[8:9]
	v_add_f64_e32 v[2:3], v[2:3], v[11:12]
.LBB29_20:                              ;   in Loop: Header=BB29_4 Depth=1
	s_or_b32 s27, s27, exec_lo
.LBB29_21:                              ;   in Loop: Header=BB29_4 Depth=1
	s_or_b32 exec_lo, exec_lo, s28
.LBB29_22:                              ;   in Loop: Header=BB29_4 Depth=1
	s_and_saveexec_b32 s22, s27
	s_cbranch_execz .LBB29_2
; %bb.23:                               ;   in Loop: Header=BB29_4 Depth=1
	s_wait_alu 0xfffe
	v_add_co_u32 v8, vcc_lo, s10, v4
	s_wait_alu 0xfffd
	v_add_co_ci_u32_e64 v9, null, s11, v5, vcc_lo
	global_store_b128 v[8:9], v[0:3], off
	s_branch .LBB29_2
.LBB29_24:
	s_endpgm
	.section	.rodata,"a",@progbits
	.p2align	6, 0x0
	.amdhsa_kernel _ZL36rocblas_hemvn_kernel_lower_block_sumILi64El19rocblas_complex_numIdEPS1_S1_EviT1_lS3_lT2_lT0_lPT3_i
		.amdhsa_group_segment_fixed_size 0
		.amdhsa_private_segment_fixed_size 0
		.amdhsa_kernarg_size 360
		.amdhsa_user_sgpr_count 2
		.amdhsa_user_sgpr_dispatch_ptr 0
		.amdhsa_user_sgpr_queue_ptr 0
		.amdhsa_user_sgpr_kernarg_segment_ptr 1
		.amdhsa_user_sgpr_dispatch_id 0
		.amdhsa_user_sgpr_private_segment_size 0
		.amdhsa_wavefront_size32 1
		.amdhsa_uses_dynamic_stack 0
		.amdhsa_enable_private_segment 0
		.amdhsa_system_sgpr_workgroup_id_x 1
		.amdhsa_system_sgpr_workgroup_id_y 0
		.amdhsa_system_sgpr_workgroup_id_z 1
		.amdhsa_system_sgpr_workgroup_info 0
		.amdhsa_system_vgpr_workitem_id 0
		.amdhsa_next_free_vgpr 15
		.amdhsa_next_free_sgpr 32
		.amdhsa_reserve_vcc 1
		.amdhsa_float_round_mode_32 0
		.amdhsa_float_round_mode_16_64 0
		.amdhsa_float_denorm_mode_32 3
		.amdhsa_float_denorm_mode_16_64 3
		.amdhsa_fp16_overflow 0
		.amdhsa_workgroup_processor_mode 1
		.amdhsa_memory_ordered 1
		.amdhsa_forward_progress 1
		.amdhsa_inst_pref_size 8
		.amdhsa_round_robin_scheduling 0
		.amdhsa_exception_fp_ieee_invalid_op 0
		.amdhsa_exception_fp_denorm_src 0
		.amdhsa_exception_fp_ieee_div_zero 0
		.amdhsa_exception_fp_ieee_overflow 0
		.amdhsa_exception_fp_ieee_underflow 0
		.amdhsa_exception_fp_ieee_inexact 0
		.amdhsa_exception_int_div_zero 0
	.end_amdhsa_kernel
	.section	.text._ZL36rocblas_hemvn_kernel_lower_block_sumILi64El19rocblas_complex_numIdEPS1_S1_EviT1_lS3_lT2_lT0_lPT3_i,"axG",@progbits,_ZL36rocblas_hemvn_kernel_lower_block_sumILi64El19rocblas_complex_numIdEPS1_S1_EviT1_lS3_lT2_lT0_lPT3_i,comdat
.Lfunc_end29:
	.size	_ZL36rocblas_hemvn_kernel_lower_block_sumILi64El19rocblas_complex_numIdEPS1_S1_EviT1_lS3_lT2_lT0_lPT3_i, .Lfunc_end29-_ZL36rocblas_hemvn_kernel_lower_block_sumILi64El19rocblas_complex_numIdEPS1_S1_EviT1_lS3_lT2_lT0_lPT3_i
                                        ; -- End function
	.set _ZL36rocblas_hemvn_kernel_lower_block_sumILi64El19rocblas_complex_numIdEPS1_S1_EviT1_lS3_lT2_lT0_lPT3_i.num_vgpr, 15
	.set _ZL36rocblas_hemvn_kernel_lower_block_sumILi64El19rocblas_complex_numIdEPS1_S1_EviT1_lS3_lT2_lT0_lPT3_i.num_agpr, 0
	.set _ZL36rocblas_hemvn_kernel_lower_block_sumILi64El19rocblas_complex_numIdEPS1_S1_EviT1_lS3_lT2_lT0_lPT3_i.numbered_sgpr, 32
	.set _ZL36rocblas_hemvn_kernel_lower_block_sumILi64El19rocblas_complex_numIdEPS1_S1_EviT1_lS3_lT2_lT0_lPT3_i.num_named_barrier, 0
	.set _ZL36rocblas_hemvn_kernel_lower_block_sumILi64El19rocblas_complex_numIdEPS1_S1_EviT1_lS3_lT2_lT0_lPT3_i.private_seg_size, 0
	.set _ZL36rocblas_hemvn_kernel_lower_block_sumILi64El19rocblas_complex_numIdEPS1_S1_EviT1_lS3_lT2_lT0_lPT3_i.uses_vcc, 1
	.set _ZL36rocblas_hemvn_kernel_lower_block_sumILi64El19rocblas_complex_numIdEPS1_S1_EviT1_lS3_lT2_lT0_lPT3_i.uses_flat_scratch, 0
	.set _ZL36rocblas_hemvn_kernel_lower_block_sumILi64El19rocblas_complex_numIdEPS1_S1_EviT1_lS3_lT2_lT0_lPT3_i.has_dyn_sized_stack, 0
	.set _ZL36rocblas_hemvn_kernel_lower_block_sumILi64El19rocblas_complex_numIdEPS1_S1_EviT1_lS3_lT2_lT0_lPT3_i.has_recursion, 0
	.set _ZL36rocblas_hemvn_kernel_lower_block_sumILi64El19rocblas_complex_numIdEPS1_S1_EviT1_lS3_lT2_lT0_lPT3_i.has_indirect_call, 0
	.section	.AMDGPU.csdata,"",@progbits
; Kernel info:
; codeLenInByte = 924
; TotalNumSgprs: 34
; NumVgprs: 15
; ScratchSize: 0
; MemoryBound: 0
; FloatMode: 240
; IeeeMode: 1
; LDSByteSize: 0 bytes/workgroup (compile time only)
; SGPRBlocks: 0
; VGPRBlocks: 1
; NumSGPRsForWavesPerEU: 34
; NumVGPRsForWavesPerEU: 15
; Occupancy: 16
; WaveLimiterHint : 0
; COMPUTE_PGM_RSRC2:SCRATCH_EN: 0
; COMPUTE_PGM_RSRC2:USER_SGPR: 2
; COMPUTE_PGM_RSRC2:TRAP_HANDLER: 0
; COMPUTE_PGM_RSRC2:TGID_X_EN: 1
; COMPUTE_PGM_RSRC2:TGID_Y_EN: 0
; COMPUTE_PGM_RSRC2:TGID_Z_EN: 1
; COMPUTE_PGM_RSRC2:TIDIG_COMP_CNT: 0
	.section	.text._ZL26rocblas_hemvn_kernel_lowerILb1ELi64ELi4ELi33ELi32ELi16Ei19rocblas_complex_numIdEPKS1_PS1_EviT6_lT7_lT5_lS6_lS7_lS5_lT8_i,"axG",@progbits,_ZL26rocblas_hemvn_kernel_lowerILb1ELi64ELi4ELi33ELi32ELi16Ei19rocblas_complex_numIdEPKS1_PS1_EviT6_lT7_lT5_lS6_lS7_lS5_lT8_i,comdat
	.globl	_ZL26rocblas_hemvn_kernel_lowerILb1ELi64ELi4ELi33ELi32ELi16Ei19rocblas_complex_numIdEPKS1_PS1_EviT6_lT7_lT5_lS6_lS7_lS5_lT8_i ; -- Begin function _ZL26rocblas_hemvn_kernel_lowerILb1ELi64ELi4ELi33ELi32ELi16Ei19rocblas_complex_numIdEPKS1_PS1_EviT6_lT7_lT5_lS6_lS7_lS5_lT8_i
	.p2align	8
	.type	_ZL26rocblas_hemvn_kernel_lowerILb1ELi64ELi4ELi33ELi32ELi16Ei19rocblas_complex_numIdEPKS1_PS1_EviT6_lT7_lT5_lS6_lS7_lS5_lT8_i,@function
_ZL26rocblas_hemvn_kernel_lowerILb1ELi64ELi4ELi33ELi32ELi16Ei19rocblas_complex_numIdEPKS1_PS1_EviT6_lT7_lT5_lS6_lS7_lS5_lT8_i: ; @_ZL26rocblas_hemvn_kernel_lowerILb1ELi64ELi4ELi33ELi32ELi16Ei19rocblas_complex_numIdEPKS1_PS1_EviT6_lT7_lT5_lS6_lS7_lS5_lT8_i
; %bb.0:
	s_clause 0x1
	s_load_b64 s[2:3], s[0:1], 0x94
	s_load_b32 s23, s[0:1], 0x80
	s_lshr_b32 s28, ttmp7, 16
	s_wait_kmcnt 0x0
	s_lshr_b32 s4, s2, 16
	s_and_b32 s2, s2, 0xffff
	s_and_b32 s3, s3, 0xffff
	s_mul_i32 s2, s4, s2
	s_delay_alu instid0(SALU_CYCLE_1) | instskip(NEXT) | instid1(SALU_CYCLE_1)
	s_mul_i32 s2, s2, s3
	s_cmp_lg_u32 s2, 0x100
	s_cselect_b32 s2, -1, 0
	s_cmp_ge_u32 s28, s23
	s_cselect_b32 s3, -1, 0
	s_delay_alu instid0(SALU_CYCLE_1) | instskip(NEXT) | instid1(SALU_CYCLE_1)
	s_or_b32 s2, s2, s3
	s_and_b32 vcc_lo, exec_lo, s2
	s_cbranch_vccnz .LBB30_136
; %bb.1:
	s_clause 0x7
	s_load_b128 s[12:15], s[0:1], 0x8
	s_load_b32 s2, s[0:1], 0x0
	s_load_b128 s[4:7], s[0:1], 0x20
	s_load_b32 s50, s[0:1], 0x30
	s_load_b128 s[24:27], s[0:1], 0x38
	s_load_b96 s[20:22], s[0:1], 0x48
	s_load_b64 s[30:31], s[0:1], 0x58
	s_load_b128 s[8:11], s[0:1], 0x60
	v_bfe_u32 v14, v0, 10, 10
	s_add_nc_u64 s[16:17], s[0:1], 0x88
	v_and_b32_e32 v162, 0x3ff, v0
	s_lshl_b32 s44, ttmp9, 6
	v_and_b32_e32 v2, 31, v0
	v_lshlrev_b32_e32 v15, 6, v14
	s_mov_b32 s29, 0
	v_add_nc_u32_e32 v3, s44, v162
	v_and_b32_e32 v23, 15, v0
	v_lshlrev_b32_e32 v17, 4, v2
	v_add_nc_u32_e32 v16, v15, v162
	v_mul_u32_u24_e32 v21, 33, v2
	v_and_b32_e32 v0, 48, v0
	v_add_nc_u32_e32 v183, 0x4300, v15
	s_wait_kmcnt 0x0
	s_lshl_b64 s[6:7], s[6:7], 4
	v_lshrrev_b32_e32 v10, 5, v16
	s_add_nc_u64 s[4:5], s[4:5], s[6:7]
	v_cmp_neq_f64_e64 s18, s[12:13], 0
	v_cmp_neq_f64_e64 s19, s[14:15], 0
	s_load_b32 s14, s[16:17], 0x0
	v_mul_lo_u32 v4, s22, v3
	s_ashr_i32 s3, s2, 31
	s_load_b64 s[12:13], s[0:1], 0x78
	s_lshr_b32 s1, s3, 26
	v_mad_co_u64_u32 v[6:7], null, s50, v10, v[2:3]
	s_add_co_i32 s1, s2, s1
	s_ashr_i32 s51, s50, 31
	v_ashrrev_i32_e32 v5, 31, v4
	s_and_not1_b32 s1, s1, 63
	s_lshl_b64 s[16:17], s[20:21], 4
	s_sub_co_i32 s1, s2, s1
	v_ashrrev_i32_e32 v7, 31, v6
	v_lshlrev_b64_e32 v[4:5], 4, v[4:5]
	v_cmp_neq_f64_e64 s52, s[10:11], 0
	s_add_nc_u64 s[10:11], s[26:27], s[16:17]
	v_cmp_neq_f64_e64 s48, s[8:9], 1.0
	v_lshlrev_b64_e32 v[8:9], 4, v[6:7]
	s_mul_i32 s8, s2, ttmp9
	s_wait_kmcnt 0x0
	s_add_co_i32 s6, s14, -1
	s_wait_alu 0xfffe
	v_add_co_u32 v166, vcc_lo, s10, v4
	s_delay_alu instid0(VALU_DEP_1)
	v_add_co_ci_u32_e64 v167, null, s11, v5, vcc_lo
	s_mul_i32 s46, s50, s44
	s_mov_b32 s15, s29
	v_lshlrev_b32_e32 v12, 2, v10
	s_wait_alu 0xfffe
	s_mul_u64 s[26:27], s[14:15], s[2:3]
	v_lshl_or_b32 v13, v2, 9, v17
	v_lshlrev_b32_e32 v18, 6, v10
	v_lshlrev_b32_e32 v22, 4, v10
	v_or_b32_e32 v19, 1, v12
	v_lshlrev_b32_e32 v177, 4, v21
	v_add_nc_u32_e32 v5, 16, v10
	v_add_nc_u32_e32 v174, v13, v18
	v_or_b32_e32 v13, 2, v12
	s_or_b32 s49, s18, s19
	s_cmp_eq_u32 ttmp9, s6
	v_lshrrev_b32_e32 v21, 4, v16
	s_cselect_b32 s34, s1, 0
	v_add_nc_u32_e32 v180, v177, v22
	s_cmp_eq_u32 s34, 0
	v_cmp_le_i32_e32 vcc_lo, s34, v162
	s_cselect_b32 s33, -1, 0
	s_cmp_lg_u32 s34, 0
	v_add_nc_u32_e32 v11, 24, v10
	s_cselect_b32 s1, -1, 0
	s_ashr_i32 s45, s44, 31
	s_and_b32 s1, s1, vcc_lo
	s_wait_alu 0xfffe
	s_lshl_b64 s[6:7], s[44:45], 4
	s_ashr_i32 s9, s8, 31
	s_add_nc_u64 s[4:5], s[4:5], s[6:7]
	s_ashr_i32 s47, s46, 31
	v_add_co_u32 v1, vcc_lo, s4, v8
	s_wait_alu 0xfffd
	v_add_co_ci_u32_e64 v4, null, s5, v9, vcc_lo
	s_wait_alu 0xfffe
	s_lshl_b64 s[2:3], s[8:9], 4
	s_lshl_b64 s[8:9], s[46:47], 4
	s_sub_co_i32 s20, s34, 32
	s_wait_alu 0xfffe
	v_add_co_u32 v168, vcc_lo, v1, s8
	s_wait_alu 0xfffd
	v_add_co_ci_u32_e64 v169, null, s9, v4, vcc_lo
	v_add_nc_u32_e32 v4, 8, v10
	v_cmp_ge_u32_e64 s7, v12, v2
	v_cmp_eq_u32_e64 s8, v12, v2
	v_or_b32_e32 v12, 3, v12
	s_add_nc_u64 s[38:39], s[12:13], s[2:3]
	v_cmp_le_i32_e64 s4, s34, v4
	v_cmp_le_i32_e64 s18, s20, v4
	v_mul_lo_u32 v4, v14, s50
	v_cmp_ge_u32_e64 s13, v12, v2
	v_cmp_eq_u32_e64 s14, v12, v2
	v_or_b32_e32 v12, 32, v2
	s_mul_i32 s44, s22, s44
	v_mov_b32_e32 v1, 0
	v_cmp_le_i32_e64 s5, s34, v5
	v_cmp_le_i32_e64 s19, s20, v5
	v_lshl_add_u32 v5, v4, 2, v162
	v_lshlrev_b32_e32 v4, 6, v21
	v_lshlrev_b32_e32 v163, 4, v162
	v_sub_co_u32 v8, s3, 0, v2
	s_wait_alu 0xfffe
	s_ashr_i32 s45, s44, 31
	v_mad_u32_u24 v165, 0x210, v10, v17
	v_sub_co_ci_u32_e64 v9, null, 0, 0, s3
	v_cmp_le_i32_e64 s3, s34, v10
	v_mul_u32_u24_e32 v20, 0x840, v10
	v_add_nc_u32_e32 v179, 0x4700, v18
	v_cmp_gt_i32_e64 s16, s34, v12
	v_cmp_le_i32_e64 s17, s20, v10
	v_cmp_eq_u32_e64 s21, 1, v10
	v_mul_i32_i24_e32 v18, 0xffffffd0, v10
	v_mad_u32_u24 v181, v10, 48, v180
	s_wait_alu 0xfffe
	s_sub_nc_u64 s[58:59], 0, s[44:45]
	v_sub_co_u32 v10, vcc_lo, 0, v6
	v_sub_co_u32 v12, s44, 0, v162
	v_cmp_le_i32_e64 s6, s34, v11
	v_cmp_ge_u32_e64 s11, v13, v2
	v_cmp_eq_u32_e64 s12, v13, v2
	v_cmp_le_i32_e64 s20, s20, v11
	s_wait_alu 0xfffd
	v_sub_co_ci_u32_e64 v11, null, 0, v7, vcc_lo
	v_ashrrev_i32_e32 v6, 31, v5
	s_wait_alu 0xf1ff
	v_sub_co_ci_u32_e64 v13, null, 0, 0, s44
	v_mad_u32_u24 v185, 0x430, v23, v4
	v_ashrrev_i32_e32 v4, 31, v3
	s_lshl_b32 s36, s50, 3
	s_lshl_b32 s40, s50, 4
	s_mul_i32 s42, s50, 24
	v_cmp_ge_u32_e64 s9, v19, v2
	v_cmp_eq_u32_e64 s10, v19, v2
	v_mul_u32_u24_e32 v19, 0x210, v19
	s_lshl_b32 s54, s50, 5
	v_lshlrev_b32_e32 v0, 4, v0
	v_or_b32_e32 v7, 0xf0, v163
	v_mul_i32_i24_e32 v15, 0xffffffd0, v21
	v_cmp_eq_u32_e64 s0, 0, v14
	s_ashr_i32 s37, s36, 31
	s_ashr_i32 s41, s40, 31
	;; [unrolled: 1-line block ×5, first 2 shown]
	s_xor_b32 s53, s1, -1
	s_cmp_gt_i32 ttmp9, 0
	v_lshlrev_b64_e32 v[152:153], 4, v[8:9]
	v_lshlrev_b64_e32 v[154:155], 4, v[10:11]
	;; [unrolled: 1-line block ×5, first 2 shown]
	v_add_nc_u32_e32 v164, 0x4700, v163
	v_add_nc_u32_e32 v170, 0x1080, v165
	v_add_nc_u32_e32 v171, 0x2100, v165
	v_add_nc_u32_e32 v172, 0x3180, v165
	v_cmp_gt_i32_e64 s2, s34, v2
	v_mad_u32_u24 v173, 0x210, v2, v17
	v_add_nc_u32_e32 v175, 16, v174
	v_add_nc_u32_e32 v176, 32, v174
	;; [unrolled: 1-line block ×3, first 2 shown]
	v_cmp_gt_u32_e64 s15, 32, v16
	s_cselect_b32 s64, -1, 0
	s_lshl_b32 s65, s22, 6
	v_add_nc_u32_e32 v182, 0x4300, v163
	v_mad_u32_u24 v184, 0x10c0, v14, v163
	v_cmp_gt_u32_e64 s22, 64, v16
	v_mad_u32_u24 v186, 0x430, v23, v0
	v_mad_u32_u24 v187, 0x430, v23, v7
	;; [unrolled: 1-line block ×3, first 2 shown]
	v_cndmask_b32_e64 v189, 0, 1, s49
	v_add_nc_u32_e32 v190, 0x4700, v22
	v_add_nc_u32_e32 v191, v17, v20
	v_add_nc_u32_e32 v192, v17, v19
	v_add_nc_u32_e32 v193, v179, v18
	v_add_nc_u32_e32 v194, v185, v15
	v_lshlrev_b32_e32 v195, 4, v2
	s_sub_nc_u64 s[56:57], 0, s[54:55]
	s_sub_nc_u64 s[60:61], 0, s[46:47]
	s_and_b32 s66, s0, s53
	s_or_b32 s53, s49, s48
	s_lshl_b64 s[44:45], s[50:51], 7
	s_wait_alu 0xfffe
	s_sub_nc_u64 s[46:47], 0, s[34:35]
	s_lshl_b64 s[48:49], s[50:51], 4
	s_mul_u64 s[50:51], s[50:51], 0xd0
	s_or_b32 s67, s53, s52
	s_lshl_b64 s[52:53], s[54:55], 4
	s_lshl_b64 s[54:55], s[56:57], 4
	;; [unrolled: 1-line block ×4, first 2 shown]
	s_branch .LBB30_4
.LBB30_2:                               ;   in Loop: Header=BB30_4 Depth=1
	s_wait_alu 0xfffe
	s_or_b32 exec_lo, exec_lo, s62
.LBB30_3:                               ;   in Loop: Header=BB30_4 Depth=1
	s_add_co_i32 s28, s28, 0x10000
	s_delay_alu instid0(SALU_CYCLE_1)
	s_cmp_lt_u32 s28, s23
	s_cbranch_scc0 .LBB30_136
.LBB30_4:                               ; =>This Loop Header: Depth=1
                                        ;     Child Loop BB30_112 Depth 2
	s_and_not1_b32 vcc_lo, exec_lo, s67
	s_wait_alu 0xfffe
	s_cbranch_vccnz .LBB30_3
; %bb.5:                                ;   in Loop: Header=BB30_4 Depth=1
	v_cmp_ne_u32_e32 vcc_lo, 1, v189
	s_cbranch_vccnz .LBB30_3
; %bb.6:                                ;   in Loop: Header=BB30_4 Depth=1
	s_mul_u64 s[60:61], s[30:31], s[28:29]
	s_wait_alu 0xfffe
	s_lshl_b64 s[60:61], s[60:61], 4
	s_wait_alu 0xfffe
	v_add_co_u32 v40, vcc_lo, v166, s60
	s_wait_alu 0xfffd
	v_add_co_ci_u32_e64 v41, null, s61, v167, vcc_lo
	s_and_saveexec_b32 s60, s0
	s_cbranch_execz .LBB30_11
; %bb.7:                                ;   in Loop: Header=BB30_4 Depth=1
	s_and_saveexec_b32 s61, s1
	s_wait_alu 0xfffe
	s_xor_b32 s61, exec_lo, s61
; %bb.8:                                ;   in Loop: Header=BB30_4 Depth=1
	v_dual_mov_b32 v0, v1 :: v_dual_mov_b32 v3, v1
	v_mov_b32_e32 v2, v1
	ds_store_b128 v164, v[0:3]
; %bb.9:                                ;   in Loop: Header=BB30_4 Depth=1
	s_wait_alu 0xfffe
	s_and_not1_saveexec_b32 s61, s61
	s_cbranch_execz .LBB30_11
; %bb.10:                               ;   in Loop: Header=BB30_4 Depth=1
	global_load_b128 v[2:5], v[40:41], off
	s_wait_loadcnt 0x0
	ds_store_2addr_b64 v164, v[2:3], v[4:5] offset1:1
.LBB30_11:                              ;   in Loop: Header=BB30_4 Depth=1
	s_wait_alu 0xfffe
	s_or_b32 exec_lo, exec_lo, s60
	s_mul_u64 s[60:61], s[24:25], s[28:29]
	s_wait_alu 0xfffe
	s_lshl_b64 s[60:61], s[60:61], 4
	s_wait_alu 0xfffe
	v_add_co_u32 v8, vcc_lo, v168, s60
	s_wait_alu 0xfffd
	v_add_co_ci_u32_e64 v9, null, s61, v169, vcc_lo
	s_and_not1_b32 vcc_lo, exec_lo, s33
	s_mov_b32 s60, -1
	s_wait_alu 0xfffe
	s_cbranch_vccnz .LBB30_13
; %bb.12:                               ;   in Loop: Header=BB30_4 Depth=1
	s_lshl_b64 s[60:61], s[36:37], 4
	s_wait_alu 0xfffe
	v_add_co_u32 v6, vcc_lo, v8, s60
	s_wait_alu 0xfffd
	v_add_co_ci_u32_e64 v7, null, s61, v9, vcc_lo
	s_mov_b32 s60, 0
	v_add_co_u32 v14, vcc_lo, v6, s44
	s_wait_alu 0xfffd
	v_add_co_ci_u32_e64 v15, null, s45, v7, vcc_lo
	s_delay_alu instid0(VALU_DEP_2) | instskip(SKIP_1) | instid1(VALU_DEP_2)
	v_add_co_u32 v18, vcc_lo, v14, s44
	s_wait_alu 0xfffd
	v_add_co_ci_u32_e64 v19, null, s45, v15, vcc_lo
	s_clause 0x3
	global_load_b128 v[2:5], v[8:9], off
	global_load_b128 v[10:13], v[6:7], off
	;; [unrolled: 1-line block ×4, first 2 shown]
	s_wait_loadcnt 0x3
	ds_store_2addr_b64 v165, v[2:3], v[4:5] offset1:1
	s_wait_loadcnt 0x2
	ds_store_2addr_b64 v170, v[10:11], v[12:13] offset1:1
	;; [unrolled: 2-line block ×4, first 2 shown]
.LBB30_13:                              ;   in Loop: Header=BB30_4 Depth=1
	s_wait_alu 0xfffe
	s_and_not1_b32 vcc_lo, exec_lo, s60
	s_wait_alu 0xfffe
	s_cbranch_vccnz .LBB30_25
; %bb.14:                               ;   in Loop: Header=BB30_4 Depth=1
	s_and_saveexec_b32 s60, s3
	s_wait_alu 0xfffe
	s_xor_b32 s60, exec_lo, s60
; %bb.15:                               ;   in Loop: Header=BB30_4 Depth=1
	v_dual_mov_b32 v0, v1 :: v_dual_mov_b32 v3, v1
	v_mov_b32_e32 v2, v1
	ds_store_b128 v165, v[0:3]
; %bb.16:                               ;   in Loop: Header=BB30_4 Depth=1
	s_wait_alu 0xfffe
	s_or_saveexec_b32 s60, s60
	v_add_co_u32 v0, vcc_lo, v8, v152
	s_wait_alu 0xfffd
	v_add_co_ci_u32_e64 v2, null, v9, v153, vcc_lo
	s_lshl_b64 s[62:63], s[34:35], 4
	s_wait_alu 0xfffe
	v_add_co_u32 v0, vcc_lo, v0, s62
	s_wait_alu 0xfffd
	v_add_co_ci_u32_e64 v2, null, s63, v2, vcc_lo
	s_delay_alu instid0(VALU_DEP_2) | instskip(SKIP_1) | instid1(VALU_DEP_2)
	v_add_co_u32 v0, vcc_lo, v0, -16
	s_wait_alu 0xfffd
	v_add_co_ci_u32_e64 v2, null, -1, v2, vcc_lo
	s_delay_alu instid0(VALU_DEP_2) | instskip(NEXT) | instid1(VALU_DEP_2)
	v_cndmask_b32_e64 v4, v0, v8, s2
	v_cndmask_b32_e64 v5, v2, v9, s2
	s_xor_b32 exec_lo, exec_lo, s60
	s_cbranch_execnz .LBB30_118
; %bb.17:                               ;   in Loop: Header=BB30_4 Depth=1
	s_or_b32 exec_lo, exec_lo, s60
	s_and_saveexec_b32 s60, s4
	s_wait_alu 0xfffe
	s_xor_b32 s60, exec_lo, s60
	s_cbranch_execnz .LBB30_119
.LBB30_18:                              ;   in Loop: Header=BB30_4 Depth=1
	s_wait_alu 0xfffe
	s_and_not1_saveexec_b32 s60, s60
	s_cbranch_execnz .LBB30_120
.LBB30_19:                              ;   in Loop: Header=BB30_4 Depth=1
	s_wait_alu 0xfffe
	s_or_b32 exec_lo, exec_lo, s60
	s_and_saveexec_b32 s60, s5
	s_wait_alu 0xfffe
	s_xor_b32 s60, exec_lo, s60
	s_cbranch_execnz .LBB30_121
.LBB30_20:                              ;   in Loop: Header=BB30_4 Depth=1
	s_wait_alu 0xfffe
	s_and_not1_saveexec_b32 s60, s60
	s_cbranch_execnz .LBB30_122
.LBB30_21:                              ;   in Loop: Header=BB30_4 Depth=1
	s_wait_alu 0xfffe
	s_or_b32 exec_lo, exec_lo, s60
	s_and_saveexec_b32 s60, s6
	s_wait_alu 0xfffe
	s_xor_b32 s60, exec_lo, s60
	s_cbranch_execnz .LBB30_123
.LBB30_22:                              ;   in Loop: Header=BB30_4 Depth=1
	s_wait_alu 0xfffe
	s_and_not1_saveexec_b32 s60, s60
	s_cbranch_execz .LBB30_24
.LBB30_23:                              ;   in Loop: Header=BB30_4 Depth=1
	s_lshl_b64 s[62:63], s[42:43], 4
	s_wait_alu 0xfffe
	v_add_co_u32 v2, vcc_lo, v4, s62
	s_wait_alu 0xfffd
	v_add_co_ci_u32_e64 v3, null, s63, v5, vcc_lo
	global_load_b128 v[10:13], v[2:3], off
	s_wait_loadcnt 0x0
	ds_store_2addr_b64 v172, v[10:11], v[12:13] offset1:1
.LBB30_24:                              ;   in Loop: Header=BB30_4 Depth=1
	s_wait_alu 0xfffe
	s_or_b32 exec_lo, exec_lo, s60
	v_add_co_u32 v0, vcc_lo, v4, v195
	s_wait_alu 0xfffd
	v_add_co_ci_u32_e64 v2, null, 0, v5, vcc_lo
	s_lshl_b64 s[60:61], s[46:47], 4
	s_wait_alu 0xfffe
	v_add_co_u32 v0, vcc_lo, v0, s60
	s_wait_alu 0xfffd
	v_add_co_ci_u32_e64 v2, null, s61, v2, vcc_lo
	s_delay_alu instid0(VALU_DEP_2) | instskip(SKIP_1) | instid1(VALU_DEP_2)
	v_add_co_u32 v0, vcc_lo, v0, 16
	s_wait_alu 0xfffd
	v_add_co_ci_u32_e64 v2, null, 0, v2, vcc_lo
	s_delay_alu instid0(VALU_DEP_2) | instskip(NEXT) | instid1(VALU_DEP_2)
	v_cndmask_b32_e64 v8, v0, v8, s2
	v_cndmask_b32_e64 v9, v2, v9, s2
.LBB30_25:                              ;   in Loop: Header=BB30_4 Depth=1
	s_mov_b32 s60, 0
	s_wait_dscnt 0x0
	s_barrier_signal -1
	s_barrier_wait -1
	global_inv scope:SCOPE_SE
	s_and_saveexec_b32 s61, s7
	s_wait_alu 0xfffe
	s_xor_b32 s61, exec_lo, s61
; %bb.26:                               ;   in Loop: Header=BB30_4 Depth=1
	s_and_b32 s60, s8, exec_lo
; %bb.27:                               ;   in Loop: Header=BB30_4 Depth=1
	s_wait_alu 0xfffe
	s_or_saveexec_b32 s61, s61
	v_mov_b32_e32 v4, 0
	v_dual_mov_b32 v5, 0 :: v_dual_mov_b32 v0, v173
	s_wait_alu 0xfffe
	s_xor_b32 exec_lo, exec_lo, s61
	s_cbranch_execz .LBB30_29
; %bb.28:                               ;   in Loop: Header=BB30_4 Depth=1
	ds_load_b128 v[2:5], v191
	v_mov_b32_e32 v0, v174
	s_or_b32 s60, s60, exec_lo
	s_wait_dscnt 0x0
	v_xor_b32_e32 v5, 0x80000000, v5
	ds_store_b64 v174, v[2:3]
.LBB30_29:                              ;   in Loop: Header=BB30_4 Depth=1
	s_or_b32 exec_lo, exec_lo, s61
	s_wait_alu 0xfffe
	s_and_saveexec_b32 s61, s60
; %bb.30:                               ;   in Loop: Header=BB30_4 Depth=1
	ds_store_b64 v0, v[4:5] offset:8
; %bb.31:                               ;   in Loop: Header=BB30_4 Depth=1
	s_wait_alu 0xfffe
	s_or_b32 exec_lo, exec_lo, s61
	s_mov_b32 s60, 0
	s_and_saveexec_b32 s61, s9
	s_wait_alu 0xfffe
	s_xor_b32 s61, exec_lo, s61
; %bb.32:                               ;   in Loop: Header=BB30_4 Depth=1
	s_and_b32 s60, s10, exec_lo
; %bb.33:                               ;   in Loop: Header=BB30_4 Depth=1
	s_wait_alu 0xfffe
	s_or_saveexec_b32 s61, s61
	v_mov_b32_e32 v4, 0
	v_dual_mov_b32 v5, 0 :: v_dual_mov_b32 v0, v173
	s_wait_alu 0xfffe
	s_xor_b32 exec_lo, exec_lo, s61
	s_cbranch_execz .LBB30_35
; %bb.34:                               ;   in Loop: Header=BB30_4 Depth=1
	ds_load_b128 v[2:5], v192
	v_mov_b32_e32 v0, v175
	s_or_b32 s60, s60, exec_lo
	s_wait_dscnt 0x0
	v_xor_b32_e32 v5, 0x80000000, v5
	ds_store_b64 v175, v[2:3]
.LBB30_35:                              ;   in Loop: Header=BB30_4 Depth=1
	s_or_b32 exec_lo, exec_lo, s61
	s_wait_alu 0xfffe
	s_and_saveexec_b32 s61, s60
; %bb.36:                               ;   in Loop: Header=BB30_4 Depth=1
	ds_store_b64 v0, v[4:5] offset:8
; %bb.37:                               ;   in Loop: Header=BB30_4 Depth=1
	s_wait_alu 0xfffe
	s_or_b32 exec_lo, exec_lo, s61
	s_mov_b32 s60, 0
	s_and_saveexec_b32 s61, s11
	s_wait_alu 0xfffe
	s_xor_b32 s61, exec_lo, s61
; %bb.38:                               ;   in Loop: Header=BB30_4 Depth=1
	s_and_b32 s60, s12, exec_lo
; %bb.39:                               ;   in Loop: Header=BB30_4 Depth=1
	s_wait_alu 0xfffe
	s_or_saveexec_b32 s61, s61
	v_mov_b32_e32 v4, 0
	v_dual_mov_b32 v5, 0 :: v_dual_mov_b32 v0, v173
	s_wait_alu 0xfffe
	s_xor_b32 exec_lo, exec_lo, s61
	s_cbranch_execz .LBB30_41
; %bb.40:                               ;   in Loop: Header=BB30_4 Depth=1
	ds_load_b128 v[2:5], v192 offset:528
	v_mov_b32_e32 v0, v176
	s_or_b32 s60, s60, exec_lo
	s_wait_dscnt 0x0
	v_xor_b32_e32 v5, 0x80000000, v5
	ds_store_b64 v176, v[2:3]
.LBB30_41:                              ;   in Loop: Header=BB30_4 Depth=1
	s_or_b32 exec_lo, exec_lo, s61
	s_wait_alu 0xfffe
	s_and_saveexec_b32 s61, s60
; %bb.42:                               ;   in Loop: Header=BB30_4 Depth=1
	ds_store_b64 v0, v[4:5] offset:8
; %bb.43:                               ;   in Loop: Header=BB30_4 Depth=1
	s_wait_alu 0xfffe
	s_or_b32 exec_lo, exec_lo, s61
	s_mov_b32 s60, 0
	s_and_saveexec_b32 s61, s13
	s_wait_alu 0xfffe
	s_xor_b32 s61, exec_lo, s61
; %bb.44:                               ;   in Loop: Header=BB30_4 Depth=1
	s_and_b32 s60, s14, exec_lo
; %bb.45:                               ;   in Loop: Header=BB30_4 Depth=1
	s_wait_alu 0xfffe
	s_or_saveexec_b32 s61, s61
	v_mov_b32_e32 v4, 0
	v_dual_mov_b32 v5, 0 :: v_dual_mov_b32 v0, v173
	s_wait_alu 0xfffe
	s_xor_b32 exec_lo, exec_lo, s61
	s_cbranch_execz .LBB30_47
; %bb.46:                               ;   in Loop: Header=BB30_4 Depth=1
	ds_load_b128 v[2:5], v192 offset:1056
	v_mov_b32_e32 v0, v178
	s_or_b32 s60, s60, exec_lo
	s_wait_dscnt 0x0
	v_xor_b32_e32 v5, 0x80000000, v5
	ds_store_b64 v178, v[2:3]
.LBB30_47:                              ;   in Loop: Header=BB30_4 Depth=1
	s_or_b32 exec_lo, exec_lo, s61
	s_wait_alu 0xfffe
	s_and_saveexec_b32 s61, s60
; %bb.48:                               ;   in Loop: Header=BB30_4 Depth=1
	ds_store_b64 v0, v[4:5] offset:8
; %bb.49:                               ;   in Loop: Header=BB30_4 Depth=1
	s_wait_alu 0xfffe
	s_or_b32 exec_lo, exec_lo, s61
	s_wait_loadcnt_dscnt 0x0
	s_barrier_signal -1
	s_barrier_wait -1
	global_inv scope:SCOPE_SE
	ds_load_b128 v[2:5], v191
	ds_load_b128 v[10:13], v179
	ds_load_b128 v[14:17], v179 offset:16
	ds_load_b128 v[18:21], v192
	s_wait_dscnt 0x2
	v_mul_f64_e32 v[6:7], v[12:13], v[4:5]
	v_mul_f64_e32 v[4:5], v[10:11], v[4:5]
	s_wait_dscnt 0x0
	v_mul_f64_e32 v[28:29], v[16:17], v[20:21]
	v_mul_f64_e32 v[30:31], v[14:15], v[20:21]
	s_delay_alu instid0(VALU_DEP_4) | instskip(NEXT) | instid1(VALU_DEP_4)
	v_fma_f64 v[6:7], v[10:11], v[2:3], -v[6:7]
	v_fma_f64 v[32:33], v[12:13], v[2:3], v[4:5]
	ds_load_b128 v[2:5], v192 offset:528
	ds_load_b128 v[10:13], v179 offset:32
	;; [unrolled: 1-line block ×4, first 2 shown]
	v_fma_f64 v[14:15], v[14:15], v[18:19], -v[28:29]
	v_fma_f64 v[16:17], v[16:17], v[18:19], v[30:31]
	s_wait_loadcnt_dscnt 0x0
	s_barrier_signal -1
	s_barrier_wait -1
	global_inv scope:SCOPE_SE
	v_mul_f64_e32 v[34:35], v[12:13], v[4:5]
	v_mul_f64_e32 v[4:5], v[10:11], v[4:5]
	;; [unrolled: 1-line block ×4, first 2 shown]
	v_add_f64_e32 v[6:7], 0, v[6:7]
	v_add_f64_e32 v[18:19], 0, v[32:33]
	v_fma_f64 v[10:11], v[10:11], v[2:3], -v[34:35]
	v_fma_f64 v[2:3], v[12:13], v[2:3], v[4:5]
	v_fma_f64 v[12:13], v[20:21], v[24:25], -v[28:29]
	v_add_f64_e32 v[4:5], v[6:7], v[14:15]
	v_add_f64_e32 v[6:7], v[18:19], v[16:17]
	v_fma_f64 v[14:15], v[22:23], v[24:25], v[26:27]
	s_delay_alu instid0(VALU_DEP_3) | instskip(NEXT) | instid1(VALU_DEP_3)
	v_add_f64_e32 v[4:5], v[4:5], v[10:11]
	v_add_f64_e32 v[2:3], v[6:7], v[2:3]
	v_mov_b32_e32 v6, 0
	v_mov_b32_e32 v7, 0
	s_delay_alu instid0(VALU_DEP_4) | instskip(NEXT) | instid1(VALU_DEP_4)
	v_add_f64_e32 v[10:11], v[4:5], v[12:13]
	v_add_f64_e32 v[12:13], v[2:3], v[14:15]
	v_mov_b32_e32 v4, 0
	v_mov_b32_e32 v5, 0
	ds_store_b128 v180, v[10:13]
	s_wait_loadcnt_dscnt 0x0
	s_barrier_signal -1
	s_barrier_wait -1
	global_inv scope:SCOPE_SE
	s_and_saveexec_b32 s60, s15
	s_cbranch_execz .LBB30_51
; %bb.50:                               ;   in Loop: Header=BB30_4 Depth=1
	ds_load_b128 v[2:5], v177
	ds_load_b128 v[10:13], v177 offset:16
	s_wait_dscnt 0x0
	v_add_f64_e32 v[6:7], v[10:11], v[2:3]
	v_add_f64_e32 v[14:15], v[12:13], v[4:5]
	ds_load_b128 v[2:5], v177 offset:32
	ds_load_b128 v[10:13], v177 offset:48
	s_wait_dscnt 0x1
	v_add_f64_e32 v[2:3], v[6:7], v[2:3]
	v_add_f64_e32 v[4:5], v[14:15], v[4:5]
	s_wait_dscnt 0x0
	s_delay_alu instid0(VALU_DEP_2) | instskip(NEXT) | instid1(VALU_DEP_2)
	v_add_f64_e32 v[6:7], v[2:3], v[10:11]
	v_add_f64_e32 v[14:15], v[4:5], v[12:13]
	ds_load_b128 v[2:5], v177 offset:64
	ds_load_b128 v[10:13], v177 offset:80
	s_wait_dscnt 0x1
	v_add_f64_e32 v[2:3], v[6:7], v[2:3]
	v_add_f64_e32 v[4:5], v[14:15], v[4:5]
	s_wait_dscnt 0x0
	s_delay_alu instid0(VALU_DEP_2) | instskip(NEXT) | instid1(VALU_DEP_2)
	;; [unrolled: 9-line block ×3, first 2 shown]
	v_add_f64_e32 v[4:5], v[2:3], v[10:11]
	v_add_f64_e32 v[6:7], v[6:7], v[12:13]
.LBB30_51:                              ;   in Loop: Header=BB30_4 Depth=1
	s_wait_alu 0xfffe
	s_or_b32 exec_lo, exec_lo, s60
	v_add_co_u32 v8, vcc_lo, v8, s52
	s_wait_alu 0xfffd
	v_add_co_ci_u32_e64 v9, null, s53, v9, vcc_lo
	s_mov_b32 s60, -1
	v_add_co_u32 v12, vcc_lo, 0x200, v8
	s_wait_alu 0xfffd
	v_add_co_ci_u32_e64 v13, null, 0, v9, vcc_lo
	s_and_not1_b32 vcc_lo, exec_lo, s33
	s_wait_loadcnt 0x0
	s_barrier_signal -1
	s_barrier_wait -1
	global_inv scope:SCOPE_SE
	s_wait_alu 0xfffe
	s_cbranch_vccnz .LBB30_53
; %bb.52:                               ;   in Loop: Header=BB30_4 Depth=1
	s_lshl_b64 s[60:61], s[36:37], 4
	s_wait_alu 0xfffe
	v_add_co_u32 v2, vcc_lo, v8, s60
	s_wait_alu 0xfffd
	v_add_co_ci_u32_e64 v3, null, s61, v9, vcc_lo
	s_mov_b32 s60, 0
	v_add_co_u32 v10, vcc_lo, v2, s44
	s_wait_alu 0xfffd
	v_add_co_ci_u32_e64 v11, null, s45, v3, vcc_lo
	s_delay_alu instid0(VALU_DEP_2) | instskip(SKIP_1) | instid1(VALU_DEP_2)
	v_add_co_u32 v26, vcc_lo, v10, s44
	s_wait_alu 0xfffd
	v_add_co_ci_u32_e64 v27, null, s45, v11, vcc_lo
	s_clause 0x3
	global_load_b128 v[14:17], v[12:13], off
	global_load_b128 v[18:21], v[2:3], off offset:512
	global_load_b128 v[22:25], v[10:11], off offset:512
	;; [unrolled: 1-line block ×3, first 2 shown]
	s_wait_loadcnt 0x3
	ds_store_2addr_b64 v165, v[14:15], v[16:17] offset1:1
	s_wait_loadcnt 0x2
	ds_store_2addr_b64 v170, v[18:19], v[20:21] offset1:1
	;; [unrolled: 2-line block ×4, first 2 shown]
.LBB30_53:                              ;   in Loop: Header=BB30_4 Depth=1
	s_wait_alu 0xfffe
	s_and_not1_b32 vcc_lo, exec_lo, s60
	s_wait_alu 0xfffe
	s_cbranch_vccnz .LBB30_65
; %bb.54:                               ;   in Loop: Header=BB30_4 Depth=1
	s_and_saveexec_b32 s60, s17
	s_wait_alu 0xfffe
	s_xor_b32 s60, exec_lo, s60
; %bb.55:                               ;   in Loop: Header=BB30_4 Depth=1
	v_dual_mov_b32 v0, v1 :: v_dual_mov_b32 v3, v1
	v_mov_b32_e32 v2, v1
	ds_store_b128 v165, v[0:3]
; %bb.56:                               ;   in Loop: Header=BB30_4 Depth=1
	s_wait_alu 0xfffe
	s_or_saveexec_b32 s60, s60
	v_add_co_u32 v0, vcc_lo, v8, v152
	s_wait_alu 0xfffd
	v_add_co_ci_u32_e64 v2, null, v9, v153, vcc_lo
	s_lshl_b64 s[62:63], s[34:35], 4
	s_wait_alu 0xfffe
	v_add_co_u32 v0, vcc_lo, v0, s62
	s_wait_alu 0xfffd
	v_add_co_ci_u32_e64 v2, null, s63, v2, vcc_lo
	s_delay_alu instid0(VALU_DEP_2) | instskip(SKIP_1) | instid1(VALU_DEP_2)
	v_add_co_u32 v0, vcc_lo, v0, -16
	s_wait_alu 0xfffd
	v_add_co_ci_u32_e64 v2, null, -1, v2, vcc_lo
	s_delay_alu instid0(VALU_DEP_2) | instskip(NEXT) | instid1(VALU_DEP_2)
	v_cndmask_b32_e64 v8, v0, v12, s16
	v_cndmask_b32_e64 v9, v2, v13, s16
	s_xor_b32 exec_lo, exec_lo, s60
	s_cbranch_execnz .LBB30_124
; %bb.57:                               ;   in Loop: Header=BB30_4 Depth=1
	s_or_b32 exec_lo, exec_lo, s60
	s_and_saveexec_b32 s60, s18
	s_wait_alu 0xfffe
	s_xor_b32 s60, exec_lo, s60
	s_cbranch_execnz .LBB30_125
.LBB30_58:                              ;   in Loop: Header=BB30_4 Depth=1
	s_wait_alu 0xfffe
	s_and_not1_saveexec_b32 s60, s60
	s_cbranch_execnz .LBB30_126
.LBB30_59:                              ;   in Loop: Header=BB30_4 Depth=1
	s_wait_alu 0xfffe
	s_or_b32 exec_lo, exec_lo, s60
	s_and_saveexec_b32 s60, s19
	s_wait_alu 0xfffe
	s_xor_b32 s60, exec_lo, s60
	s_cbranch_execnz .LBB30_127
.LBB30_60:                              ;   in Loop: Header=BB30_4 Depth=1
	s_wait_alu 0xfffe
	s_and_not1_saveexec_b32 s60, s60
	s_cbranch_execnz .LBB30_128
.LBB30_61:                              ;   in Loop: Header=BB30_4 Depth=1
	s_wait_alu 0xfffe
	s_or_b32 exec_lo, exec_lo, s60
	s_and_saveexec_b32 s60, s20
	s_wait_alu 0xfffe
	s_xor_b32 s60, exec_lo, s60
	s_cbranch_execnz .LBB30_129
.LBB30_62:                              ;   in Loop: Header=BB30_4 Depth=1
	s_wait_alu 0xfffe
	s_and_not1_saveexec_b32 s60, s60
	s_cbranch_execz .LBB30_64
.LBB30_63:                              ;   in Loop: Header=BB30_4 Depth=1
	s_lshl_b64 s[62:63], s[42:43], 4
	s_wait_alu 0xfffe
	v_add_co_u32 v2, vcc_lo, v8, s62
	s_wait_alu 0xfffd
	v_add_co_ci_u32_e64 v3, null, s63, v9, vcc_lo
	global_load_b128 v[14:17], v[2:3], off
	s_wait_loadcnt 0x0
	ds_store_2addr_b64 v172, v[14:15], v[16:17] offset1:1
.LBB30_64:                              ;   in Loop: Header=BB30_4 Depth=1
	s_wait_alu 0xfffe
	s_or_b32 exec_lo, exec_lo, s60
	v_add_co_u32 v0, vcc_lo, v8, v195
	s_wait_alu 0xfffd
	v_add_co_ci_u32_e64 v2, null, 0, v9, vcc_lo
	s_lshl_b64 s[60:61], s[46:47], 4
	s_wait_alu 0xfffe
	v_add_co_u32 v0, vcc_lo, v0, s60
	s_wait_alu 0xfffd
	v_add_co_ci_u32_e64 v2, null, s61, v2, vcc_lo
	s_delay_alu instid0(VALU_DEP_2) | instskip(SKIP_1) | instid1(VALU_DEP_2)
	v_add_co_u32 v0, vcc_lo, 0x210, v0
	s_wait_alu 0xfffd
	v_add_co_ci_u32_e64 v2, null, 0, v2, vcc_lo
	s_delay_alu instid0(VALU_DEP_2) | instskip(NEXT) | instid1(VALU_DEP_2)
	v_cndmask_b32_e64 v12, v0, v12, s16
	v_cndmask_b32_e64 v13, v2, v13, s16
.LBB30_65:                              ;   in Loop: Header=BB30_4 Depth=1
	s_mov_b32 s60, 0
	s_wait_loadcnt_dscnt 0x0
	s_barrier_signal -1
	s_barrier_wait -1
	global_inv scope:SCOPE_SE
	s_and_saveexec_b32 s61, s7
	s_wait_alu 0xfffe
	s_xor_b32 s61, exec_lo, s61
; %bb.66:                               ;   in Loop: Header=BB30_4 Depth=1
	s_and_b32 s60, s8, exec_lo
; %bb.67:                               ;   in Loop: Header=BB30_4 Depth=1
	s_wait_alu 0xfffe
	s_or_saveexec_b32 s61, s61
	v_mov_b32_e32 v10, 0
	v_dual_mov_b32 v11, 0 :: v_dual_mov_b32 v0, v173
	s_wait_alu 0xfffe
	s_xor_b32 exec_lo, exec_lo, s61
	s_cbranch_execz .LBB30_69
; %bb.68:                               ;   in Loop: Header=BB30_4 Depth=1
	ds_load_b128 v[8:11], v191
	v_mov_b32_e32 v0, v174
	s_or_b32 s60, s60, exec_lo
	s_wait_dscnt 0x0
	v_xor_b32_e32 v11, 0x80000000, v11
	ds_store_b64 v174, v[8:9]
.LBB30_69:                              ;   in Loop: Header=BB30_4 Depth=1
	s_or_b32 exec_lo, exec_lo, s61
	s_wait_alu 0xfffe
	s_and_saveexec_b32 s61, s60
; %bb.70:                               ;   in Loop: Header=BB30_4 Depth=1
	ds_store_b64 v0, v[10:11] offset:8
; %bb.71:                               ;   in Loop: Header=BB30_4 Depth=1
	s_wait_alu 0xfffe
	s_or_b32 exec_lo, exec_lo, s61
	s_mov_b32 s60, 0
	s_and_saveexec_b32 s61, s9
	s_wait_alu 0xfffe
	s_xor_b32 s61, exec_lo, s61
; %bb.72:                               ;   in Loop: Header=BB30_4 Depth=1
	s_and_b32 s60, s10, exec_lo
; %bb.73:                               ;   in Loop: Header=BB30_4 Depth=1
	s_wait_alu 0xfffe
	s_or_saveexec_b32 s61, s61
	v_mov_b32_e32 v10, 0
	v_dual_mov_b32 v11, 0 :: v_dual_mov_b32 v0, v173
	s_wait_alu 0xfffe
	s_xor_b32 exec_lo, exec_lo, s61
	s_cbranch_execz .LBB30_75
; %bb.74:                               ;   in Loop: Header=BB30_4 Depth=1
	ds_load_b128 v[8:11], v192
	v_mov_b32_e32 v0, v175
	s_or_b32 s60, s60, exec_lo
	s_wait_dscnt 0x0
	v_xor_b32_e32 v11, 0x80000000, v11
	ds_store_b64 v175, v[8:9]
.LBB30_75:                              ;   in Loop: Header=BB30_4 Depth=1
	s_or_b32 exec_lo, exec_lo, s61
	s_wait_alu 0xfffe
	s_and_saveexec_b32 s61, s60
; %bb.76:                               ;   in Loop: Header=BB30_4 Depth=1
	ds_store_b64 v0, v[10:11] offset:8
; %bb.77:                               ;   in Loop: Header=BB30_4 Depth=1
	s_wait_alu 0xfffe
	s_or_b32 exec_lo, exec_lo, s61
	s_mov_b32 s60, 0
	s_and_saveexec_b32 s61, s11
	s_wait_alu 0xfffe
	s_xor_b32 s61, exec_lo, s61
; %bb.78:                               ;   in Loop: Header=BB30_4 Depth=1
	s_and_b32 s60, s12, exec_lo
; %bb.79:                               ;   in Loop: Header=BB30_4 Depth=1
	s_wait_alu 0xfffe
	s_or_saveexec_b32 s61, s61
	v_mov_b32_e32 v10, 0
	v_dual_mov_b32 v11, 0 :: v_dual_mov_b32 v0, v173
	s_wait_alu 0xfffe
	s_xor_b32 exec_lo, exec_lo, s61
	s_cbranch_execz .LBB30_81
; %bb.80:                               ;   in Loop: Header=BB30_4 Depth=1
	ds_load_b128 v[8:11], v192 offset:528
	v_mov_b32_e32 v0, v176
	s_or_b32 s60, s60, exec_lo
	s_wait_dscnt 0x0
	v_xor_b32_e32 v11, 0x80000000, v11
	ds_store_b64 v176, v[8:9]
.LBB30_81:                              ;   in Loop: Header=BB30_4 Depth=1
	s_or_b32 exec_lo, exec_lo, s61
	s_wait_alu 0xfffe
	s_and_saveexec_b32 s61, s60
; %bb.82:                               ;   in Loop: Header=BB30_4 Depth=1
	ds_store_b64 v0, v[10:11] offset:8
; %bb.83:                               ;   in Loop: Header=BB30_4 Depth=1
	s_wait_alu 0xfffe
	s_or_b32 exec_lo, exec_lo, s61
	s_mov_b32 s60, 0
	s_and_saveexec_b32 s61, s13
	s_wait_alu 0xfffe
	s_xor_b32 s61, exec_lo, s61
; %bb.84:                               ;   in Loop: Header=BB30_4 Depth=1
	s_and_b32 s60, s14, exec_lo
; %bb.85:                               ;   in Loop: Header=BB30_4 Depth=1
	s_wait_alu 0xfffe
	s_or_saveexec_b32 s61, s61
	v_mov_b32_e32 v10, 0
	v_dual_mov_b32 v11, 0 :: v_dual_mov_b32 v0, v173
	s_wait_alu 0xfffe
	s_xor_b32 exec_lo, exec_lo, s61
	s_cbranch_execz .LBB30_87
; %bb.86:                               ;   in Loop: Header=BB30_4 Depth=1
	ds_load_b128 v[8:11], v192 offset:1056
	v_mov_b32_e32 v0, v178
	s_or_b32 s60, s60, exec_lo
	s_wait_dscnt 0x0
	v_xor_b32_e32 v11, 0x80000000, v11
	ds_store_b64 v178, v[8:9]
.LBB30_87:                              ;   in Loop: Header=BB30_4 Depth=1
	s_or_b32 exec_lo, exec_lo, s61
	s_wait_alu 0xfffe
	s_and_saveexec_b32 s61, s60
; %bb.88:                               ;   in Loop: Header=BB30_4 Depth=1
	ds_store_b64 v0, v[10:11] offset:8
; %bb.89:                               ;   in Loop: Header=BB30_4 Depth=1
	s_wait_alu 0xfffe
	s_or_b32 exec_lo, exec_lo, s61
	s_wait_loadcnt_dscnt 0x0
	s_barrier_signal -1
	s_barrier_wait -1
	global_inv scope:SCOPE_SE
	ds_load_b128 v[8:11], v191
	ds_load_b128 v[14:17], v179 offset:512
	ds_load_b128 v[18:21], v179 offset:528
	ds_load_b128 v[22:25], v192
	s_wait_dscnt 0x2
	v_mul_f64_e32 v[2:3], v[16:17], v[10:11]
	v_mul_f64_e32 v[10:11], v[14:15], v[10:11]
	s_wait_dscnt 0x0
	v_mul_f64_e32 v[32:33], v[20:21], v[24:25]
	v_mul_f64_e32 v[34:35], v[18:19], v[24:25]
	s_delay_alu instid0(VALU_DEP_4) | instskip(NEXT) | instid1(VALU_DEP_4)
	v_fma_f64 v[2:3], v[14:15], v[8:9], -v[2:3]
	v_fma_f64 v[36:37], v[16:17], v[8:9], v[10:11]
	ds_load_b128 v[8:11], v192 offset:528
	ds_load_b128 v[14:17], v179 offset:544
	;; [unrolled: 1-line block ×4, first 2 shown]
	v_fma_f64 v[18:19], v[18:19], v[22:23], -v[32:33]
	v_fma_f64 v[20:21], v[20:21], v[22:23], v[34:35]
	s_wait_loadcnt_dscnt 0x0
	s_barrier_signal -1
	s_barrier_wait -1
	global_inv scope:SCOPE_SE
	v_mul_f64_e32 v[38:39], v[16:17], v[10:11]
	v_mul_f64_e32 v[10:11], v[14:15], v[10:11]
	v_mul_f64_e32 v[32:33], v[26:27], v[30:31]
	v_mul_f64_e32 v[30:31], v[24:25], v[30:31]
	v_add_f64_e32 v[2:3], 0, v[2:3]
	v_add_f64_e32 v[22:23], 0, v[36:37]
	v_fma_f64 v[14:15], v[14:15], v[8:9], -v[38:39]
	v_fma_f64 v[8:9], v[16:17], v[8:9], v[10:11]
	v_fma_f64 v[16:17], v[24:25], v[28:29], -v[32:33]
	v_add_f64_e32 v[2:3], v[2:3], v[18:19]
	v_add_f64_e32 v[10:11], v[22:23], v[20:21]
	v_fma_f64 v[18:19], v[26:27], v[28:29], v[30:31]
	s_delay_alu instid0(VALU_DEP_3) | instskip(NEXT) | instid1(VALU_DEP_3)
	v_add_f64_e32 v[2:3], v[2:3], v[14:15]
	v_add_f64_e32 v[10:11], v[10:11], v[8:9]
	s_delay_alu instid0(VALU_DEP_2) | instskip(NEXT) | instid1(VALU_DEP_2)
	v_add_f64_e32 v[8:9], v[2:3], v[16:17]
	v_add_f64_e32 v[10:11], v[10:11], v[18:19]
	ds_store_b128 v180, v[8:11]
	s_wait_loadcnt_dscnt 0x0
	s_barrier_signal -1
	s_barrier_wait -1
	global_inv scope:SCOPE_SE
	s_and_saveexec_b32 s60, s21
	s_cbranch_execz .LBB30_91
; %bb.90:                               ;   in Loop: Header=BB30_4 Depth=1
	ds_load_b128 v[2:5], v177
	ds_load_b128 v[6:9], v177 offset:16
	s_wait_dscnt 0x0
	v_add_f64_e32 v[10:11], v[6:7], v[2:3]
	v_add_f64_e32 v[14:15], v[8:9], v[4:5]
	ds_load_b128 v[2:5], v177 offset:32
	ds_load_b128 v[6:9], v177 offset:48
	s_wait_dscnt 0x1
	v_add_f64_e32 v[2:3], v[10:11], v[2:3]
	v_add_f64_e32 v[4:5], v[14:15], v[4:5]
	s_wait_dscnt 0x0
	s_delay_alu instid0(VALU_DEP_2) | instskip(NEXT) | instid1(VALU_DEP_2)
	v_add_f64_e32 v[10:11], v[2:3], v[6:7]
	v_add_f64_e32 v[14:15], v[4:5], v[8:9]
	ds_load_b128 v[2:5], v177 offset:64
	ds_load_b128 v[6:9], v177 offset:80
	s_wait_dscnt 0x1
	v_add_f64_e32 v[2:3], v[10:11], v[2:3]
	v_add_f64_e32 v[4:5], v[14:15], v[4:5]
	s_wait_dscnt 0x0
	s_delay_alu instid0(VALU_DEP_2) | instskip(NEXT) | instid1(VALU_DEP_2)
	v_add_f64_e32 v[10:11], v[2:3], v[6:7]
	v_add_f64_e32 v[14:15], v[4:5], v[8:9]
	ds_load_b128 v[2:5], v177 offset:96
	ds_load_b128 v[6:9], v177 offset:112
	s_wait_dscnt 0x1
	v_add_f64_e32 v[2:3], v[10:11], v[2:3]
	v_add_f64_e32 v[10:11], v[14:15], v[4:5]
	s_wait_dscnt 0x0
	s_delay_alu instid0(VALU_DEP_2) | instskip(NEXT) | instid1(VALU_DEP_2)
	v_add_f64_e32 v[4:5], v[2:3], v[6:7]
	v_add_f64_e32 v[6:7], v[10:11], v[8:9]
.LBB30_91:                              ;   in Loop: Header=BB30_4 Depth=1
	s_wait_alu 0xfffe
	s_or_b32 exec_lo, exec_lo, s60
	v_add_co_u32 v42, vcc_lo, v12, s54
	s_wait_alu 0xfffd
	v_add_co_ci_u32_e64 v43, null, s55, v13, vcc_lo
	s_and_not1_b32 vcc_lo, exec_lo, s33
	s_mov_b32 s60, -1
	s_wait_loadcnt 0x0
	s_barrier_signal -1
	s_barrier_wait -1
	global_inv scope:SCOPE_SE
	s_wait_alu 0xfffe
	s_cbranch_vccnz .LBB30_93
; %bb.92:                               ;   in Loop: Header=BB30_4 Depth=1
	s_lshl_b64 s[60:61], s[36:37], 4
	s_wait_alu 0xfffe
	v_add_co_u32 v2, vcc_lo, v42, s60
	s_wait_alu 0xfffd
	v_add_co_ci_u32_e64 v3, null, s61, v43, vcc_lo
	s_mov_b32 s60, 0
	v_add_co_u32 v16, vcc_lo, v2, s44
	s_wait_alu 0xfffd
	v_add_co_ci_u32_e64 v17, null, s45, v3, vcc_lo
	s_delay_alu instid0(VALU_DEP_2) | instskip(SKIP_1) | instid1(VALU_DEP_2)
	v_add_co_u32 v20, vcc_lo, v16, s44
	s_wait_alu 0xfffd
	v_add_co_ci_u32_e64 v21, null, s45, v17, vcc_lo
	s_clause 0x3
	global_load_b128 v[8:11], v[42:43], off
	global_load_b128 v[12:15], v[2:3], off
	;; [unrolled: 1-line block ×4, first 2 shown]
	s_wait_loadcnt 0x3
	ds_store_2addr_b64 v165, v[8:9], v[10:11] offset1:1
	s_wait_loadcnt 0x2
	ds_store_2addr_b64 v170, v[12:13], v[14:15] offset1:1
	;; [unrolled: 2-line block ×4, first 2 shown]
.LBB30_93:                              ;   in Loop: Header=BB30_4 Depth=1
	s_wait_alu 0xfffe
	s_and_not1_b32 vcc_lo, exec_lo, s60
	s_wait_alu 0xfffe
	s_cbranch_vccnz .LBB30_105
; %bb.94:                               ;   in Loop: Header=BB30_4 Depth=1
	s_and_saveexec_b32 s60, s3
	s_wait_alu 0xfffe
	s_xor_b32 s60, exec_lo, s60
; %bb.95:                               ;   in Loop: Header=BB30_4 Depth=1
	v_dual_mov_b32 v0, v1 :: v_dual_mov_b32 v3, v1
	v_mov_b32_e32 v2, v1
	ds_store_b128 v165, v[0:3]
; %bb.96:                               ;   in Loop: Header=BB30_4 Depth=1
	s_wait_alu 0xfffe
	s_or_saveexec_b32 s60, s60
	v_add_co_u32 v0, vcc_lo, v42, v152
	s_wait_alu 0xfffd
	v_add_co_ci_u32_e64 v2, null, v43, v153, vcc_lo
	s_lshl_b64 s[62:63], s[34:35], 4
	s_wait_alu 0xfffe
	v_add_co_u32 v0, vcc_lo, v0, s62
	s_wait_alu 0xfffd
	v_add_co_ci_u32_e64 v2, null, s63, v2, vcc_lo
	s_delay_alu instid0(VALU_DEP_2) | instskip(SKIP_1) | instid1(VALU_DEP_2)
	v_add_co_u32 v0, vcc_lo, 0xfffffdf0, v0
	s_wait_alu 0xfffd
	v_add_co_ci_u32_e64 v2, null, -1, v2, vcc_lo
	s_delay_alu instid0(VALU_DEP_2) | instskip(NEXT) | instid1(VALU_DEP_2)
	v_cndmask_b32_e64 v8, v0, v42, s16
	v_cndmask_b32_e64 v9, v2, v43, s16
	s_xor_b32 exec_lo, exec_lo, s60
	s_cbranch_execnz .LBB30_130
; %bb.97:                               ;   in Loop: Header=BB30_4 Depth=1
	s_or_b32 exec_lo, exec_lo, s60
	s_and_saveexec_b32 s60, s4
	s_wait_alu 0xfffe
	s_xor_b32 s60, exec_lo, s60
	s_cbranch_execnz .LBB30_131
.LBB30_98:                              ;   in Loop: Header=BB30_4 Depth=1
	s_wait_alu 0xfffe
	s_and_not1_saveexec_b32 s60, s60
	s_cbranch_execnz .LBB30_132
.LBB30_99:                              ;   in Loop: Header=BB30_4 Depth=1
	s_wait_alu 0xfffe
	s_or_b32 exec_lo, exec_lo, s60
	s_and_saveexec_b32 s60, s5
	s_wait_alu 0xfffe
	s_xor_b32 s60, exec_lo, s60
	s_cbranch_execnz .LBB30_133
.LBB30_100:                             ;   in Loop: Header=BB30_4 Depth=1
	s_wait_alu 0xfffe
	s_and_not1_saveexec_b32 s60, s60
	s_cbranch_execnz .LBB30_134
.LBB30_101:                             ;   in Loop: Header=BB30_4 Depth=1
	s_wait_alu 0xfffe
	s_or_b32 exec_lo, exec_lo, s60
	s_and_saveexec_b32 s60, s6
	s_wait_alu 0xfffe
	s_xor_b32 s60, exec_lo, s60
	s_cbranch_execnz .LBB30_135
.LBB30_102:                             ;   in Loop: Header=BB30_4 Depth=1
	s_wait_alu 0xfffe
	s_and_not1_saveexec_b32 s60, s60
	s_cbranch_execz .LBB30_104
.LBB30_103:                             ;   in Loop: Header=BB30_4 Depth=1
	s_lshl_b64 s[62:63], s[42:43], 4
	s_wait_alu 0xfffe
	v_add_co_u32 v2, vcc_lo, v8, s62
	s_wait_alu 0xfffd
	v_add_co_ci_u32_e64 v3, null, s63, v9, vcc_lo
	global_load_b128 v[10:13], v[2:3], off
	s_wait_loadcnt 0x0
	ds_store_2addr_b64 v172, v[10:11], v[12:13] offset1:1
.LBB30_104:                             ;   in Loop: Header=BB30_4 Depth=1
	s_wait_alu 0xfffe
	s_or_b32 exec_lo, exec_lo, s60
	v_add_co_u32 v0, vcc_lo, v8, v195
	s_wait_alu 0xfffd
	v_add_co_ci_u32_e64 v2, null, 0, v9, vcc_lo
	s_lshl_b64 s[60:61], s[46:47], 4
	s_wait_alu 0xfffe
	v_add_co_u32 v0, vcc_lo, v0, s60
	s_wait_alu 0xfffd
	v_add_co_ci_u32_e64 v2, null, s61, v2, vcc_lo
	s_delay_alu instid0(VALU_DEP_2) | instskip(SKIP_1) | instid1(VALU_DEP_2)
	v_add_co_u32 v0, vcc_lo, 0x210, v0
	s_wait_alu 0xfffd
	v_add_co_ci_u32_e64 v2, null, 0, v2, vcc_lo
	s_delay_alu instid0(VALU_DEP_2) | instskip(NEXT) | instid1(VALU_DEP_2)
	v_cndmask_b32_e64 v42, v0, v42, s16
	v_cndmask_b32_e64 v43, v2, v43, s16
.LBB30_105:                             ;   in Loop: Header=BB30_4 Depth=1
	s_wait_loadcnt_dscnt 0x0
	s_barrier_signal -1
	s_barrier_wait -1
	global_inv scope:SCOPE_SE
	ds_load_b128 v[8:11], v193
	ds_load_b128 v[12:15], v165
	;; [unrolled: 1-line block ×3, first 2 shown]
	ds_load_b128 v[20:23], v190 offset:384
	ds_load_b128 v[24:27], v190 offset:128
	;; [unrolled: 1-line block ×3, first 2 shown]
	s_wait_dscnt 0x4
	v_mul_f64_e32 v[2:3], v[10:11], v[14:15]
	v_mul_f64_e32 v[14:15], v[8:9], v[14:15]
	s_wait_dscnt 0x1
	v_mul_f64_e32 v[32:33], v[26:27], v[18:19]
	v_mul_f64_e32 v[18:19], v[24:25], v[18:19]
	s_delay_alu instid0(VALU_DEP_4) | instskip(NEXT) | instid1(VALU_DEP_4)
	v_fma_f64 v[2:3], v[8:9], v[12:13], -v[2:3]
	v_fma_f64 v[34:35], v[10:11], v[12:13], v[14:15]
	ds_load_b128 v[8:11], v171
	ds_load_b128 v[12:15], v172
	v_fma_f64 v[24:25], v[24:25], v[16:17], -v[32:33]
	v_fma_f64 v[16:17], v[26:27], v[16:17], v[18:19]
	s_wait_dscnt 0x1
	v_mul_f64_e32 v[36:37], v[30:31], v[10:11]
	v_mul_f64_e32 v[10:11], v[28:29], v[10:11]
	s_wait_dscnt 0x0
	v_mul_f64_e32 v[26:27], v[22:23], v[14:15]
	v_mul_f64_e32 v[14:15], v[20:21], v[14:15]
	v_add_f64_e32 v[2:3], 0, v[2:3]
	v_add_f64_e32 v[18:19], 0, v[34:35]
	v_fma_f64 v[28:29], v[28:29], v[8:9], -v[36:37]
	v_fma_f64 v[8:9], v[30:31], v[8:9], v[10:11]
	s_delay_alu instid0(VALU_DEP_4) | instskip(NEXT) | instid1(VALU_DEP_4)
	v_add_f64_e32 v[2:3], v[2:3], v[24:25]
	v_add_f64_e32 v[10:11], v[18:19], v[16:17]
	v_fma_f64 v[16:17], v[20:21], v[12:13], -v[26:27]
	v_fma_f64 v[12:13], v[22:23], v[12:13], v[14:15]
	s_delay_alu instid0(VALU_DEP_4) | instskip(NEXT) | instid1(VALU_DEP_4)
	v_add_f64_e32 v[2:3], v[2:3], v[28:29]
	v_add_f64_e32 v[8:9], v[10:11], v[8:9]
	s_delay_alu instid0(VALU_DEP_2) | instskip(NEXT) | instid1(VALU_DEP_2)
	v_add_f64_e32 v[44:45], v[2:3], v[16:17]
	v_add_f64_e32 v[46:47], v[8:9], v[12:13]
	ds_load_b128 v[32:35], v181
	ds_load_b128 v[24:27], v181 offset:16
	ds_load_b128 v[12:15], v181 offset:32
	;; [unrolled: 1-line block ×7, first 2 shown]
	s_wait_loadcnt_dscnt 0x0
	s_barrier_signal -1
	s_barrier_wait -1
	global_inv scope:SCOPE_SE
	ds_store_b128 v180, v[44:47]
	s_wait_loadcnt_dscnt 0x0
	s_barrier_signal -1
	s_barrier_wait -1
	global_inv scope:SCOPE_SE
	s_and_saveexec_b32 s60, s21
	s_cbranch_execz .LBB30_107
; %bb.106:                              ;   in Loop: Header=BB30_4 Depth=1
	ds_load_b128 v[44:47], v177
	ds_load_b128 v[48:51], v177 offset:16
	s_wait_dscnt 0x1
	v_add_f64_e32 v[2:3], v[4:5], v[44:45]
	v_add_f64_e32 v[4:5], v[6:7], v[46:47]
	s_wait_dscnt 0x0
	s_delay_alu instid0(VALU_DEP_2) | instskip(NEXT) | instid1(VALU_DEP_2)
	v_add_f64_e32 v[6:7], v[2:3], v[48:49]
	v_add_f64_e32 v[48:49], v[4:5], v[50:51]
	ds_load_b128 v[2:5], v177 offset:32
	ds_load_b128 v[44:47], v177 offset:48
	s_wait_dscnt 0x1
	v_add_f64_e32 v[2:3], v[6:7], v[2:3]
	v_add_f64_e32 v[4:5], v[48:49], v[4:5]
	s_wait_dscnt 0x0
	s_delay_alu instid0(VALU_DEP_2) | instskip(NEXT) | instid1(VALU_DEP_2)
	v_add_f64_e32 v[6:7], v[2:3], v[44:45]
	v_add_f64_e32 v[48:49], v[4:5], v[46:47]
	ds_load_b128 v[2:5], v177 offset:64
	;; [unrolled: 9-line block ×3, first 2 shown]
	ds_load_b128 v[44:47], v177 offset:112
	s_wait_dscnt 0x1
	v_add_f64_e32 v[2:3], v[6:7], v[2:3]
	v_add_f64_e32 v[6:7], v[48:49], v[4:5]
	s_wait_dscnt 0x0
	s_delay_alu instid0(VALU_DEP_2) | instskip(NEXT) | instid1(VALU_DEP_2)
	v_add_f64_e32 v[4:5], v[2:3], v[44:45]
	v_add_f64_e32 v[6:7], v[6:7], v[46:47]
.LBB30_107:                             ;   in Loop: Header=BB30_4 Depth=1
	s_wait_alu 0xfffe
	s_or_b32 exec_lo, exec_lo, s60
	v_mul_f64_e32 v[2:3], v[34:35], v[38:39]
	v_mul_f64_e32 v[34:35], v[34:35], v[36:37]
	;; [unrolled: 1-line block ×4, first 2 shown]
	s_wait_loadcnt 0x0
	s_barrier_signal -1
	s_barrier_wait -1
	global_inv scope:SCOPE_SE
	v_fma_f64 v[2:3], v[32:33], v[36:37], v[2:3]
	v_fma_f64 v[32:33], v[32:33], v[38:39], -v[34:35]
	v_mul_f64_e32 v[34:35], v[14:15], v[22:23]
	v_mul_f64_e32 v[14:15], v[14:15], v[20:21]
	v_fma_f64 v[28:29], v[24:25], v[28:29], v[44:45]
	v_fma_f64 v[24:25], v[24:25], v[30:31], -v[26:27]
	v_mul_f64_e32 v[30:31], v[10:11], v[18:19]
	v_mul_f64_e32 v[10:11], v[10:11], v[16:17]
	v_add_f64_e32 v[2:3], 0, v[2:3]
	v_add_f64_e32 v[26:27], 0, v[32:33]
	v_fma_f64 v[20:21], v[12:13], v[20:21], v[34:35]
	v_fma_f64 v[12:13], v[12:13], v[22:23], -v[14:15]
	v_fma_f64 v[16:17], v[8:9], v[16:17], v[30:31]
	v_fma_f64 v[10:11], v[8:9], v[18:19], -v[10:11]
	v_add_f64_e32 v[2:3], v[2:3], v[28:29]
	v_add_f64_e32 v[14:15], v[26:27], v[24:25]
	s_delay_alu instid0(VALU_DEP_2) | instskip(NEXT) | instid1(VALU_DEP_2)
	v_add_f64_e32 v[2:3], v[2:3], v[20:21]
	v_add_f64_e32 v[12:13], v[14:15], v[12:13]
	s_delay_alu instid0(VALU_DEP_2) | instskip(NEXT) | instid1(VALU_DEP_2)
	v_add_f64_e32 v[8:9], v[2:3], v[16:17]
	v_add_f64_e32 v[10:11], v[12:13], v[10:11]
	ds_store_b128 v180, v[8:11]
	s_wait_loadcnt_dscnt 0x0
	s_barrier_signal -1
	s_barrier_wait -1
	global_inv scope:SCOPE_SE
	s_and_saveexec_b32 s60, s15
	s_cbranch_execz .LBB30_109
; %bb.108:                              ;   in Loop: Header=BB30_4 Depth=1
	ds_load_b128 v[8:11], v177
	ds_load_b128 v[12:15], v177 offset:16
	s_wait_dscnt 0x1
	v_add_f64_e32 v[2:3], v[4:5], v[8:9]
	v_add_f64_e32 v[4:5], v[6:7], v[10:11]
	s_wait_dscnt 0x0
	s_delay_alu instid0(VALU_DEP_2) | instskip(NEXT) | instid1(VALU_DEP_2)
	v_add_f64_e32 v[10:11], v[2:3], v[12:13]
	v_add_f64_e32 v[12:13], v[4:5], v[14:15]
	ds_load_b128 v[2:5], v177 offset:32
	ds_load_b128 v[6:9], v177 offset:48
	s_wait_dscnt 0x1
	v_add_f64_e32 v[2:3], v[10:11], v[2:3]
	v_add_f64_e32 v[4:5], v[12:13], v[4:5]
	s_wait_dscnt 0x0
	s_delay_alu instid0(VALU_DEP_2) | instskip(NEXT) | instid1(VALU_DEP_2)
	v_add_f64_e32 v[10:11], v[2:3], v[6:7]
	v_add_f64_e32 v[12:13], v[4:5], v[8:9]
	ds_load_b128 v[2:5], v177 offset:64
	;; [unrolled: 9-line block ×3, first 2 shown]
	ds_load_b128 v[6:9], v177 offset:112
	s_wait_dscnt 0x1
	v_add_f64_e32 v[2:3], v[10:11], v[2:3]
	v_add_f64_e32 v[10:11], v[12:13], v[4:5]
	s_wait_dscnt 0x0
	s_delay_alu instid0(VALU_DEP_2) | instskip(NEXT) | instid1(VALU_DEP_2)
	v_add_f64_e32 v[4:5], v[2:3], v[6:7]
	v_add_f64_e32 v[6:7], v[10:11], v[8:9]
.LBB30_109:                             ;   in Loop: Header=BB30_4 Depth=1
	s_wait_alu 0xfffe
	s_or_b32 exec_lo, exec_lo, s60
	s_mul_u64 s[60:61], s[26:27], s[28:29]
	s_and_not1_b32 vcc_lo, exec_lo, s64
	s_wait_alu 0xfffe
	s_lshl_b64 s[60:61], s[60:61], 4
	s_wait_loadcnt 0x0
	s_wait_alu 0xfffe
	s_add_nc_u64 s[60:61], s[38:39], s[60:61]
	s_barrier_signal -1
	s_barrier_wait -1
	global_inv scope:SCOPE_SE
	s_cbranch_vccnz .LBB30_116
; %bb.110:                              ;   in Loop: Header=BB30_4 Depth=1
	v_add_co_u32 v0, vcc_lo, v42, s58
	s_wait_alu 0xfffd
	v_add_co_ci_u32_e64 v2, null, s59, v43, vcc_lo
	s_lshl_b64 s[62:63], s[34:35], 4
	v_add_co_u32 v0, vcc_lo, v0, v154
	s_wait_alu 0xfffd
	v_add_co_ci_u32_e64 v2, null, v2, v155, vcc_lo
	s_mov_b32 s68, ttmp9
	v_add_co_u32 v0, vcc_lo, v0, v156
	s_wait_alu 0xfffd
	v_add_co_ci_u32_e64 v2, null, v2, v157, vcc_lo
	s_delay_alu instid0(VALU_DEP_2) | instskip(SKIP_1) | instid1(VALU_DEP_2)
	v_add_co_u32 v3, vcc_lo, v0, v158
	s_wait_alu 0xfffd
	v_add_co_ci_u32_e64 v8, null, v2, v159, vcc_lo
	s_wait_alu 0xfffe
	s_delay_alu instid0(VALU_DEP_2) | instskip(SKIP_1) | instid1(VALU_DEP_2)
	v_add_co_u32 v3, vcc_lo, v3, s62
	s_wait_alu 0xfffd
	v_add_co_ci_u32_e64 v8, null, s63, v8, vcc_lo
	v_add_co_u32 v0, vcc_lo, 0xfffffe00, v0
	s_wait_alu 0xfffd
	v_add_co_ci_u32_e64 v2, null, -1, v2, vcc_lo
	v_add_co_u32 v9, vcc_lo, 0xfffffdf0, v3
	s_wait_alu 0xfffd
	v_add_co_ci_u32_e64 v3, null, -1, v8, vcc_lo
	v_add_co_u32 v196, vcc_lo, v40, s56
	s_wait_alu 0xfffd
	v_add_co_ci_u32_e64 v197, null, s57, v41, vcc_lo
	s_delay_alu instid0(VALU_DEP_3)
	v_cndmask_b32_e64 v3, v2, v3, s1
	v_cndmask_b32_e64 v2, v0, v9, s1
	v_mov_b32_e32 v0, v162
	s_mov_b32 s62, 0
	s_branch .LBB30_112
.LBB30_111:                             ;   in Loop: Header=BB30_112 Depth=2
	s_wait_alu 0xfffe
	s_or_b32 exec_lo, exec_lo, s63
	v_mul_f64_e32 v[88:89], v[18:19], v[26:27]
	v_mul_f64_e32 v[26:27], v[16:17], v[26:27]
	v_mul_f64_e32 v[90:91], v[22:23], v[42:43]
	v_mul_f64_e32 v[42:43], v[20:21], v[42:43]
	v_add_co_u32 v2, vcc_lo, v2, s50
	v_add_nc_u32_e32 v0, 64, v0
	s_wait_alu 0xfffd
	v_add_co_ci_u32_e64 v3, null, s51, v3, vcc_lo
	s_add_co_i32 s68, s68, -1
	s_add_co_i32 s62, s62, s65
	s_cmp_eq_u32 s68, 0
	s_wait_loadcnt 0x0
	s_wait_storecnt 0x0
	s_barrier_signal -1
	s_barrier_wait -1
	global_inv scope:SCOPE_SE
	v_fma_f64 v[16:17], v[16:17], v[24:25], -v[88:89]
	v_fma_f64 v[18:19], v[18:19], v[24:25], v[26:27]
	v_mul_f64_e32 v[24:25], v[14:15], v[38:39]
	v_mul_f64_e32 v[26:27], v[12:13], v[38:39]
	v_fma_f64 v[20:21], v[20:21], v[40:41], -v[90:91]
	v_fma_f64 v[22:23], v[22:23], v[40:41], v[42:43]
	v_add_f64_e32 v[4:5], v[4:5], v[16:17]
	v_add_f64_e32 v[6:7], v[6:7], v[18:19]
	v_mul_f64_e32 v[16:17], v[10:11], v[34:35]
	v_mul_f64_e32 v[18:19], v[8:9], v[34:35]
	v_fma_f64 v[12:13], v[12:13], v[36:37], -v[24:25]
	v_fma_f64 v[14:15], v[14:15], v[36:37], v[26:27]
	v_add_f64_e32 v[4:5], v[4:5], v[20:21]
	v_add_f64_e32 v[6:7], v[6:7], v[22:23]
	;; [unrolled: 6-line block ×14, first 2 shown]
	v_fma_f64 v[8:9], v[132:133], v[140:141], -v[8:9]
	v_fma_f64 v[10:11], v[134:135], v[140:141], v[10:11]
	s_delay_alu instid0(VALU_DEP_4) | instskip(NEXT) | instid1(VALU_DEP_4)
	v_add_f64_e32 v[4:5], v[4:5], v[12:13]
	v_add_f64_e32 v[6:7], v[6:7], v[14:15]
	s_delay_alu instid0(VALU_DEP_2) | instskip(NEXT) | instid1(VALU_DEP_2)
	v_add_f64_e32 v[4:5], v[4:5], v[8:9]
	v_add_f64_e32 v[6:7], v[6:7], v[10:11]
	s_cbranch_scc1 .LBB30_116
.LBB30_112:                             ;   Parent Loop BB30_4 Depth=1
                                        ; =>  This Inner Loop Header: Depth=2
	s_and_saveexec_b32 s69, s0
	s_cbranch_execz .LBB30_114
; %bb.113:                              ;   in Loop: Header=BB30_112 Depth=2
	s_wait_alu 0xfffe
	s_ashr_i32 s63, s62, 31
	s_wait_alu 0xfffe
	s_lshl_b64 s[70:71], s[62:63], 4
	s_wait_alu 0xfffe
	v_add_co_u32 v8, vcc_lo, v196, s70
	s_wait_alu 0xfffd
	v_add_co_ci_u32_e64 v9, null, s71, v197, vcc_lo
	global_load_b128 v[8:11], v[8:9], off
	s_wait_loadcnt 0x0
	ds_store_2addr_b64 v182, v[8:9], v[10:11] offset1:1
.LBB30_114:                             ;   in Loop: Header=BB30_112 Depth=2
	s_or_b32 exec_lo, exec_lo, s69
	v_add_co_u32 v8, vcc_lo, v2, s48
	s_wait_alu 0xfffd
	v_add_co_ci_u32_e64 v9, null, s49, v3, vcc_lo
	s_wait_loadcnt_dscnt 0x0
	s_delay_alu instid0(VALU_DEP_2) | instskip(SKIP_1) | instid1(VALU_DEP_2)
	v_add_co_u32 v10, vcc_lo, v8, s48
	s_wait_alu 0xfffd
	v_add_co_ci_u32_e64 v11, null, s49, v9, vcc_lo
	s_barrier_signal -1
	s_barrier_wait -1
	global_inv scope:SCOPE_SE
	global_load_b128 v[16:19], v[2:3], off
	v_add_co_u32 v2, vcc_lo, v10, s48
	s_wait_alu 0xfffd
	v_add_co_ci_u32_e64 v3, null, s49, v11, vcc_lo
	s_clause 0x2
	global_load_b128 v[20:23], v[8:9], off
	global_load_b128 v[12:15], v[10:11], off
	;; [unrolled: 1-line block ×3, first 2 shown]
	ds_load_b128 v[28:31], v164
	ds_load_b128 v[24:27], v183
	v_add_co_u32 v2, vcc_lo, v2, s50
	s_wait_alu 0xfffd
	v_add_co_ci_u32_e64 v3, null, s51, v3, vcc_lo
	s_wait_loadcnt_dscnt 0x301
	v_mul_f64_e32 v[32:33], v[18:19], v[30:31]
	v_mul_f64_e32 v[34:35], v[18:19], v[28:29]
	s_wait_loadcnt 0x2
	v_mul_f64_e32 v[36:37], v[22:23], v[30:31]
	v_mul_f64_e32 v[38:39], v[22:23], v[28:29]
	s_wait_loadcnt 0x1
	;; [unrolled: 3-line block ×3, first 2 shown]
	v_mul_f64_e32 v[56:57], v[10:11], v[30:31]
	v_mul_f64_e32 v[58:59], v[10:11], v[28:29]
	v_fma_f64 v[44:45], v[16:17], v[28:29], v[32:33]
	v_fma_f64 v[46:47], v[16:17], v[30:31], -v[34:35]
	v_fma_f64 v[48:49], v[20:21], v[28:29], v[36:37]
	v_fma_f64 v[50:51], v[20:21], v[30:31], -v[38:39]
	;; [unrolled: 2-line block ×4, first 2 shown]
	v_add_co_u32 v56, vcc_lo, v2, s48
	s_wait_alu 0xfffd
	v_add_co_ci_u32_e64 v57, null, s49, v3, vcc_lo
	ds_load_b128 v[40:43], v183 offset:16
	ds_load_b128 v[36:39], v183 offset:32
	v_add_co_u32 v58, vcc_lo, v56, s48
	s_wait_alu 0xfffd
	v_add_co_ci_u32_e64 v59, null, s49, v57, vcc_lo
	ds_load_b128 v[32:35], v183 offset:48
	ds_store_b128 v184, v[44:47]
	ds_store_b128 v184, v[48:51] offset:1072
	ds_store_b128 v184, v[52:55] offset:2144
	;; [unrolled: 1-line block ×3, first 2 shown]
	s_wait_dscnt 0x0
	s_barrier_signal -1
	s_barrier_wait -1
	global_inv scope:SCOPE_SE
	ds_load_b128 v[104:107], v185
	ds_load_b128 v[100:103], v185 offset:16
	ds_load_b128 v[96:99], v185 offset:32
	;; [unrolled: 1-line block ×3, first 2 shown]
	s_wait_loadcnt_dscnt 0x0
	s_barrier_signal -1
	s_barrier_wait -1
	global_inv scope:SCOPE_SE
	global_load_b128 v[28:31], v[2:3], off
	v_add_co_u32 v2, vcc_lo, v58, s48
	s_wait_alu 0xfffd
	v_add_co_ci_u32_e64 v3, null, s49, v59, vcc_lo
	s_clause 0x2
	global_load_b128 v[52:55], v[56:57], off
	global_load_b128 v[48:51], v[58:59], off
	;; [unrolled: 1-line block ×3, first 2 shown]
	ds_load_b128 v[60:63], v164
	ds_load_b128 v[56:59], v183 offset:256
	v_add_co_u32 v2, vcc_lo, v2, s50
	s_wait_alu 0xfffd
	v_add_co_ci_u32_e64 v3, null, s51, v3, vcc_lo
	s_wait_loadcnt_dscnt 0x301
	v_mul_f64_e32 v[64:65], v[30:31], v[62:63]
	v_mul_f64_e32 v[66:67], v[30:31], v[60:61]
	s_wait_loadcnt 0x2
	v_mul_f64_e32 v[68:69], v[54:55], v[62:63]
	v_mul_f64_e32 v[70:71], v[54:55], v[60:61]
	s_wait_loadcnt 0x1
	;; [unrolled: 3-line block ×3, first 2 shown]
	v_mul_f64_e32 v[92:93], v[46:47], v[62:63]
	v_mul_f64_e32 v[94:95], v[46:47], v[60:61]
	v_fma_f64 v[76:77], v[28:29], v[60:61], v[64:65]
	v_fma_f64 v[78:79], v[28:29], v[62:63], -v[66:67]
	v_fma_f64 v[80:81], v[52:53], v[60:61], v[68:69]
	v_fma_f64 v[82:83], v[52:53], v[62:63], -v[70:71]
	;; [unrolled: 2-line block ×4, first 2 shown]
	v_add_co_u32 v92, vcc_lo, v2, s48
	s_wait_alu 0xfffd
	v_add_co_ci_u32_e64 v93, null, s49, v3, vcc_lo
	ds_load_b128 v[72:75], v183 offset:272
	ds_load_b128 v[68:71], v183 offset:288
	;; [unrolled: 1-line block ×3, first 2 shown]
	v_add_co_u32 v94, vcc_lo, v92, s48
	s_wait_alu 0xfffd
	v_add_co_ci_u32_e64 v95, null, s49, v93, vcc_lo
	ds_store_b128 v184, v[76:79]
	ds_store_b128 v184, v[80:83] offset:1072
	ds_store_b128 v184, v[84:87] offset:2144
	;; [unrolled: 1-line block ×3, first 2 shown]
	s_wait_dscnt 0x0
	s_barrier_signal -1
	s_barrier_wait -1
	global_inv scope:SCOPE_SE
	ds_load_b128 v[198:201], v185
	ds_load_b128 v[202:205], v185 offset:16
	ds_load_b128 v[206:209], v185 offset:32
	;; [unrolled: 1-line block ×3, first 2 shown]
	s_wait_loadcnt_dscnt 0x0
	s_barrier_signal -1
	s_barrier_wait -1
	global_inv scope:SCOPE_SE
	global_load_b128 v[60:63], v[2:3], off
	v_add_co_u32 v2, vcc_lo, v94, s48
	s_wait_alu 0xfffd
	v_add_co_ci_u32_e64 v3, null, s49, v95, vcc_lo
	s_clause 0x1
	global_load_b128 v[84:87], v[92:93], off
	global_load_b128 v[76:79], v[94:95], off
	;; [unrolled: 1-line block ×3, first 2 shown]
	ds_load_b128 v[108:111], v164
	ds_load_b128 v[92:95], v183 offset:512
	v_add_co_u32 v2, vcc_lo, v2, s50
	s_wait_alu 0xfffd
	v_add_co_ci_u32_e64 v3, null, s51, v3, vcc_lo
	v_add_f64_e32 v[198:199], 0, v[198:199]
	v_add_f64_e32 v[200:201], 0, v[200:201]
	s_delay_alu instid0(VALU_DEP_2) | instskip(NEXT) | instid1(VALU_DEP_2)
	v_add_f64_e32 v[198:199], v[198:199], v[202:203]
	v_add_f64_e32 v[200:201], v[200:201], v[204:205]
	s_delay_alu instid0(VALU_DEP_2) | instskip(NEXT) | instid1(VALU_DEP_2)
	v_add_f64_e32 v[198:199], v[198:199], v[206:207]
	v_add_f64_e32 v[200:201], v[200:201], v[208:209]
	s_wait_loadcnt_dscnt 0x301
	v_mul_f64_e32 v[112:113], v[62:63], v[110:111]
	v_mul_f64_e32 v[114:115], v[62:63], v[108:109]
	s_wait_loadcnt 0x2
	v_mul_f64_e32 v[116:117], v[86:87], v[110:111]
	v_mul_f64_e32 v[118:119], v[86:87], v[108:109]
	s_wait_loadcnt 0x1
	;; [unrolled: 3-line block ×3, first 2 shown]
	v_mul_f64_e32 v[136:137], v[82:83], v[110:111]
	v_mul_f64_e32 v[138:139], v[82:83], v[108:109]
	v_fma_f64 v[120:121], v[60:61], v[108:109], v[112:113]
	v_fma_f64 v[122:123], v[60:61], v[110:111], -v[114:115]
	v_fma_f64 v[128:129], v[84:85], v[108:109], v[116:117]
	v_fma_f64 v[130:131], v[84:85], v[110:111], -v[118:119]
	;; [unrolled: 2-line block ×4, first 2 shown]
	v_add_co_u32 v136, vcc_lo, v2, s48
	s_wait_alu 0xfffd
	v_add_co_ci_u32_e64 v137, null, s49, v3, vcc_lo
	ds_load_b128 v[124:127], v183 offset:528
	ds_load_b128 v[116:119], v183 offset:544
	;; [unrolled: 1-line block ×3, first 2 shown]
	v_add_co_u32 v138, vcc_lo, v136, s48
	s_wait_alu 0xfffd
	v_add_co_ci_u32_e64 v139, null, s49, v137, vcc_lo
	ds_store_b128 v184, v[120:123]
	ds_store_b128 v184, v[128:131] offset:1072
	ds_store_b128 v184, v[132:135] offset:2144
	;; [unrolled: 1-line block ×3, first 2 shown]
	s_wait_dscnt 0x0
	s_barrier_signal -1
	s_barrier_wait -1
	global_inv scope:SCOPE_SE
	ds_load_b128 v[214:217], v185
	ds_load_b128 v[218:221], v185 offset:16
	ds_load_b128 v[222:225], v185 offset:32
	;; [unrolled: 1-line block ×3, first 2 shown]
	s_wait_loadcnt_dscnt 0x0
	s_barrier_signal -1
	s_barrier_wait -1
	global_inv scope:SCOPE_SE
	global_load_b128 v[108:111], v[2:3], off
	v_add_co_u32 v2, vcc_lo, v138, s48
	s_wait_alu 0xfffd
	v_add_co_ci_u32_e64 v3, null, s49, v139, vcc_lo
	global_load_b128 v[128:131], v[136:137], off
	global_load_b128 v[120:123], v[138:139], off
	;; [unrolled: 1-line block ×3, first 2 shown]
	ds_load_b128 v[140:143], v164
	ds_load_b128 v[136:139], v183 offset:768
	v_add_f64_e32 v[214:215], 0, v[214:215]
	v_add_f64_e32 v[216:217], 0, v[216:217]
	s_delay_alu instid0(VALU_DEP_2) | instskip(NEXT) | instid1(VALU_DEP_2)
	v_add_f64_e32 v[202:203], v[214:215], v[218:219]
	v_add_f64_e32 v[204:205], v[216:217], v[220:221]
	s_delay_alu instid0(VALU_DEP_2) | instskip(NEXT) | instid1(VALU_DEP_2)
	v_add_f64_e32 v[202:203], v[202:203], v[222:223]
	v_add_f64_e32 v[204:205], v[204:205], v[224:225]
	s_wait_loadcnt_dscnt 0x301
	v_mul_f64_e32 v[144:145], v[110:111], v[142:143]
	v_mul_f64_e32 v[146:147], v[110:111], v[140:141]
	s_wait_loadcnt 0x2
	v_mul_f64_e32 v[148:149], v[130:131], v[142:143]
	v_mul_f64_e32 v[150:151], v[130:131], v[140:141]
	s_wait_loadcnt 0x1
	;; [unrolled: 3-line block ×3, first 2 shown]
	v_mul_f64_e32 v[242:243], v[134:135], v[142:143]
	v_mul_f64_e32 v[244:245], v[134:135], v[140:141]
	v_fma_f64 v[230:231], v[108:109], v[140:141], v[144:145]
	v_fma_f64 v[232:233], v[108:109], v[142:143], -v[146:147]
	v_fma_f64 v[234:235], v[128:129], v[140:141], v[148:149]
	v_fma_f64 v[236:237], v[128:129], v[142:143], -v[150:151]
	;; [unrolled: 2-line block ×4, first 2 shown]
	ds_load_b128 v[148:151], v183 offset:784
	ds_load_b128 v[144:147], v183 offset:800
	;; [unrolled: 1-line block ×3, first 2 shown]
	ds_store_b128 v184, v[230:233]
	ds_store_b128 v184, v[234:237] offset:1072
	ds_store_b128 v184, v[238:241] offset:2144
	;; [unrolled: 1-line block ×3, first 2 shown]
	s_wait_dscnt 0x0
	s_barrier_signal -1
	s_barrier_wait -1
	global_inv scope:SCOPE_SE
	ds_load_b128 v[230:233], v185
	v_add_f64_e32 v[234:235], 0, v[104:105]
	v_add_f64_e32 v[236:237], 0, v[106:107]
	ds_load_b128 v[104:107], v185 offset:16
	s_wait_dscnt 0x1
	v_add_f64_e32 v[230:231], 0, v[230:231]
	v_add_f64_e32 v[232:233], 0, v[232:233]
	;; [unrolled: 1-line block ×4, first 2 shown]
	ds_load_b128 v[100:103], v185 offset:32
	s_wait_dscnt 0x1
	v_add_f64_e32 v[104:105], v[230:231], v[104:105]
	v_add_f64_e32 v[106:107], v[232:233], v[106:107]
	;; [unrolled: 1-line block ×4, first 2 shown]
	ds_load_b128 v[96:99], v185 offset:48
	s_wait_loadcnt_dscnt 0x0
	s_barrier_signal -1
	s_barrier_wait -1
	global_inv scope:SCOPE_SE
	v_add_f64_e32 v[206:207], v[104:105], v[100:101]
	v_add_f64_e32 v[208:209], v[106:107], v[102:103]
	;; [unrolled: 1-line block ×10, first 2 shown]
	ds_store_b128 v194, v[88:91]
	ds_store_b128 v194, v[100:103] offset:256
	ds_store_b128 v194, v[104:107] offset:512
	;; [unrolled: 1-line block ×3, first 2 shown]
	s_wait_loadcnt_dscnt 0x0
	s_barrier_signal -1
	s_barrier_wait -1
	global_inv scope:SCOPE_SE
	s_and_saveexec_b32 s63, s22
	s_cbranch_execz .LBB30_111
; %bb.115:                              ;   in Loop: Header=BB30_112 Depth=2
	ds_load_b128 v[88:91], v186
	ds_load_b128 v[96:99], v186 offset:16
	s_wait_dscnt 0x0
	v_add_f64_e32 v[100:101], v[96:97], v[88:89]
	v_add_f64_e32 v[102:103], v[98:99], v[90:91]
	ds_load_b128 v[88:91], v186 offset:32
	ds_load_b128 v[96:99], v186 offset:48
	s_wait_dscnt 0x1
	v_add_f64_e32 v[88:89], v[100:101], v[88:89]
	v_add_f64_e32 v[90:91], v[102:103], v[90:91]
	s_wait_dscnt 0x0
	s_delay_alu instid0(VALU_DEP_2) | instskip(NEXT) | instid1(VALU_DEP_2)
	v_add_f64_e32 v[100:101], v[88:89], v[96:97]
	v_add_f64_e32 v[102:103], v[90:91], v[98:99]
	ds_load_b128 v[88:91], v186 offset:64
	ds_load_b128 v[96:99], v186 offset:80
	s_wait_dscnt 0x1
	v_add_f64_e32 v[88:89], v[100:101], v[88:89]
	v_add_f64_e32 v[90:91], v[102:103], v[90:91]
	s_wait_dscnt 0x0
	s_delay_alu instid0(VALU_DEP_2) | instskip(NEXT) | instid1(VALU_DEP_2)
	;; [unrolled: 9-line block ×6, first 2 shown]
	v_add_f64_e32 v[100:101], v[88:89], v[96:97]
	v_add_f64_e32 v[102:103], v[90:91], v[98:99]
	ds_load_b128 v[88:91], v186 offset:224
	ds_load_b128 v[96:99], v187
	s_wait_dscnt 0x1
	v_add_f64_e32 v[88:89], v[100:101], v[88:89]
	v_add_f64_e32 v[90:91], v[102:103], v[90:91]
	s_wait_dscnt 0x0
	s_delay_alu instid0(VALU_DEP_2) | instskip(NEXT) | instid1(VALU_DEP_2)
	v_add_f64_e32 v[88:89], v[88:89], v[96:97]
	v_add_f64_e32 v[90:91], v[90:91], v[98:99]
	v_lshlrev_b64_e32 v[96:97], 4, v[0:1]
	s_delay_alu instid0(VALU_DEP_1) | instskip(SKIP_1) | instid1(VALU_DEP_2)
	v_add_co_u32 v96, vcc_lo, s60, v96
	s_wait_alu 0xfffd
	v_add_co_ci_u32_e64 v97, null, s61, v97, vcc_lo
	global_store_b128 v[96:97], v[88:91], off
	s_branch .LBB30_111
.LBB30_116:                             ;   in Loop: Header=BB30_4 Depth=1
	ds_store_b128 v188, v[4:7]
	s_wait_loadcnt_dscnt 0x0
	s_barrier_signal -1
	s_barrier_wait -1
	global_inv scope:SCOPE_SE
	s_and_saveexec_b32 s62, s66
	s_cbranch_execz .LBB30_2
; %bb.117:                              ;   in Loop: Header=BB30_4 Depth=1
	ds_load_b128 v[2:5], v163 offset:1072
	ds_load_b128 v[6:9], v163
	s_wait_dscnt 0x0
	v_add_f64_e32 v[10:11], v[2:3], v[6:7]
	v_add_f64_e32 v[12:13], v[4:5], v[8:9]
	ds_load_b128 v[2:5], v163 offset:2144
	ds_load_b128 v[6:9], v163 offset:3216
	s_wait_dscnt 0x1
	v_add_f64_e32 v[2:3], v[10:11], v[2:3]
	v_add_f64_e32 v[4:5], v[12:13], v[4:5]
	s_wait_dscnt 0x0
	s_delay_alu instid0(VALU_DEP_2) | instskip(NEXT) | instid1(VALU_DEP_2)
	v_add_f64_e32 v[2:3], v[2:3], v[6:7]
	v_add_f64_e32 v[4:5], v[4:5], v[8:9]
	s_wait_alu 0xfffe
	v_add_co_u32 v6, vcc_lo, s60, v160
	s_wait_alu 0xfffd
	v_add_co_ci_u32_e64 v7, null, s61, v161, vcc_lo
	global_store_b128 v[6:7], v[2:5], off
	s_branch .LBB30_2
.LBB30_118:                             ;   in Loop: Header=BB30_4 Depth=1
	global_load_b128 v[10:13], v[4:5], off
	s_wait_loadcnt 0x0
	ds_store_2addr_b64 v165, v[10:11], v[12:13] offset1:1
	s_or_b32 exec_lo, exec_lo, s60
	s_and_saveexec_b32 s60, s4
	s_wait_alu 0xfffe
	s_xor_b32 s60, exec_lo, s60
	s_cbranch_execz .LBB30_18
.LBB30_119:                             ;   in Loop: Header=BB30_4 Depth=1
	v_dual_mov_b32 v0, v1 :: v_dual_mov_b32 v3, v1
	v_mov_b32_e32 v2, v1
	ds_store_b128 v170, v[0:3]
	s_wait_alu 0xfffe
	s_and_not1_saveexec_b32 s60, s60
	s_cbranch_execz .LBB30_19
.LBB30_120:                             ;   in Loop: Header=BB30_4 Depth=1
	s_lshl_b64 s[62:63], s[36:37], 4
	s_wait_alu 0xfffe
	v_add_co_u32 v2, vcc_lo, v4, s62
	s_wait_alu 0xfffd
	v_add_co_ci_u32_e64 v3, null, s63, v5, vcc_lo
	global_load_b128 v[10:13], v[2:3], off
	s_wait_loadcnt 0x0
	ds_store_2addr_b64 v170, v[10:11], v[12:13] offset1:1
	s_or_b32 exec_lo, exec_lo, s60
	s_and_saveexec_b32 s60, s5
	s_wait_alu 0xfffe
	s_xor_b32 s60, exec_lo, s60
	s_cbranch_execz .LBB30_20
.LBB30_121:                             ;   in Loop: Header=BB30_4 Depth=1
	v_dual_mov_b32 v0, v1 :: v_dual_mov_b32 v3, v1
	v_mov_b32_e32 v2, v1
	ds_store_b128 v171, v[0:3]
	s_wait_alu 0xfffe
	s_and_not1_saveexec_b32 s60, s60
	s_cbranch_execz .LBB30_21
.LBB30_122:                             ;   in Loop: Header=BB30_4 Depth=1
	s_lshl_b64 s[62:63], s[40:41], 4
	s_wait_alu 0xfffe
	v_add_co_u32 v2, vcc_lo, v4, s62
	s_wait_alu 0xfffd
	v_add_co_ci_u32_e64 v3, null, s63, v5, vcc_lo
	global_load_b128 v[10:13], v[2:3], off
	s_wait_loadcnt 0x0
	ds_store_2addr_b64 v171, v[10:11], v[12:13] offset1:1
	s_or_b32 exec_lo, exec_lo, s60
	s_and_saveexec_b32 s60, s6
	s_wait_alu 0xfffe
	s_xor_b32 s60, exec_lo, s60
	s_cbranch_execz .LBB30_22
.LBB30_123:                             ;   in Loop: Header=BB30_4 Depth=1
	v_dual_mov_b32 v0, v1 :: v_dual_mov_b32 v3, v1
	v_mov_b32_e32 v2, v1
	ds_store_b128 v172, v[0:3]
	s_wait_alu 0xfffe
	s_and_not1_saveexec_b32 s60, s60
	s_cbranch_execnz .LBB30_23
	s_branch .LBB30_24
.LBB30_124:                             ;   in Loop: Header=BB30_4 Depth=1
	global_load_b128 v[14:17], v[8:9], off
	s_wait_loadcnt 0x0
	ds_store_2addr_b64 v165, v[14:15], v[16:17] offset1:1
	s_or_b32 exec_lo, exec_lo, s60
	s_and_saveexec_b32 s60, s18
	s_wait_alu 0xfffe
	s_xor_b32 s60, exec_lo, s60
	s_cbranch_execz .LBB30_58
.LBB30_125:                             ;   in Loop: Header=BB30_4 Depth=1
	v_dual_mov_b32 v0, v1 :: v_dual_mov_b32 v3, v1
	v_mov_b32_e32 v2, v1
	ds_store_b128 v170, v[0:3]
	s_wait_alu 0xfffe
	s_and_not1_saveexec_b32 s60, s60
	s_cbranch_execz .LBB30_59
.LBB30_126:                             ;   in Loop: Header=BB30_4 Depth=1
	s_lshl_b64 s[62:63], s[36:37], 4
	s_wait_alu 0xfffe
	v_add_co_u32 v2, vcc_lo, v8, s62
	s_wait_alu 0xfffd
	v_add_co_ci_u32_e64 v3, null, s63, v9, vcc_lo
	global_load_b128 v[14:17], v[2:3], off
	s_wait_loadcnt 0x0
	ds_store_2addr_b64 v170, v[14:15], v[16:17] offset1:1
	s_or_b32 exec_lo, exec_lo, s60
	s_and_saveexec_b32 s60, s19
	s_wait_alu 0xfffe
	s_xor_b32 s60, exec_lo, s60
	s_cbranch_execz .LBB30_60
.LBB30_127:                             ;   in Loop: Header=BB30_4 Depth=1
	v_dual_mov_b32 v0, v1 :: v_dual_mov_b32 v3, v1
	v_mov_b32_e32 v2, v1
	ds_store_b128 v171, v[0:3]
	s_wait_alu 0xfffe
	s_and_not1_saveexec_b32 s60, s60
	s_cbranch_execz .LBB30_61
.LBB30_128:                             ;   in Loop: Header=BB30_4 Depth=1
	s_lshl_b64 s[62:63], s[40:41], 4
	s_wait_alu 0xfffe
	v_add_co_u32 v2, vcc_lo, v8, s62
	s_wait_alu 0xfffd
	v_add_co_ci_u32_e64 v3, null, s63, v9, vcc_lo
	global_load_b128 v[14:17], v[2:3], off
	s_wait_loadcnt 0x0
	ds_store_2addr_b64 v171, v[14:15], v[16:17] offset1:1
	s_or_b32 exec_lo, exec_lo, s60
	s_and_saveexec_b32 s60, s20
	s_wait_alu 0xfffe
	s_xor_b32 s60, exec_lo, s60
	s_cbranch_execz .LBB30_62
.LBB30_129:                             ;   in Loop: Header=BB30_4 Depth=1
	v_dual_mov_b32 v0, v1 :: v_dual_mov_b32 v3, v1
	v_mov_b32_e32 v2, v1
	ds_store_b128 v172, v[0:3]
	s_wait_alu 0xfffe
	s_and_not1_saveexec_b32 s60, s60
	s_cbranch_execnz .LBB30_63
	s_branch .LBB30_64
.LBB30_130:                             ;   in Loop: Header=BB30_4 Depth=1
	global_load_b128 v[10:13], v[8:9], off
	s_wait_loadcnt 0x0
	ds_store_2addr_b64 v165, v[10:11], v[12:13] offset1:1
	s_or_b32 exec_lo, exec_lo, s60
	s_and_saveexec_b32 s60, s4
	s_wait_alu 0xfffe
	s_xor_b32 s60, exec_lo, s60
	s_cbranch_execz .LBB30_98
.LBB30_131:                             ;   in Loop: Header=BB30_4 Depth=1
	v_dual_mov_b32 v0, v1 :: v_dual_mov_b32 v3, v1
	v_mov_b32_e32 v2, v1
	ds_store_b128 v170, v[0:3]
	s_wait_alu 0xfffe
	s_and_not1_saveexec_b32 s60, s60
	s_cbranch_execz .LBB30_99
.LBB30_132:                             ;   in Loop: Header=BB30_4 Depth=1
	s_lshl_b64 s[62:63], s[36:37], 4
	s_wait_alu 0xfffe
	v_add_co_u32 v2, vcc_lo, v8, s62
	s_wait_alu 0xfffd
	v_add_co_ci_u32_e64 v3, null, s63, v9, vcc_lo
	global_load_b128 v[10:13], v[2:3], off
	s_wait_loadcnt 0x0
	ds_store_2addr_b64 v170, v[10:11], v[12:13] offset1:1
	s_or_b32 exec_lo, exec_lo, s60
	s_and_saveexec_b32 s60, s5
	s_wait_alu 0xfffe
	s_xor_b32 s60, exec_lo, s60
	s_cbranch_execz .LBB30_100
.LBB30_133:                             ;   in Loop: Header=BB30_4 Depth=1
	v_dual_mov_b32 v0, v1 :: v_dual_mov_b32 v3, v1
	v_mov_b32_e32 v2, v1
	ds_store_b128 v171, v[0:3]
	s_wait_alu 0xfffe
	s_and_not1_saveexec_b32 s60, s60
	s_cbranch_execz .LBB30_101
.LBB30_134:                             ;   in Loop: Header=BB30_4 Depth=1
	s_lshl_b64 s[62:63], s[40:41], 4
	s_wait_alu 0xfffe
	v_add_co_u32 v2, vcc_lo, v8, s62
	s_wait_alu 0xfffd
	v_add_co_ci_u32_e64 v3, null, s63, v9, vcc_lo
	global_load_b128 v[10:13], v[2:3], off
	s_wait_loadcnt 0x0
	ds_store_2addr_b64 v171, v[10:11], v[12:13] offset1:1
	s_or_b32 exec_lo, exec_lo, s60
	s_and_saveexec_b32 s60, s6
	s_wait_alu 0xfffe
	s_xor_b32 s60, exec_lo, s60
	s_cbranch_execz .LBB30_102
.LBB30_135:                             ;   in Loop: Header=BB30_4 Depth=1
	v_dual_mov_b32 v0, v1 :: v_dual_mov_b32 v3, v1
	v_mov_b32_e32 v2, v1
	ds_store_b128 v172, v[0:3]
	s_wait_alu 0xfffe
	s_and_not1_saveexec_b32 s60, s60
	s_cbranch_execnz .LBB30_103
	s_branch .LBB30_104
.LBB30_136:
	s_nop 0
	s_sendmsg sendmsg(MSG_DEALLOC_VGPRS)
	s_endpgm
	.section	.rodata,"a",@progbits
	.p2align	6, 0x0
	.amdhsa_kernel _ZL26rocblas_hemvn_kernel_lowerILb1ELi64ELi4ELi33ELi32ELi16Ei19rocblas_complex_numIdEPKS1_PS1_EviT6_lT7_lT5_lS6_lS7_lS5_lT8_i
		.amdhsa_group_segment_fixed_size 19200
		.amdhsa_private_segment_fixed_size 0
		.amdhsa_kernarg_size 392
		.amdhsa_user_sgpr_count 2
		.amdhsa_user_sgpr_dispatch_ptr 0
		.amdhsa_user_sgpr_queue_ptr 0
		.amdhsa_user_sgpr_kernarg_segment_ptr 1
		.amdhsa_user_sgpr_dispatch_id 0
		.amdhsa_user_sgpr_private_segment_size 0
		.amdhsa_wavefront_size32 1
		.amdhsa_uses_dynamic_stack 0
		.amdhsa_enable_private_segment 0
		.amdhsa_system_sgpr_workgroup_id_x 1
		.amdhsa_system_sgpr_workgroup_id_y 0
		.amdhsa_system_sgpr_workgroup_id_z 1
		.amdhsa_system_sgpr_workgroup_info 0
		.amdhsa_system_vgpr_workitem_id 1
		.amdhsa_next_free_vgpr 246
		.amdhsa_next_free_sgpr 72
		.amdhsa_reserve_vcc 1
		.amdhsa_float_round_mode_32 0
		.amdhsa_float_round_mode_16_64 0
		.amdhsa_float_denorm_mode_32 3
		.amdhsa_float_denorm_mode_16_64 3
		.amdhsa_fp16_overflow 0
		.amdhsa_workgroup_processor_mode 1
		.amdhsa_memory_ordered 1
		.amdhsa_forward_progress 1
		.amdhsa_inst_pref_size 82
		.amdhsa_round_robin_scheduling 0
		.amdhsa_exception_fp_ieee_invalid_op 0
		.amdhsa_exception_fp_denorm_src 0
		.amdhsa_exception_fp_ieee_div_zero 0
		.amdhsa_exception_fp_ieee_overflow 0
		.amdhsa_exception_fp_ieee_underflow 0
		.amdhsa_exception_fp_ieee_inexact 0
		.amdhsa_exception_int_div_zero 0
	.end_amdhsa_kernel
	.section	.text._ZL26rocblas_hemvn_kernel_lowerILb1ELi64ELi4ELi33ELi32ELi16Ei19rocblas_complex_numIdEPKS1_PS1_EviT6_lT7_lT5_lS6_lS7_lS5_lT8_i,"axG",@progbits,_ZL26rocblas_hemvn_kernel_lowerILb1ELi64ELi4ELi33ELi32ELi16Ei19rocblas_complex_numIdEPKS1_PS1_EviT6_lT7_lT5_lS6_lS7_lS5_lT8_i,comdat
.Lfunc_end30:
	.size	_ZL26rocblas_hemvn_kernel_lowerILb1ELi64ELi4ELi33ELi32ELi16Ei19rocblas_complex_numIdEPKS1_PS1_EviT6_lT7_lT5_lS6_lS7_lS5_lT8_i, .Lfunc_end30-_ZL26rocblas_hemvn_kernel_lowerILb1ELi64ELi4ELi33ELi32ELi16Ei19rocblas_complex_numIdEPKS1_PS1_EviT6_lT7_lT5_lS6_lS7_lS5_lT8_i
                                        ; -- End function
	.set _ZL26rocblas_hemvn_kernel_lowerILb1ELi64ELi4ELi33ELi32ELi16Ei19rocblas_complex_numIdEPKS1_PS1_EviT6_lT7_lT5_lS6_lS7_lS5_lT8_i.num_vgpr, 246
	.set _ZL26rocblas_hemvn_kernel_lowerILb1ELi64ELi4ELi33ELi32ELi16Ei19rocblas_complex_numIdEPKS1_PS1_EviT6_lT7_lT5_lS6_lS7_lS5_lT8_i.num_agpr, 0
	.set _ZL26rocblas_hemvn_kernel_lowerILb1ELi64ELi4ELi33ELi32ELi16Ei19rocblas_complex_numIdEPKS1_PS1_EviT6_lT7_lT5_lS6_lS7_lS5_lT8_i.numbered_sgpr, 72
	.set _ZL26rocblas_hemvn_kernel_lowerILb1ELi64ELi4ELi33ELi32ELi16Ei19rocblas_complex_numIdEPKS1_PS1_EviT6_lT7_lT5_lS6_lS7_lS5_lT8_i.num_named_barrier, 0
	.set _ZL26rocblas_hemvn_kernel_lowerILb1ELi64ELi4ELi33ELi32ELi16Ei19rocblas_complex_numIdEPKS1_PS1_EviT6_lT7_lT5_lS6_lS7_lS5_lT8_i.private_seg_size, 0
	.set _ZL26rocblas_hemvn_kernel_lowerILb1ELi64ELi4ELi33ELi32ELi16Ei19rocblas_complex_numIdEPKS1_PS1_EviT6_lT7_lT5_lS6_lS7_lS5_lT8_i.uses_vcc, 1
	.set _ZL26rocblas_hemvn_kernel_lowerILb1ELi64ELi4ELi33ELi32ELi16Ei19rocblas_complex_numIdEPKS1_PS1_EviT6_lT7_lT5_lS6_lS7_lS5_lT8_i.uses_flat_scratch, 0
	.set _ZL26rocblas_hemvn_kernel_lowerILb1ELi64ELi4ELi33ELi32ELi16Ei19rocblas_complex_numIdEPKS1_PS1_EviT6_lT7_lT5_lS6_lS7_lS5_lT8_i.has_dyn_sized_stack, 0
	.set _ZL26rocblas_hemvn_kernel_lowerILb1ELi64ELi4ELi33ELi32ELi16Ei19rocblas_complex_numIdEPKS1_PS1_EviT6_lT7_lT5_lS6_lS7_lS5_lT8_i.has_recursion, 0
	.set _ZL26rocblas_hemvn_kernel_lowerILb1ELi64ELi4ELi33ELi32ELi16Ei19rocblas_complex_numIdEPKS1_PS1_EviT6_lT7_lT5_lS6_lS7_lS5_lT8_i.has_indirect_call, 0
	.section	.AMDGPU.csdata,"",@progbits
; Kernel info:
; codeLenInByte = 10428
; TotalNumSgprs: 74
; NumVgprs: 246
; ScratchSize: 0
; MemoryBound: 0
; FloatMode: 240
; IeeeMode: 1
; LDSByteSize: 19200 bytes/workgroup (compile time only)
; SGPRBlocks: 0
; VGPRBlocks: 30
; NumSGPRsForWavesPerEU: 74
; NumVGPRsForWavesPerEU: 246
; Occupancy: 5
; WaveLimiterHint : 1
; COMPUTE_PGM_RSRC2:SCRATCH_EN: 0
; COMPUTE_PGM_RSRC2:USER_SGPR: 2
; COMPUTE_PGM_RSRC2:TRAP_HANDLER: 0
; COMPUTE_PGM_RSRC2:TGID_X_EN: 1
; COMPUTE_PGM_RSRC2:TGID_Y_EN: 0
; COMPUTE_PGM_RSRC2:TGID_Z_EN: 1
; COMPUTE_PGM_RSRC2:TIDIG_COMP_CNT: 1
	.section	.text._ZL36rocblas_hemvn_kernel_lower_block_sumILi64Ei19rocblas_complex_numIdEPS1_S1_EviT1_lS3_lT2_lT0_lPT3_i,"axG",@progbits,_ZL36rocblas_hemvn_kernel_lower_block_sumILi64Ei19rocblas_complex_numIdEPS1_S1_EviT1_lS3_lT2_lT0_lPT3_i,comdat
	.globl	_ZL36rocblas_hemvn_kernel_lower_block_sumILi64Ei19rocblas_complex_numIdEPS1_S1_EviT1_lS3_lT2_lT0_lPT3_i ; -- Begin function _ZL36rocblas_hemvn_kernel_lower_block_sumILi64Ei19rocblas_complex_numIdEPS1_S1_EviT1_lS3_lT2_lT0_lPT3_i
	.p2align	8
	.type	_ZL36rocblas_hemvn_kernel_lower_block_sumILi64Ei19rocblas_complex_numIdEPS1_S1_EviT1_lS3_lT2_lT0_lPT3_i,@function
_ZL36rocblas_hemvn_kernel_lower_block_sumILi64Ei19rocblas_complex_numIdEPS1_S1_EviT1_lS3_lT2_lT0_lPT3_i: ; @_ZL36rocblas_hemvn_kernel_lower_block_sumILi64Ei19rocblas_complex_numIdEPS1_S1_EviT1_lS3_lT2_lT0_lPT3_i
; %bb.0:
	s_load_b32 s24, s[0:1], 0x60
	s_lshr_b32 s2, ttmp7, 16
	s_wait_kmcnt 0x0
	s_cmp_ge_u32 s2, s24
	s_cbranch_scc1 .LBB31_24
; %bb.1:
	s_clause 0x3
	s_load_b128 s[4:7], s[0:1], 0x8
	s_load_b128 s[8:11], s[0:1], 0x20
	s_load_b32 s28, s[0:1], 0x0
	s_load_b32 s3, s[0:1], 0x48
	v_lshl_or_b32 v0, ttmp9, 6, v0
	s_clause 0x1
	s_load_b128 s[20:23], s[0:1], 0x38
	s_load_b128 s[12:15], s[0:1], 0x50
	s_add_nc_u64 s[16:17], s[0:1], 0x68
	s_wait_kmcnt 0x0
	v_cmp_neq_f64_e64 s25, s[4:5], 0
	v_cmp_neq_f64_e64 s26, s[6:7], 0
	v_cmp_neq_f64_e64 s27, s[8:9], 1.0
	v_cmp_neq_f64_e64 s30, s[10:11], 0
	v_cmp_neq_f64_e64 s31, s[8:9], 0
	v_mad_co_u64_u32 v[1:2], null, s28, ttmp9, v[0:1]
	v_mul_lo_u32 v3, s3, v0
	v_cmp_gt_i32_e64 s0, s28, v0
	s_lshl_b64 s[18:19], s[22:23], 4
	s_ashr_i32 s29, s28, 31
	s_add_nc_u64 s[18:19], s[20:21], s[18:19]
	v_ashrrev_i32_e32 v2, 31, v1
	v_ashrrev_i32_e32 v4, 31, v3
	s_delay_alu instid0(VALU_DEP_2) | instskip(NEXT) | instid1(VALU_DEP_2)
	v_lshlrev_b64_e32 v[1:2], 4, v[1:2]
	v_lshlrev_b64_e32 v[4:5], 4, v[3:4]
	s_delay_alu instid0(VALU_DEP_2) | instskip(NEXT) | instid1(VALU_DEP_1)
	v_add_co_u32 v0, vcc_lo, s14, v1
	v_add_co_ci_u32_e64 v1, null, s15, v2, vcc_lo
	s_wait_alu 0xfffe
	s_lshl_b64 s[14:15], s[28:29], 4
	s_delay_alu instid0(VALU_DEP_2)
	v_add_co_u32 v6, vcc_lo, v0, 8
	s_wait_alu 0xfffd
	v_add_co_ci_u32_e64 v7, null, 0, v1, vcc_lo
	s_or_b32 s1, s25, s26
	s_wait_alu 0xfffe
	s_or_b32 s3, s1, s27
	s_xor_b32 s1, s1, -1
	s_wait_alu 0xfffe
	s_or_b32 s25, s3, s30
	s_or_b32 s3, s31, s30
	s_wait_alu 0xfffe
	v_cndmask_b32_e64 v10, 0, 1, s3
	s_xor_b32 s26, s3, -1
	s_mov_b32 s3, 0
	s_branch .LBB31_4
.LBB31_2:                               ;   in Loop: Header=BB31_4 Depth=1
	s_or_b32 exec_lo, exec_lo, s22
.LBB31_3:                               ;   in Loop: Header=BB31_4 Depth=1
	s_add_co_i32 s2, s2, 0x10000
	s_wait_alu 0xfffe
	s_cmp_lt_u32 s2, s24
	s_cbranch_scc0 .LBB31_24
.LBB31_4:                               ; =>This Loop Header: Depth=1
                                        ;     Child Loop BB31_15 Depth 2
	s_and_not1_b32 vcc_lo, exec_lo, s25
	s_wait_alu 0xfffe
	s_cbranch_vccnz .LBB31_3
; %bb.5:                                ;   in Loop: Header=BB31_4 Depth=1
	s_mul_u64 s[20:21], s[12:13], s[2:3]
	s_and_not1_b32 vcc_lo, exec_lo, s1
	s_wait_alu 0xfffe
	s_lshl_b64 s[20:21], s[20:21], 4
	s_wait_alu 0xfffe
	s_add_nc_u64 s[20:21], s[18:19], s[20:21]
	s_cbranch_vccnz .LBB31_10
; %bb.6:                                ;   in Loop: Header=BB31_4 Depth=1
	s_mov_b32 s22, 0
	s_mov_b32 s27, 0
                                        ; implicit-def: $vgpr2_vgpr3
	s_and_saveexec_b32 s23, s0
	s_cbranch_execz .LBB31_11
; %bb.7:                                ;   in Loop: Header=BB31_4 Depth=1
	v_cmp_ne_u32_e32 vcc_lo, 1, v10
	v_mov_b32_e32 v2, 0
	v_dual_mov_b32 v3, 0 :: v_dual_mov_b32 v0, 0
	v_mov_b32_e32 v1, 0
	s_cbranch_vccnz .LBB31_9
; %bb.8:                                ;   in Loop: Header=BB31_4 Depth=1
	s_wait_alu 0xfffe
	v_add_co_u32 v0, vcc_lo, s20, v4
	s_wait_alu 0xfffd
	v_add_co_ci_u32_e64 v1, null, s21, v5, vcc_lo
	global_load_b128 v[11:14], v[0:1], off
	s_wait_loadcnt 0x0
	v_mul_f64_e32 v[0:1], s[10:11], v[13:14]
	v_mul_f64_e32 v[2:3], s[8:9], v[13:14]
	s_delay_alu instid0(VALU_DEP_2) | instskip(NEXT) | instid1(VALU_DEP_2)
	v_fma_f64 v[0:1], s[8:9], v[11:12], -v[0:1]
	v_fma_f64 v[2:3], s[10:11], v[11:12], v[2:3]
.LBB31_9:                               ;   in Loop: Header=BB31_4 Depth=1
	s_mov_b32 s27, exec_lo
	s_or_b32 exec_lo, exec_lo, s23
	s_delay_alu instid0(SALU_CYCLE_1)
	s_and_b32 vcc_lo, exec_lo, s22
	s_wait_alu 0xfffe
	s_cbranch_vccnz .LBB31_12
	s_branch .LBB31_22
.LBB31_10:                              ;   in Loop: Header=BB31_4 Depth=1
	s_mov_b32 s27, 0
                                        ; implicit-def: $vgpr2_vgpr3
	s_cbranch_execnz .LBB31_12
	s_branch .LBB31_22
.LBB31_11:                              ;   in Loop: Header=BB31_4 Depth=1
	s_or_b32 exec_lo, exec_lo, s23
	s_delay_alu instid0(SALU_CYCLE_1)
	s_and_b32 vcc_lo, exec_lo, s22
	s_wait_alu 0xfffe
	s_cbranch_vccz .LBB31_22
.LBB31_12:                              ;   in Loop: Header=BB31_4 Depth=1
                                        ; implicit-def: $vgpr2_vgpr3
	s_and_saveexec_b32 s28, s0
	s_cbranch_execz .LBB31_21
; %bb.13:                               ;   in Loop: Header=BB31_4 Depth=1
	s_load_b32 s22, s[16:17], 0x0
	v_mov_b32_e32 v0, 0
	v_dual_mov_b32 v1, 0 :: v_dual_mov_b32 v2, 0
	v_mov_b32_e32 v3, 0
	s_wait_kmcnt 0x0
	s_cmp_ge_i32 ttmp9, s22
	s_cbranch_scc1 .LBB31_16
; %bb.14:                               ;   in Loop: Header=BB31_4 Depth=1
	s_mov_b32 s23, s3
	v_mov_b32_e32 v2, 0
	s_mul_u64 s[30:31], s[14:15], s[22:23]
	s_mov_b32 s29, ttmp9
	s_wait_alu 0xfffe
	v_mad_co_u64_u32 v[8:9], null, s30, s2, v[6:7]
	s_delay_alu instid0(VALU_DEP_1) | instskip(NEXT) | instid1(VALU_DEP_1)
	v_dual_mov_b32 v3, 0 :: v_dual_mov_b32 v0, v9
	v_mad_co_u64_u32 v[11:12], null, s31, s2, v[0:1]
	v_mov_b32_e32 v0, 0
	v_mov_b32_e32 v1, 0
	s_delay_alu instid0(VALU_DEP_3)
	v_mov_b32_e32 v9, v11
.LBB31_15:                              ;   Parent Loop BB31_4 Depth=1
                                        ; =>  This Inner Loop Header: Depth=2
	global_load_b128 v[11:14], v[8:9], off offset:-8
	v_add_co_u32 v8, vcc_lo, v8, s14
	s_wait_alu 0xfffd
	v_add_co_ci_u32_e64 v9, null, s15, v9, vcc_lo
	s_wait_alu 0xfffe
	s_add_co_i32 s29, s29, 1
	s_wait_alu 0xfffe
	s_cmp_ge_i32 s29, s22
	s_wait_loadcnt 0x0
	v_add_f64_e32 v[2:3], v[2:3], v[11:12]
	v_add_f64_e32 v[0:1], v[0:1], v[13:14]
	s_cbranch_scc0 .LBB31_15
.LBB31_16:                              ;   in Loop: Header=BB31_4 Depth=1
	s_delay_alu instid0(VALU_DEP_1) | instskip(SKIP_3) | instid1(VALU_DEP_2)
	v_mul_f64_e32 v[8:9], s[6:7], v[0:1]
	v_mul_f64_e32 v[11:12], s[4:5], v[0:1]
	s_and_b32 vcc_lo, exec_lo, s26
	s_mov_b32 s22, -1
	v_fma_f64 v[0:1], s[4:5], v[2:3], -v[8:9]
	s_delay_alu instid0(VALU_DEP_2)
	v_fma_f64 v[2:3], s[6:7], v[2:3], v[11:12]
	s_wait_alu 0xfffe
	s_cbranch_vccz .LBB31_18
; %bb.17:                               ;   in Loop: Header=BB31_4 Depth=1
	s_mov_b32 s22, 0
.LBB31_18:                              ;   in Loop: Header=BB31_4 Depth=1
	s_delay_alu instid0(SALU_CYCLE_1)
	s_and_not1_b32 vcc_lo, exec_lo, s22
	s_wait_alu 0xfffe
	s_cbranch_vccnz .LBB31_20
; %bb.19:                               ;   in Loop: Header=BB31_4 Depth=1
	v_add_co_u32 v8, vcc_lo, s20, v4
	s_wait_alu 0xfffd
	v_add_co_ci_u32_e64 v9, null, s21, v5, vcc_lo
	global_load_b128 v[11:14], v[8:9], off
	s_wait_loadcnt 0x0
	v_mul_f64_e32 v[8:9], s[10:11], v[13:14]
	v_mul_f64_e32 v[13:14], s[8:9], v[13:14]
	s_delay_alu instid0(VALU_DEP_2) | instskip(NEXT) | instid1(VALU_DEP_2)
	v_fma_f64 v[8:9], s[8:9], v[11:12], -v[8:9]
	v_fma_f64 v[11:12], s[10:11], v[11:12], v[13:14]
	s_delay_alu instid0(VALU_DEP_2) | instskip(NEXT) | instid1(VALU_DEP_2)
	v_add_f64_e32 v[0:1], v[0:1], v[8:9]
	v_add_f64_e32 v[2:3], v[2:3], v[11:12]
.LBB31_20:                              ;   in Loop: Header=BB31_4 Depth=1
	s_or_b32 s27, s27, exec_lo
.LBB31_21:                              ;   in Loop: Header=BB31_4 Depth=1
	s_wait_alu 0xfffe
	s_or_b32 exec_lo, exec_lo, s28
.LBB31_22:                              ;   in Loop: Header=BB31_4 Depth=1
	s_and_saveexec_b32 s22, s27
	s_cbranch_execz .LBB31_2
; %bb.23:                               ;   in Loop: Header=BB31_4 Depth=1
	s_wait_alu 0xfffe
	v_add_co_u32 v8, vcc_lo, s20, v4
	s_wait_alu 0xfffd
	v_add_co_ci_u32_e64 v9, null, s21, v5, vcc_lo
	global_store_b128 v[8:9], v[0:3], off
	s_branch .LBB31_2
.LBB31_24:
	s_endpgm
	.section	.rodata,"a",@progbits
	.p2align	6, 0x0
	.amdhsa_kernel _ZL36rocblas_hemvn_kernel_lower_block_sumILi64Ei19rocblas_complex_numIdEPS1_S1_EviT1_lS3_lT2_lT0_lPT3_i
		.amdhsa_group_segment_fixed_size 0
		.amdhsa_private_segment_fixed_size 0
		.amdhsa_kernarg_size 360
		.amdhsa_user_sgpr_count 2
		.amdhsa_user_sgpr_dispatch_ptr 0
		.amdhsa_user_sgpr_queue_ptr 0
		.amdhsa_user_sgpr_kernarg_segment_ptr 1
		.amdhsa_user_sgpr_dispatch_id 0
		.amdhsa_user_sgpr_private_segment_size 0
		.amdhsa_wavefront_size32 1
		.amdhsa_uses_dynamic_stack 0
		.amdhsa_enable_private_segment 0
		.amdhsa_system_sgpr_workgroup_id_x 1
		.amdhsa_system_sgpr_workgroup_id_y 0
		.amdhsa_system_sgpr_workgroup_id_z 1
		.amdhsa_system_sgpr_workgroup_info 0
		.amdhsa_system_vgpr_workitem_id 0
		.amdhsa_next_free_vgpr 15
		.amdhsa_next_free_sgpr 32
		.amdhsa_reserve_vcc 1
		.amdhsa_float_round_mode_32 0
		.amdhsa_float_round_mode_16_64 0
		.amdhsa_float_denorm_mode_32 3
		.amdhsa_float_denorm_mode_16_64 3
		.amdhsa_fp16_overflow 0
		.amdhsa_workgroup_processor_mode 1
		.amdhsa_memory_ordered 1
		.amdhsa_forward_progress 1
		.amdhsa_inst_pref_size 8
		.amdhsa_round_robin_scheduling 0
		.amdhsa_exception_fp_ieee_invalid_op 0
		.amdhsa_exception_fp_denorm_src 0
		.amdhsa_exception_fp_ieee_div_zero 0
		.amdhsa_exception_fp_ieee_overflow 0
		.amdhsa_exception_fp_ieee_underflow 0
		.amdhsa_exception_fp_ieee_inexact 0
		.amdhsa_exception_int_div_zero 0
	.end_amdhsa_kernel
	.section	.text._ZL36rocblas_hemvn_kernel_lower_block_sumILi64Ei19rocblas_complex_numIdEPS1_S1_EviT1_lS3_lT2_lT0_lPT3_i,"axG",@progbits,_ZL36rocblas_hemvn_kernel_lower_block_sumILi64Ei19rocblas_complex_numIdEPS1_S1_EviT1_lS3_lT2_lT0_lPT3_i,comdat
.Lfunc_end31:
	.size	_ZL36rocblas_hemvn_kernel_lower_block_sumILi64Ei19rocblas_complex_numIdEPS1_S1_EviT1_lS3_lT2_lT0_lPT3_i, .Lfunc_end31-_ZL36rocblas_hemvn_kernel_lower_block_sumILi64Ei19rocblas_complex_numIdEPS1_S1_EviT1_lS3_lT2_lT0_lPT3_i
                                        ; -- End function
	.set _ZL36rocblas_hemvn_kernel_lower_block_sumILi64Ei19rocblas_complex_numIdEPS1_S1_EviT1_lS3_lT2_lT0_lPT3_i.num_vgpr, 15
	.set _ZL36rocblas_hemvn_kernel_lower_block_sumILi64Ei19rocblas_complex_numIdEPS1_S1_EviT1_lS3_lT2_lT0_lPT3_i.num_agpr, 0
	.set _ZL36rocblas_hemvn_kernel_lower_block_sumILi64Ei19rocblas_complex_numIdEPS1_S1_EviT1_lS3_lT2_lT0_lPT3_i.numbered_sgpr, 32
	.set _ZL36rocblas_hemvn_kernel_lower_block_sumILi64Ei19rocblas_complex_numIdEPS1_S1_EviT1_lS3_lT2_lT0_lPT3_i.num_named_barrier, 0
	.set _ZL36rocblas_hemvn_kernel_lower_block_sumILi64Ei19rocblas_complex_numIdEPS1_S1_EviT1_lS3_lT2_lT0_lPT3_i.private_seg_size, 0
	.set _ZL36rocblas_hemvn_kernel_lower_block_sumILi64Ei19rocblas_complex_numIdEPS1_S1_EviT1_lS3_lT2_lT0_lPT3_i.uses_vcc, 1
	.set _ZL36rocblas_hemvn_kernel_lower_block_sumILi64Ei19rocblas_complex_numIdEPS1_S1_EviT1_lS3_lT2_lT0_lPT3_i.uses_flat_scratch, 0
	.set _ZL36rocblas_hemvn_kernel_lower_block_sumILi64Ei19rocblas_complex_numIdEPS1_S1_EviT1_lS3_lT2_lT0_lPT3_i.has_dyn_sized_stack, 0
	.set _ZL36rocblas_hemvn_kernel_lower_block_sumILi64Ei19rocblas_complex_numIdEPS1_S1_EviT1_lS3_lT2_lT0_lPT3_i.has_recursion, 0
	.set _ZL36rocblas_hemvn_kernel_lower_block_sumILi64Ei19rocblas_complex_numIdEPS1_S1_EviT1_lS3_lT2_lT0_lPT3_i.has_indirect_call, 0
	.section	.AMDGPU.csdata,"",@progbits
; Kernel info:
; codeLenInByte = 912
; TotalNumSgprs: 34
; NumVgprs: 15
; ScratchSize: 0
; MemoryBound: 0
; FloatMode: 240
; IeeeMode: 1
; LDSByteSize: 0 bytes/workgroup (compile time only)
; SGPRBlocks: 0
; VGPRBlocks: 1
; NumSGPRsForWavesPerEU: 34
; NumVGPRsForWavesPerEU: 15
; Occupancy: 16
; WaveLimiterHint : 1
; COMPUTE_PGM_RSRC2:SCRATCH_EN: 0
; COMPUTE_PGM_RSRC2:USER_SGPR: 2
; COMPUTE_PGM_RSRC2:TRAP_HANDLER: 0
; COMPUTE_PGM_RSRC2:TGID_X_EN: 1
; COMPUTE_PGM_RSRC2:TGID_Y_EN: 0
; COMPUTE_PGM_RSRC2:TGID_Z_EN: 1
; COMPUTE_PGM_RSRC2:TIDIG_COMP_CNT: 0
	.section	.text._ZL26rocblas_hemvn_kernel_upperILb1ELi64ELi4ELi33ELi32ELi16ElPK19rocblas_complex_numIfEPKS3_PS1_EviT6_lT7_lT5_lS8_lS9_lS7_lT8_i,"axG",@progbits,_ZL26rocblas_hemvn_kernel_upperILb1ELi64ELi4ELi33ELi32ELi16ElPK19rocblas_complex_numIfEPKS3_PS1_EviT6_lT7_lT5_lS8_lS9_lS7_lT8_i,comdat
	.globl	_ZL26rocblas_hemvn_kernel_upperILb1ELi64ELi4ELi33ELi32ELi16ElPK19rocblas_complex_numIfEPKS3_PS1_EviT6_lT7_lT5_lS8_lS9_lS7_lT8_i ; -- Begin function _ZL26rocblas_hemvn_kernel_upperILb1ELi64ELi4ELi33ELi32ELi16ElPK19rocblas_complex_numIfEPKS3_PS1_EviT6_lT7_lT5_lS8_lS9_lS7_lT8_i
	.p2align	8
	.type	_ZL26rocblas_hemvn_kernel_upperILb1ELi64ELi4ELi33ELi32ELi16ElPK19rocblas_complex_numIfEPKS3_PS1_EviT6_lT7_lT5_lS8_lS9_lS7_lT8_i,@function
_ZL26rocblas_hemvn_kernel_upperILb1ELi64ELi4ELi33ELi32ELi16ElPK19rocblas_complex_numIfEPKS3_PS1_EviT6_lT7_lT5_lS8_lS9_lS7_lT8_i: ; @_ZL26rocblas_hemvn_kernel_upperILb1ELi64ELi4ELi33ELi32ELi16ElPK19rocblas_complex_numIfEPKS3_PS1_EviT6_lT7_lT5_lS8_lS9_lS7_lT8_i
; %bb.0:
	s_clause 0x1
	s_load_b64 s[2:3], s[0:1], 0x84
	s_load_b32 s23, s[0:1], 0x70
	s_lshr_b32 s34, ttmp7, 16
	s_wait_kmcnt 0x0
	s_lshr_b32 s4, s2, 16
	s_and_b32 s2, s2, 0xffff
	s_and_b32 s3, s3, 0xffff
	s_mul_i32 s2, s4, s2
	s_delay_alu instid0(SALU_CYCLE_1) | instskip(NEXT) | instid1(SALU_CYCLE_1)
	s_mul_i32 s2, s2, s3
	s_cmp_lg_u32 s2, 0x100
	s_cselect_b32 s2, -1, 0
	s_cmp_ge_u32 s34, s23
	s_cselect_b32 s3, -1, 0
	s_delay_alu instid0(SALU_CYCLE_1) | instskip(NEXT) | instid1(SALU_CYCLE_1)
	s_or_b32 s2, s2, s3
	s_and_b32 vcc_lo, exec_lo, s2
	s_cbranch_vccnz .LBB32_188
; %bb.1:
	s_clause 0x1
	s_load_b32 s2, s[0:1], 0x0
	s_load_b64 s[44:45], s[0:1], 0x48
	s_add_nc_u64 s[6:7], s[0:1], 0x78
	s_load_b32 s46, s[6:7], 0x0
	s_clause 0x1
	s_load_b64 s[66:67], s[0:1], 0x28
	s_load_b128 s[36:39], s[0:1], 0x38
	v_and_b32_e32 v100, 0x3ff, v0
	v_bfe_u32 v13, v0, 10, 10
	s_lshl_b32 s64, ttmp9, 6
	v_dual_mov_b32 v56, 0 :: v_dual_and_b32 v3, 31, v0
	s_delay_alu instid0(VALU_DEP_3) | instskip(NEXT) | instid1(VALU_DEP_3)
	v_add_nc_u32_e32 v1, s64, v100
	v_lshl_add_u32 v11, v13, 6, v100
	s_load_b256 s[24:31], s[0:1], 0x8
	s_delay_alu instid0(VALU_DEP_3)
	v_mov_b32_e32 v4, v56
	s_clause 0x1
	s_load_b64 s[6:7], s[0:1], 0x68
	s_load_b128 s[40:43], s[0:1], 0x58
	v_lshrrev_b32_e32 v12, 5, v11
	v_ashrrev_i32_e32 v2, 31, v1
	v_lshlrev_b32_e32 v20, 3, v3
	v_and_b32_e32 v18, 0x7fe0, v11
	s_wait_kmcnt 0x0
	s_ashr_i32 s3, s2, 31
	v_lshlrev_b32_e32 v16, 2, v12
	s_lshr_b32 s0, s3, 26
	v_mad_co_u64_u32 v[7:8], null, s66, v12, v[3:4]
	s_add_co_i32 s0, s2, s0
	s_add_co_i32 s1, s46, -1
	s_and_not1_b32 s0, s0, 63
	v_mul_lo_u32 v9, s44, v2
	v_mul_lo_u32 v10, s45, v1
	s_sub_co_i32 s33, s2, s0
	v_mad_co_u64_u32 v[5:6], null, s44, v1, 0
	s_cmp_eq_u32 ttmp9, s1
	v_dual_mov_b32 v4, v8 :: v_dual_lshlrev_b32 v101, 3, v100
	s_cselect_b32 s48, s33, 0
	v_lshl_or_b32 v17, v3, 8, v20
	v_or_b32_e32 v19, 1, v16
	s_cmp_lg_u32 s48, 0
	s_mov_b32 s35, 0
	s_cselect_b32 s76, -1, 0
	s_cmp_eq_u32 s48, 0
	v_add3_u32 v6, v6, v9, v10
	v_mad_co_u64_u32 v[8:9], null, s67, v12, v[4:5]
	v_add_nc_u32_e32 v4, 8, v12
	v_add_nc_u32_e32 v104, v17, v18
	v_or_b32_e32 v17, 2, v16
	v_mul_u32_u24_e32 v23, 0x108, v19
	v_cmp_eq_u32_e64 s9, v19, v3
	v_mul_u32_u24_e32 v19, 33, v3
	s_mov_b32 s4, ttmp9
	s_cselect_b32 s1, -1, 0
	s_ashr_i32 s5, ttmp9, 31
	s_mov_b32 s47, s35
	s_mul_u64 s[4:5], s[2:3], s[4:5]
	s_mul_u64 s[50:51], s[46:47], s[2:3]
	v_sub_co_u32 v9, s2, 0, v3
	s_sub_co_i32 s19, s48, 32
	v_sub_co_ci_u32_e64 v10, null, 0, 0, s2
	v_cmp_le_i32_e64 s2, s48, v12
	v_add_nc_u32_e32 v14, 16, v12
	v_mul_u32_u24_e32 v21, 0x108, v12
	v_cmp_le_i32_e64 s3, s48, v4
	v_add_nc_u32_e32 v15, 24, v12
	v_mul_u32_u24_e32 v22, 0x420, v12
	v_cmp_le_u32_e64 s10, v17, v3
	v_cmp_eq_u32_e64 s11, v17, v3
	v_lshlrev_b32_e32 v17, 3, v12
	v_lshlrev_b32_e32 v107, 3, v19
	v_cmp_le_i32_e64 s16, s19, v12
	v_cmp_le_i32_e64 s17, s19, v4
	v_cmp_eq_u32_e64 s20, 1, v12
	v_mul_i32_i24_e32 v111, 0xffffffe8, v12
	v_lshrrev_b32_e32 v4, 4, v11
	v_and_b32_e32 v12, 15, v0
	v_lshlrev_b32_e32 v19, 5, v13
	v_and_b32_e32 v0, 48, v0
	v_cmp_gt_i32_e32 vcc_lo, s48, v100
	s_lshl_b64 s[4:5], s[4:5], 3
	v_cmp_le_i32_e64 s18, s19, v14
	s_add_nc_u64 s[52:53], s[6:7], s[4:5]
	v_cmp_le_i32_e64 s4, s48, v14
	v_cmp_le_i32_e64 s5, s48, v15
	;; [unrolled: 1-line block ×3, first 2 shown]
	v_lshlrev_b32_e32 v14, 5, v4
	v_lshlrev_b32_e32 v0, 3, v0
	v_or_b32_e32 v15, 0x78, v101
	v_mul_i32_i24_e32 v24, 0xffffffe8, v4
	v_add_nc_u32_e32 v4, 0x110, v19
	s_or_b32 s22, s1, vcc_lo
	s_add_co_i32 s21, ttmp9, 1
	s_xor_b32 s77, s22, -1
	s_ashr_i32 s65, s64, 31
	s_ashr_i32 s49, s48, 31
	s_lshl_b64 s[54:55], s[66:67], 6
	s_lshl_b64 s[56:57], s[66:67], 7
	;; [unrolled: 1-line block ×3, first 2 shown]
	v_cmp_gt_u32_e64 s14, 32, v11
	s_cmp_lt_u32 s21, s46
	v_mad_u32_u24 v116, 0x218, v12, v14
	v_cmp_gt_u32_e64 s21, 64, v11
	v_mad_u32_u24 v117, 0x218, v12, v0
	v_mad_u32_u24 v118, 0x218, v12, v15
	v_mad_co_u64_u32 v[11:12], null, s66, v4, 0
	v_add_nc_u32_e32 v14, 0x298, v19
	v_lshlrev_b64_e32 v[58:59], 3, v[7:8]
	v_cmp_eq_u32_e64 s0, 0, v13
	v_lshlrev_b32_e32 v112, 2, v13
	v_mad_u32_u24 v115, 0x860, v13, v101
	v_mad_co_u64_u32 v[7:8], null, s66, v14, 0
	v_mov_b32_e32 v0, v12
	v_mad_u32_u24 v134, 0x218, v13, v101
	v_add_nc_u32_e32 v105, 8, v104
	v_cmp_le_u32_e64 s6, v16, v3
	v_cmp_eq_u32_e64 s7, v16, v3
	v_mad_co_u64_u32 v[12:13], null, s67, v4, v[0:1]
	v_mov_b32_e32 v0, v8
	v_add_nc_u32_e32 v8, 0x108, v19
	v_sub_co_u32 v4, vcc_lo, v11, v58
	v_cmp_ge_u32_e64 s8, v16, v3
	v_or_b32_e32 v16, 3, v16
	v_sub_co_ci_u32_e64 v136, null, v12, v59, vcc_lo
	v_mad_co_u64_u32 v[11:12], null, s67, v14, v[0:1]
	v_mad_co_u64_u32 v[12:13], null, s66, v8, 0
	v_or_b32_e32 v137, 4, v4
	v_sub_co_u32 v4, vcc_lo, v7, v58
	v_cmp_le_u32_e64 s12, v16, v3
	v_cmp_eq_u32_e64 s13, v16, v3
	v_or_b32_e32 v16, 32, v3
	v_mov_b32_e32 v0, v13
	v_add_nc_u32_e32 v110, v107, v17
	v_add_nc_u32_e32 v135, 0x2380, v17
	;; [unrolled: 1-line block ×3, first 2 shown]
	s_wait_alu 0xfffd
	v_sub_co_ci_u32_e64 v138, null, v11, v59, vcc_lo
	v_or_b32_e32 v139, 4, v4
	v_add_nc_u32_e32 v11, 0x100, v19
	v_mad_co_u64_u32 v[14:15], null, s66, v17, 0
	v_mad_co_u64_u32 v[7:8], null, s67, v8, v[0:1]
	v_cmp_gt_i32_e64 s15, s48, v16
	v_sub_co_u32 v140, vcc_lo, v12, v58
	s_cselect_b32 s47, -1, 0
	v_mov_b32_e32 v4, v15
	v_mad_co_u64_u32 v[15:16], null, s66, v11, 0
	v_add_nc_u32_e32 v109, 0x2380, v18
	s_wait_alu 0xfffd
	v_sub_co_ci_u32_e64 v141, null, v7, v59, vcc_lo
	v_mad_co_u64_u32 v[17:18], null, s67, v17, v[4:5]
	v_add_nc_u32_e32 v4, 0x288, v19
	v_mov_b32_e32 v0, v16
	v_sub_co_u32 v13, vcc_lo, v14, v58
	s_and_b32 s79, s0, s22
	v_mad_co_u64_u32 v[7:8], null, s66, v4, 0
	v_mad_co_u64_u32 v[11:12], null, s67, v11, v[0:1]
	v_or_b32_e32 v143, 4, v13
	s_wait_alu 0xfffd
	v_sub_co_ci_u32_e64 v142, null, v17, v59, vcc_lo
	v_sub_co_u32 v144, vcc_lo, v15, v58
	v_mov_b32_e32 v0, v8
	v_add_nc_u32_e32 v16, 0x118, v19
	s_wait_alu 0xfffd
	v_sub_co_ci_u32_e64 v145, null, v11, v59, vcc_lo
	v_add_nc_u32_e32 v11, 0x290, v19
	v_mad_co_u64_u32 v[14:15], null, s67, v4, v[0:1]
	v_mad_co_u64_u32 v[12:13], null, s66, v16, 0
	v_add_nc_u32_e32 v113, 0x2180, v101
	v_sub_co_u32 v4, vcc_lo, v7, v58
	v_mad_co_u64_u32 v[7:8], null, s66, v11, 0
	s_delay_alu instid0(VALU_DEP_4)
	v_dual_mov_b32 v0, v13 :: v_dual_add_nc_u32 v123, 17, v112
	v_add_nc_u32_e32 v13, 0x190, v19
	s_wait_alu 0xfffd
	v_sub_co_ci_u32_e64 v146, null, v14, v59, vcc_lo
	v_sub_co_u32 v148, vcc_lo, v12, v58
	v_mad_co_u64_u32 v[15:16], null, s67, v16, v[0:1]
	v_mad_co_u64_u32 v[16:17], null, s66, v13, 0
	v_dual_mov_b32 v0, v8 :: v_dual_add_nc_u32 v125, 19, v112
	v_or_b32_e32 v147, 4, v4
	v_add_nc_u32_e32 v114, 0x2180, v19
	s_wait_alu 0xfffd
	v_sub_co_ci_u32_e64 v149, null, v15, v59, vcc_lo
	v_dual_mov_b32 v4, v17 :: v_dual_add_nc_u32 v15, 0x218, v19
	v_mad_co_u64_u32 v[11:12], null, s67, v11, v[0:1]
	v_sub_co_u32 v150, vcc_lo, v7, v58
	s_delay_alu instid0(VALU_DEP_3) | instskip(NEXT) | instid1(VALU_DEP_4)
	v_mad_co_u64_u32 v[12:13], null, s67, v13, v[4:5]
	v_mad_co_u64_u32 v[13:14], null, s66, v15, 0
	v_add_nc_u32_e32 v17, 0x188, v19
	v_add_nc_u32_e32 v127, 33, v112
	s_wait_alu 0xfffd
	v_sub_co_ci_u32_e64 v151, null, v11, v59, vcc_lo
	v_sub_co_u32 v4, vcc_lo, v16, v58
	v_mov_b32_e32 v0, v14
	v_add_nc_u32_e32 v16, 0x200, v19
	v_mad_co_u64_u32 v[7:8], null, s66, v17, 0
	s_wait_alu 0xfffd
	v_sub_co_ci_u32_e64 v152, null, v12, v59, vcc_lo
	v_mad_co_u64_u32 v[11:12], null, s67, v15, v[0:1]
	v_mad_co_u64_u32 v[14:15], null, s66, v16, 0
	s_delay_alu instid0(VALU_DEP_4)
	v_dual_mov_b32 v0, v8 :: v_dual_add_nc_u32 v129, 35, v112
	v_sub_co_u32 v12, vcc_lo, v13, v58
	v_add_nc_u32_e32 v131, 49, v112
	v_or_b32_e32 v153, 4, v4
	v_mov_b32_e32 v4, v15
	v_add_nc_u32_e32 v8, 0x180, v19
	s_wait_alu 0xfffd
	v_sub_co_ci_u32_e64 v154, null, v11, v59, vcc_lo
	v_or_b32_e32 v155, 4, v12
	v_mad_co_u64_u32 v[11:12], null, s67, v17, v[0:1]
	v_mad_co_u64_u32 v[12:13], null, s67, v16, v[4:5]
	;; [unrolled: 1-line block ×3, first 2 shown]
	v_add_nc_u32_e32 v17, 0x208, v19
	v_sub_co_u32 v4, vcc_lo, v14, v58
	v_add_nc_u32_e32 v133, 51, v112
	v_sub_co_u32 v156, s22, v7, v58
	s_delay_alu instid0(VALU_DEP_4)
	v_mad_co_u64_u32 v[13:14], null, s66, v17, 0
	v_mov_b32_e32 v0, v16
	v_or_b32_e32 v159, 4, v4
	v_sub_co_ci_u32_e64 v157, null, v11, v59, s22
	s_wait_alu 0xfffd
	v_sub_co_ci_u32_e64 v158, null, v12, v59, vcc_lo
	v_mad_co_u64_u32 v[7:8], null, s67, v8, v[0:1]
	v_mov_b32_e32 v4, v14
	v_add_nc_u32_e32 v8, 0x198, v19
	v_add_nc_u32_e32 v14, 0x210, v19
	v_sub_co_u32 v160, vcc_lo, v15, v58
	s_delay_alu instid0(VALU_DEP_4) | instskip(NEXT) | instid1(VALU_DEP_4)
	v_mad_co_u64_u32 v[11:12], null, s67, v17, v[4:5]
	v_mad_co_u64_u32 v[16:17], null, s66, v8, 0
	s_delay_alu instid0(VALU_DEP_4) | instskip(SKIP_3) | instid1(VALU_DEP_4)
	v_mad_co_u64_u32 v[18:19], null, s66, v14, 0
	s_wait_alu 0xfffd
	v_sub_co_ci_u32_e64 v161, null, v7, v59, vcc_lo
	v_sub_co_u32 v7, vcc_lo, v13, v58
	v_mov_b32_e32 v0, v17
	s_wait_alu 0xfffd
	v_sub_co_ci_u32_e64 v162, null, v11, v59, vcc_lo
	v_mov_b32_e32 v4, v19
	v_or_b32_e32 v163, 4, v7
	v_mad_co_u64_u32 v[7:8], null, s67, v8, v[0:1]
	v_sub_co_u32 v0, vcc_lo, v18, v58
	s_delay_alu instid0(VALU_DEP_4)
	v_mad_co_u64_u32 v[11:12], null, s67, v14, v[4:5]
	v_sub_co_u32 v164, s22, v16, v58
	s_wait_alu 0xfffe
	s_mul_u64 s[60:61], s[44:45], s[64:65]
	v_lshlrev_b64_e32 v[60:61], 3, v[5:6]
	v_lshlrev_b64_e32 v[62:63], 3, v[1:2]
	;; [unrolled: 1-line block ×3, first 2 shown]
	v_add_nc_u32_e32 v102, 0x2380, v101
	v_cmp_gt_i32_e64 s1, s48, v3
	v_mad_u32_u24 v103, 0x108, v3, v20
	v_add_nc_u32_e32 v106, 16, v104
	v_add_nc_u32_e32 v108, 24, v104
	v_or_b32_e32 v119, 1, v112
	v_or_b32_e32 v120, 2, v112
	;; [unrolled: 1-line block ×3, first 2 shown]
	v_add_nc_u32_e32 v122, 16, v112
	v_add_nc_u32_e32 v124, 18, v112
	;; [unrolled: 1-line block ×6, first 2 shown]
	v_sub_co_ci_u32_e64 v165, null, v7, v59, s22
	s_wait_alu 0xfffd
	v_sub_co_ci_u32_e64 v166, null, v11, v59, vcc_lo
	v_or_b32_e32 v167, 4, v0
	v_add_nc_u32_e32 v168, v116, v24
	v_add_nc_u32_e32 v169, v20, v21
	v_lshlrev_b32_e32 v170, 3, v3
	v_add_nc_u32_e32 v171, v20, v22
	v_add_nc_u32_e32 v172, v20, v23
	s_mul_u64 s[68:69], s[66:67], s[64:65]
	s_sub_nc_u64 s[72:73], 0, s[60:61]
	s_mul_u64 s[58:59], s[66:67], 0xc0
	s_add_co_i32 s78, s46, -2
	s_sub_nc_u64 s[60:61], 0, s[48:49]
	s_add_co_i32 s80, s64, 64
	s_lshl_b64 s[62:63], s[66:67], 9
	s_lshl_b64 s[38:39], s[38:39], 3
	;; [unrolled: 1-line block ×7, first 2 shown]
	s_branch .LBB32_4
.LBB32_2:                               ;   in Loop: Header=BB32_4 Depth=1
	s_wait_alu 0xfffe
	s_or_b32 exec_lo, exec_lo, s22
.LBB32_3:                               ;   in Loop: Header=BB32_4 Depth=1
	s_add_co_i32 s34, s34, 0x10000
	s_delay_alu instid0(SALU_CYCLE_1)
	s_cmp_lt_u32 s34, s23
	s_cbranch_scc0 .LBB32_188
.LBB32_4:                               ; =>This Loop Header: Depth=1
                                        ;     Child Loop BB32_112 Depth 2
	s_mul_u64 s[72:73], s[26:27], s[34:35]
	s_mov_b32 s22, -1
	s_wait_alu 0xfffe
	s_lshl_b64 s[72:73], s[72:73], 3
	s_wait_alu 0xfffe
	s_add_nc_u64 s[72:73], s[24:25], s[72:73]
	global_load_b64 v[0:1], v56, s[72:73]
	s_wait_loadcnt 0x0
	v_or_b32_e32 v0, v0, v1
	s_delay_alu instid0(VALU_DEP_1) | instskip(NEXT) | instid1(VALU_DEP_1)
	v_and_b32_e32 v0, 0x7fffffff, v0
	v_cmp_ne_u32_e32 vcc_lo, 0, v0
	s_cbranch_vccz .LBB32_6
; %bb.5:                                ;   in Loop: Header=BB32_4 Depth=1
	s_and_not1_b32 vcc_lo, exec_lo, s22
	s_wait_alu 0xfffe
	s_cbranch_vccnz .LBB32_3
	s_branch .LBB32_7
.LBB32_6:                               ;   in Loop: Header=BB32_4 Depth=1
	s_mul_u64 s[72:73], s[42:43], s[34:35]
	s_wait_alu 0xfffe
	s_lshl_b64 s[72:73], s[72:73], 3
	s_wait_alu 0xfffe
	s_add_nc_u64 s[72:73], s[40:41], s[72:73]
	global_load_b64 v[0:1], v56, s[72:73]
	s_wait_loadcnt 0x0
	v_cmp_eq_f32_e32 vcc_lo, 1.0, v0
	v_cmp_eq_f32_e64 s22, 0, v1
	s_and_b32 s22, vcc_lo, s22
	s_wait_alu 0xfffe
	s_and_not1_b32 vcc_lo, exec_lo, s22
	s_cbranch_execnz .LBB32_3
.LBB32_7:                               ;   in Loop: Header=BB32_4 Depth=1
	s_lshl_b64 s[72:73], s[34:35], 3
	s_wait_alu 0xfffe
	s_add_nc_u64 s[74:75], s[36:37], s[72:73]
	s_add_nc_u64 s[72:73], s[28:29], s[72:73]
	s_clause 0x1
	global_load_b64 v[2:3], v56, s[74:75]
	global_load_b64 v[0:1], v56, s[72:73]
	s_wait_loadcnt 0x1
	v_add_co_u32 v2, vcc_lo, v2, s38
	s_wait_alu 0xfffd
	v_add_co_ci_u32_e64 v3, null, s39, v3, vcc_lo
	s_delay_alu instid0(VALU_DEP_2) | instskip(SKIP_1) | instid1(VALU_DEP_2)
	v_add_co_u32 v12, vcc_lo, v2, v60
	s_wait_alu 0xfffd
	v_add_co_ci_u32_e64 v13, null, v3, v61, vcc_lo
	s_and_saveexec_b32 s22, s0
	s_cbranch_execz .LBB32_12
; %bb.8:                                ;   in Loop: Header=BB32_4 Depth=1
	s_and_saveexec_b32 s72, s77
	s_wait_alu 0xfffe
	s_xor_b32 s72, exec_lo, s72
; %bb.9:                                ;   in Loop: Header=BB32_4 Depth=1
	v_mov_b32_e32 v57, v56
	ds_store_b64 v102, v[56:57]
; %bb.10:                               ;   in Loop: Header=BB32_4 Depth=1
	s_wait_alu 0xfffe
	s_and_not1_saveexec_b32 s72, s72
	s_cbranch_execz .LBB32_12
; %bb.11:                               ;   in Loop: Header=BB32_4 Depth=1
	flat_load_b64 v[2:3], v[12:13]
	s_wait_loadcnt_dscnt 0x0
	ds_store_b64 v102, v[2:3]
.LBB32_12:                              ;   in Loop: Header=BB32_4 Depth=1
	s_wait_alu 0xfffe
	s_or_b32 exec_lo, exec_lo, s22
	s_wait_loadcnt 0x0
	v_add_co_u32 v0, vcc_lo, v0, s30
	s_wait_alu 0xfffd
	v_add_co_ci_u32_e64 v1, null, s31, v1, vcc_lo
	s_mov_b32 s22, -1
	v_add_co_u32 v0, vcc_lo, v0, s64
	s_wait_alu 0xfffd
	v_add_co_ci_u32_e64 v1, null, s65, v1, vcc_lo
	s_delay_alu instid0(VALU_DEP_2) | instskip(SKIP_1) | instid1(VALU_DEP_2)
	v_add_co_u32 v0, vcc_lo, v0, v58
	s_wait_alu 0xfffd
	v_add_co_ci_u32_e64 v1, null, v1, v59, vcc_lo
	s_delay_alu instid0(VALU_DEP_2) | instskip(SKIP_1) | instid1(VALU_DEP_2)
	v_add_co_u32 v2, vcc_lo, v0, s66
	s_wait_alu 0xfffd
	v_add_co_ci_u32_e64 v3, null, s67, v1, vcc_lo
	s_and_b32 vcc_lo, exec_lo, s76
                                        ; implicit-def: $vgpr0_vgpr1
	s_wait_alu 0xfffe
	s_cbranch_vccz .LBB32_24
; %bb.13:                               ;   in Loop: Header=BB32_4 Depth=1
	s_and_saveexec_b32 s22, s2
	s_wait_alu 0xfffe
	s_xor_b32 s22, exec_lo, s22
; %bb.14:                               ;   in Loop: Header=BB32_4 Depth=1
	v_mov_b32_e32 v57, v56
	ds_store_b64 v169, v[56:57]
; %bb.15:                               ;   in Loop: Header=BB32_4 Depth=1
	s_wait_alu 0xfffe
	s_or_saveexec_b32 s22, s22
	v_add_co_u32 v0, vcc_lo, v2, v64
	s_wait_alu 0xfffd
	v_add_co_ci_u32_e64 v1, null, v3, v65, vcc_lo
	s_lshl_b64 s[72:73], s[48:49], 3
	s_wait_alu 0xfffe
	v_add_co_u32 v0, vcc_lo, v0, s72
	s_wait_alu 0xfffd
	v_add_co_ci_u32_e64 v1, null, s73, v1, vcc_lo
	s_delay_alu instid0(VALU_DEP_2) | instskip(SKIP_1) | instid1(VALU_DEP_2)
	v_add_co_u32 v0, vcc_lo, v0, -8
	s_wait_alu 0xfffd
	v_add_co_ci_u32_e64 v1, null, -1, v1, vcc_lo
	s_delay_alu instid0(VALU_DEP_2) | instskip(NEXT) | instid1(VALU_DEP_2)
	v_cndmask_b32_e64 v0, v0, v2, s1
	v_cndmask_b32_e64 v1, v1, v3, s1
	s_xor_b32 exec_lo, exec_lo, s22
	s_cbranch_execnz .LBB32_170
; %bb.16:                               ;   in Loop: Header=BB32_4 Depth=1
	s_or_b32 exec_lo, exec_lo, s22
	s_and_saveexec_b32 s22, s3
	s_wait_alu 0xfffe
	s_xor_b32 s22, exec_lo, s22
	s_cbranch_execnz .LBB32_171
.LBB32_17:                              ;   in Loop: Header=BB32_4 Depth=1
	s_wait_alu 0xfffe
	s_and_not1_saveexec_b32 s22, s22
	s_cbranch_execnz .LBB32_172
.LBB32_18:                              ;   in Loop: Header=BB32_4 Depth=1
	s_wait_alu 0xfffe
	s_or_b32 exec_lo, exec_lo, s22
	s_and_saveexec_b32 s22, s4
	s_wait_alu 0xfffe
	s_xor_b32 s22, exec_lo, s22
	s_cbranch_execnz .LBB32_173
.LBB32_19:                              ;   in Loop: Header=BB32_4 Depth=1
	s_wait_alu 0xfffe
	s_and_not1_saveexec_b32 s22, s22
	s_cbranch_execnz .LBB32_174
.LBB32_20:                              ;   in Loop: Header=BB32_4 Depth=1
	s_wait_alu 0xfffe
	s_or_b32 exec_lo, exec_lo, s22
	s_and_saveexec_b32 s22, s5
	s_wait_alu 0xfffe
	s_xor_b32 s22, exec_lo, s22
	s_cbranch_execnz .LBB32_175
.LBB32_21:                              ;   in Loop: Header=BB32_4 Depth=1
	s_wait_alu 0xfffe
	s_and_not1_saveexec_b32 s22, s22
	s_cbranch_execz .LBB32_23
.LBB32_22:                              ;   in Loop: Header=BB32_4 Depth=1
	v_add_co_u32 v4, vcc_lo, v0, s58
	s_wait_alu 0xfffd
	v_add_co_ci_u32_e64 v5, null, s59, v1, vcc_lo
	flat_load_b64 v[4:5], v[4:5]
	s_wait_loadcnt_dscnt 0x0
	ds_store_b64 v169, v[4:5] offset:6336
.LBB32_23:                              ;   in Loop: Header=BB32_4 Depth=1
	s_wait_alu 0xfffe
	s_or_b32 exec_lo, exec_lo, s22
	v_add_co_u32 v0, vcc_lo, v0, v170
	s_wait_alu 0xfffd
	v_add_co_ci_u32_e64 v1, null, 0, v1, vcc_lo
	s_lshl_b64 s[72:73], s[60:61], 3
	s_mov_b32 s22, 0
	s_wait_alu 0xfffe
	v_add_co_u32 v0, vcc_lo, v0, s72
	s_wait_alu 0xfffd
	v_add_co_ci_u32_e64 v1, null, s73, v1, vcc_lo
	s_delay_alu instid0(VALU_DEP_2) | instskip(SKIP_1) | instid1(VALU_DEP_2)
	v_add_co_u32 v0, vcc_lo, v0, 8
	s_wait_alu 0xfffd
	v_add_co_ci_u32_e64 v1, null, 0, v1, vcc_lo
	s_delay_alu instid0(VALU_DEP_2) | instskip(NEXT) | instid1(VALU_DEP_2)
	v_cndmask_b32_e64 v0, v0, v2, s1
	v_cndmask_b32_e64 v1, v1, v3, s1
.LBB32_24:                              ;   in Loop: Header=BB32_4 Depth=1
	s_and_b32 vcc_lo, exec_lo, s22
	s_wait_alu 0xfffe
	s_cbranch_vccz .LBB32_26
; %bb.25:                               ;   in Loop: Header=BB32_4 Depth=1
	v_add_co_u32 v0, vcc_lo, v2, s54
	s_wait_alu 0xfffd
	v_add_co_ci_u32_e64 v1, null, s55, v3, vcc_lo
	s_delay_alu instid0(VALU_DEP_2) | instskip(SKIP_1) | instid1(VALU_DEP_2)
	v_add_co_u32 v4, vcc_lo, v0, s54
	s_wait_alu 0xfffd
	v_add_co_ci_u32_e64 v5, null, s55, v1, vcc_lo
	s_delay_alu instid0(VALU_DEP_2) | instskip(SKIP_1) | instid1(VALU_DEP_2)
	v_add_co_u32 v6, vcc_lo, v4, s54
	s_wait_alu 0xfffd
	v_add_co_ci_u32_e64 v7, null, s55, v5, vcc_lo
	s_clause 0x3
	flat_load_b64 v[8:9], v[2:3]
	flat_load_b64 v[10:11], v[0:1]
	;; [unrolled: 1-line block ×4, first 2 shown]
	v_dual_mov_b32 v0, v2 :: v_dual_mov_b32 v1, v3
	s_wait_loadcnt_dscnt 0x303
	ds_store_b64 v169, v[8:9]
	s_wait_loadcnt_dscnt 0x203
	ds_store_b64 v169, v[10:11] offset:2112
	s_wait_loadcnt_dscnt 0x103
	ds_store_b64 v169, v[4:5] offset:4224
	;; [unrolled: 2-line block ×3, first 2 shown]
.LBB32_26:                              ;   in Loop: Header=BB32_4 Depth=1
	s_mov_b32 s22, 0
	s_wait_dscnt 0x0
	s_barrier_signal -1
	s_barrier_wait -1
	global_inv scope:SCOPE_SE
	s_and_saveexec_b32 s72, s6
	s_wait_alu 0xfffe
	s_xor_b32 s72, exec_lo, s72
; %bb.27:                               ;   in Loop: Header=BB32_4 Depth=1
	s_and_b32 s22, s7, exec_lo
; %bb.28:                               ;   in Loop: Header=BB32_4 Depth=1
	s_wait_alu 0xfffe
	s_or_saveexec_b32 s72, s72
	v_dual_mov_b32 v2, 0 :: v_dual_mov_b32 v3, v103
	s_wait_alu 0xfffe
	s_xor_b32 exec_lo, exec_lo, s72
	s_cbranch_execz .LBB32_30
; %bb.29:                               ;   in Loop: Header=BB32_4 Depth=1
	ds_load_b64 v[4:5], v171
	v_mov_b32_e32 v3, v104
	s_or_b32 s22, s22, exec_lo
	s_wait_dscnt 0x0
	v_xor_b32_e32 v2, 0x80000000, v5
	ds_store_b32 v104, v4
.LBB32_30:                              ;   in Loop: Header=BB32_4 Depth=1
	s_or_b32 exec_lo, exec_lo, s72
	s_wait_alu 0xfffe
	s_and_saveexec_b32 s72, s22
; %bb.31:                               ;   in Loop: Header=BB32_4 Depth=1
	ds_store_b32 v3, v2 offset:4
; %bb.32:                               ;   in Loop: Header=BB32_4 Depth=1
	s_wait_alu 0xfffe
	s_or_b32 exec_lo, exec_lo, s72
	s_mov_b32 s22, 0
                                        ; implicit-def: $vgpr2
	s_and_saveexec_b32 s72, s8
	s_wait_alu 0xfffe
	s_xor_b32 s72, exec_lo, s72
	s_cbranch_execnz .LBB32_166
; %bb.33:                               ;   in Loop: Header=BB32_4 Depth=1
	s_wait_alu 0xfffe
	s_or_saveexec_b32 s72, s72
	v_mov_b32_e32 v3, v105
	s_wait_alu 0xfffe
	s_xor_b32 exec_lo, exec_lo, s72
	s_cbranch_execnz .LBB32_167
.LBB32_34:                              ;   in Loop: Header=BB32_4 Depth=1
	s_or_b32 exec_lo, exec_lo, s72
	s_and_saveexec_b32 s72, s22
.LBB32_35:                              ;   in Loop: Header=BB32_4 Depth=1
	ds_store_b32 v3, v2 offset:4
.LBB32_36:                              ;   in Loop: Header=BB32_4 Depth=1
	s_wait_alu 0xfffe
	s_or_b32 exec_lo, exec_lo, s72
	s_mov_b32 s22, 0
	s_and_saveexec_b32 s72, s10
	s_wait_alu 0xfffe
	s_xor_b32 s72, exec_lo, s72
; %bb.37:                               ;   in Loop: Header=BB32_4 Depth=1
	s_and_b32 s22, s11, exec_lo
; %bb.38:                               ;   in Loop: Header=BB32_4 Depth=1
	s_wait_alu 0xfffe
	s_or_saveexec_b32 s72, s72
	v_dual_mov_b32 v2, 0 :: v_dual_mov_b32 v3, v103
	s_wait_alu 0xfffe
	s_xor_b32 exec_lo, exec_lo, s72
	s_cbranch_execz .LBB32_40
; %bb.39:                               ;   in Loop: Header=BB32_4 Depth=1
	ds_load_b64 v[4:5], v172 offset:264
	v_mov_b32_e32 v3, v106
	s_or_b32 s22, s22, exec_lo
	s_wait_dscnt 0x0
	v_xor_b32_e32 v2, 0x80000000, v5
	ds_store_b32 v106, v4
.LBB32_40:                              ;   in Loop: Header=BB32_4 Depth=1
	s_or_b32 exec_lo, exec_lo, s72
	s_wait_alu 0xfffe
	s_and_saveexec_b32 s72, s22
; %bb.41:                               ;   in Loop: Header=BB32_4 Depth=1
	ds_store_b32 v3, v2 offset:4
; %bb.42:                               ;   in Loop: Header=BB32_4 Depth=1
	s_wait_alu 0xfffe
	s_or_b32 exec_lo, exec_lo, s72
	s_mov_b32 s22, 0
	s_and_saveexec_b32 s72, s12
	s_wait_alu 0xfffe
	s_xor_b32 s72, exec_lo, s72
; %bb.43:                               ;   in Loop: Header=BB32_4 Depth=1
	s_and_b32 s22, s13, exec_lo
; %bb.44:                               ;   in Loop: Header=BB32_4 Depth=1
	s_wait_alu 0xfffe
	s_or_saveexec_b32 s72, s72
	v_dual_mov_b32 v2, 0 :: v_dual_mov_b32 v3, v103
	s_wait_alu 0xfffe
	s_xor_b32 exec_lo, exec_lo, s72
	s_cbranch_execz .LBB32_46
; %bb.45:                               ;   in Loop: Header=BB32_4 Depth=1
	ds_load_b64 v[4:5], v172 offset:528
	v_mov_b32_e32 v3, v108
	s_or_b32 s22, s22, exec_lo
	s_wait_dscnt 0x0
	v_xor_b32_e32 v2, 0x80000000, v5
	ds_store_b32 v108, v4
.LBB32_46:                              ;   in Loop: Header=BB32_4 Depth=1
	s_or_b32 exec_lo, exec_lo, s72
	s_wait_alu 0xfffe
	s_and_saveexec_b32 s72, s22
; %bb.47:                               ;   in Loop: Header=BB32_4 Depth=1
	ds_store_b32 v3, v2 offset:4
; %bb.48:                               ;   in Loop: Header=BB32_4 Depth=1
	s_wait_alu 0xfffe
	s_or_b32 exec_lo, exec_lo, s72
	s_wait_loadcnt_dscnt 0x0
	s_barrier_signal -1
	s_barrier_wait -1
	global_inv scope:SCOPE_SE
	ds_load_b64 v[10:11], v171
	ds_load_b128 v[2:5], v109
	ds_load_2addr_b64 v[6:9], v172 offset1:33
	ds_load_b128 v[14:17], v109 offset:16
	ds_load_b64 v[18:19], v172 offset:528
	s_wait_loadcnt_dscnt 0x0
	s_barrier_signal -1
	s_barrier_wait -1
	global_inv scope:SCOPE_SE
	v_dual_mov_b32 v67, 0 :: v_dual_mul_f32 v20, v3, v11
	v_dual_mul_f32 v11, v2, v11 :: v_dual_mul_f32 v22, v15, v9
	v_mul_f32_e32 v9, v14, v9
	s_delay_alu instid0(VALU_DEP_3) | instskip(SKIP_1) | instid1(VALU_DEP_4)
	v_fma_f32 v2, v2, v10, -v20
	v_mul_f32_e32 v21, v5, v7
	v_fmac_f32_e32 v11, v3, v10
	s_delay_alu instid0(VALU_DEP_4) | instskip(SKIP_3) | instid1(VALU_DEP_1)
	v_fmac_f32_e32 v9, v15, v8
	v_fma_f32 v10, v14, v8, -v22
	v_dual_add_f32 v2, 0, v2 :: v_dual_mul_f32 v7, v4, v7
	v_fma_f32 v4, v4, v6, -v21
	v_dual_add_f32 v2, v2, v4 :: v_dual_fmac_f32 v7, v5, v6
	v_mul_f32_e32 v6, v16, v19
	v_add_f32_e32 v5, 0, v11
	s_delay_alu instid0(VALU_DEP_3) | instskip(NEXT) | instid1(VALU_DEP_3)
	v_dual_mul_f32 v3, v17, v19 :: v_dual_add_f32 v2, v2, v10
	v_fmac_f32_e32 v6, v17, v18
	s_delay_alu instid0(VALU_DEP_3) | instskip(NEXT) | instid1(VALU_DEP_3)
	v_add_f32_e32 v4, v5, v7
	v_fma_f32 v3, v16, v18, -v3
	s_delay_alu instid0(VALU_DEP_2) | instskip(SKIP_1) | instid1(VALU_DEP_2)
	v_add_f32_e32 v4, v4, v9
	v_mov_b32_e32 v66, 0
	v_dual_add_f32 v2, v2, v3 :: v_dual_add_f32 v3, v4, v6
	ds_store_b64 v110, v[2:3]
	s_wait_loadcnt_dscnt 0x0
	s_barrier_signal -1
	s_barrier_wait -1
	global_inv scope:SCOPE_SE
	s_and_saveexec_b32 s22, s14
	s_cbranch_execz .LBB32_50
; %bb.49:                               ;   in Loop: Header=BB32_4 Depth=1
	ds_load_2addr_b64 v[2:5], v107 offset1:7
	ds_load_2addr_b64 v[6:9], v107 offset0:1 offset1:2
	ds_load_2addr_b64 v[14:17], v107 offset0:3 offset1:4
	;; [unrolled: 1-line block ×3, first 2 shown]
	s_wait_dscnt 0x2
	v_dual_add_f32 v2, v6, v2 :: v_dual_add_f32 v3, v7, v3
	s_delay_alu instid0(VALU_DEP_1) | instskip(SKIP_1) | instid1(VALU_DEP_1)
	v_dual_add_f32 v2, v8, v2 :: v_dual_add_f32 v3, v9, v3
	s_wait_dscnt 0x1
	v_dual_add_f32 v2, v2, v14 :: v_dual_add_f32 v3, v3, v15
	s_delay_alu instid0(VALU_DEP_1) | instskip(SKIP_1) | instid1(VALU_DEP_1)
	v_dual_add_f32 v2, v2, v16 :: v_dual_add_f32 v3, v3, v17
	s_wait_dscnt 0x0
	v_dual_add_f32 v2, v2, v18 :: v_dual_add_f32 v3, v3, v19
	s_delay_alu instid0(VALU_DEP_1) | instskip(NEXT) | instid1(VALU_DEP_1)
	v_dual_add_f32 v2, v2, v20 :: v_dual_add_f32 v3, v3, v21
	v_dual_add_f32 v66, v2, v4 :: v_dual_add_f32 v67, v3, v5
.LBB32_50:                              ;   in Loop: Header=BB32_4 Depth=1
	s_wait_alu 0xfffe
	s_or_b32 exec_lo, exec_lo, s22
	v_add_co_u32 v4, vcc_lo, v0, s68
	s_wait_alu 0xfffd
	v_add_co_ci_u32_e64 v5, null, s69, v1, vcc_lo
	s_mov_b32 s22, -1
	v_add_co_u32 v2, vcc_lo, 0x100, v4
	s_wait_alu 0xfffd
	v_add_co_ci_u32_e64 v3, null, 0, v5, vcc_lo
	s_and_b32 vcc_lo, exec_lo, s76
	s_wait_loadcnt 0x0
	s_barrier_signal -1
	s_barrier_wait -1
	global_inv scope:SCOPE_SE
                                        ; implicit-def: $vgpr0_vgpr1
	s_wait_alu 0xfffe
	s_cbranch_vccz .LBB32_62
; %bb.51:                               ;   in Loop: Header=BB32_4 Depth=1
	s_and_saveexec_b32 s22, s16
	s_wait_alu 0xfffe
	s_xor_b32 s22, exec_lo, s22
; %bb.52:                               ;   in Loop: Header=BB32_4 Depth=1
	v_mov_b32_e32 v57, v56
	ds_store_b64 v169, v[56:57]
; %bb.53:                               ;   in Loop: Header=BB32_4 Depth=1
	s_wait_alu 0xfffe
	s_or_saveexec_b32 s22, s22
	v_add_co_u32 v0, vcc_lo, v4, v64
	s_wait_alu 0xfffd
	v_add_co_ci_u32_e64 v1, null, v5, v65, vcc_lo
	s_lshl_b64 s[72:73], s[48:49], 3
	s_wait_alu 0xfffe
	v_add_co_u32 v0, vcc_lo, v0, s72
	s_wait_alu 0xfffd
	v_add_co_ci_u32_e64 v1, null, s73, v1, vcc_lo
	s_delay_alu instid0(VALU_DEP_2) | instskip(SKIP_1) | instid1(VALU_DEP_2)
	v_add_co_u32 v0, vcc_lo, v0, -8
	s_wait_alu 0xfffd
	v_add_co_ci_u32_e64 v1, null, -1, v1, vcc_lo
	s_delay_alu instid0(VALU_DEP_2) | instskip(NEXT) | instid1(VALU_DEP_2)
	v_cndmask_b32_e64 v0, v0, v2, s15
	v_cndmask_b32_e64 v1, v1, v3, s15
	s_xor_b32 exec_lo, exec_lo, s22
	s_cbranch_execnz .LBB32_176
; %bb.54:                               ;   in Loop: Header=BB32_4 Depth=1
	s_or_b32 exec_lo, exec_lo, s22
	s_and_saveexec_b32 s22, s17
	s_wait_alu 0xfffe
	s_xor_b32 s22, exec_lo, s22
	s_cbranch_execnz .LBB32_177
.LBB32_55:                              ;   in Loop: Header=BB32_4 Depth=1
	s_wait_alu 0xfffe
	s_and_not1_saveexec_b32 s22, s22
	s_cbranch_execnz .LBB32_178
.LBB32_56:                              ;   in Loop: Header=BB32_4 Depth=1
	s_wait_alu 0xfffe
	s_or_b32 exec_lo, exec_lo, s22
	s_and_saveexec_b32 s22, s18
	s_wait_alu 0xfffe
	s_xor_b32 s22, exec_lo, s22
	s_cbranch_execnz .LBB32_179
.LBB32_57:                              ;   in Loop: Header=BB32_4 Depth=1
	s_wait_alu 0xfffe
	s_and_not1_saveexec_b32 s22, s22
	s_cbranch_execnz .LBB32_180
.LBB32_58:                              ;   in Loop: Header=BB32_4 Depth=1
	s_wait_alu 0xfffe
	s_or_b32 exec_lo, exec_lo, s22
	s_and_saveexec_b32 s22, s19
	s_wait_alu 0xfffe
	s_xor_b32 s22, exec_lo, s22
	s_cbranch_execnz .LBB32_181
.LBB32_59:                              ;   in Loop: Header=BB32_4 Depth=1
	s_wait_alu 0xfffe
	s_and_not1_saveexec_b32 s22, s22
	s_cbranch_execz .LBB32_61
.LBB32_60:                              ;   in Loop: Header=BB32_4 Depth=1
	v_add_co_u32 v6, vcc_lo, v0, s58
	s_wait_alu 0xfffd
	v_add_co_ci_u32_e64 v7, null, s59, v1, vcc_lo
	flat_load_b64 v[6:7], v[6:7]
	s_wait_loadcnt_dscnt 0x0
	ds_store_b64 v169, v[6:7] offset:6336
.LBB32_61:                              ;   in Loop: Header=BB32_4 Depth=1
	s_wait_alu 0xfffe
	s_or_b32 exec_lo, exec_lo, s22
	v_add_co_u32 v0, vcc_lo, v0, v170
	s_wait_alu 0xfffd
	v_add_co_ci_u32_e64 v1, null, 0, v1, vcc_lo
	s_lshl_b64 s[72:73], s[60:61], 3
	s_mov_b32 s22, 0
	s_wait_alu 0xfffe
	v_add_co_u32 v0, vcc_lo, v0, s72
	s_wait_alu 0xfffd
	v_add_co_ci_u32_e64 v1, null, s73, v1, vcc_lo
	s_delay_alu instid0(VALU_DEP_2) | instskip(SKIP_1) | instid1(VALU_DEP_2)
	v_add_co_u32 v0, vcc_lo, 0x108, v0
	s_wait_alu 0xfffd
	v_add_co_ci_u32_e64 v1, null, 0, v1, vcc_lo
	s_delay_alu instid0(VALU_DEP_2) | instskip(NEXT) | instid1(VALU_DEP_2)
	v_cndmask_b32_e64 v0, v0, v2, s15
	v_cndmask_b32_e64 v1, v1, v3, s15
.LBB32_62:                              ;   in Loop: Header=BB32_4 Depth=1
	s_and_b32 vcc_lo, exec_lo, s22
	s_wait_alu 0xfffe
	s_cbranch_vccz .LBB32_64
; %bb.63:                               ;   in Loop: Header=BB32_4 Depth=1
	v_add_co_u32 v0, vcc_lo, v4, s54
	s_wait_alu 0xfffd
	v_add_co_ci_u32_e64 v1, null, s55, v5, vcc_lo
	s_delay_alu instid0(VALU_DEP_2) | instskip(SKIP_1) | instid1(VALU_DEP_2)
	v_add_co_u32 v6, vcc_lo, v0, s54
	s_wait_alu 0xfffd
	v_add_co_ci_u32_e64 v7, null, s55, v1, vcc_lo
	s_delay_alu instid0(VALU_DEP_2) | instskip(SKIP_1) | instid1(VALU_DEP_2)
	v_add_co_u32 v8, vcc_lo, v6, s54
	s_wait_alu 0xfffd
	v_add_co_ci_u32_e64 v9, null, s55, v7, vcc_lo
	s_clause 0x3
	flat_load_b64 v[4:5], v[4:5] offset:256
	flat_load_b64 v[10:11], v[0:1] offset:256
	;; [unrolled: 1-line block ×4, first 2 shown]
	v_dual_mov_b32 v0, v2 :: v_dual_mov_b32 v1, v3
	s_wait_loadcnt_dscnt 0x303
	ds_store_b64 v169, v[4:5]
	s_wait_loadcnt_dscnt 0x203
	ds_store_b64 v169, v[10:11] offset:2112
	s_wait_loadcnt_dscnt 0x103
	ds_store_b64 v169, v[6:7] offset:4224
	;; [unrolled: 2-line block ×3, first 2 shown]
.LBB32_64:                              ;   in Loop: Header=BB32_4 Depth=1
	s_mov_b32 s22, 0
	s_wait_loadcnt_dscnt 0x0
	s_barrier_signal -1
	s_barrier_wait -1
	global_inv scope:SCOPE_SE
	s_and_saveexec_b32 s72, s6
	s_wait_alu 0xfffe
	s_xor_b32 s72, exec_lo, s72
; %bb.65:                               ;   in Loop: Header=BB32_4 Depth=1
	s_and_b32 s22, s7, exec_lo
; %bb.66:                               ;   in Loop: Header=BB32_4 Depth=1
	s_wait_alu 0xfffe
	s_or_saveexec_b32 s72, s72
	v_dual_mov_b32 v2, 0 :: v_dual_mov_b32 v3, v103
	s_wait_alu 0xfffe
	s_xor_b32 exec_lo, exec_lo, s72
	s_cbranch_execz .LBB32_68
; %bb.67:                               ;   in Loop: Header=BB32_4 Depth=1
	ds_load_b64 v[4:5], v171
	v_mov_b32_e32 v3, v104
	s_or_b32 s22, s22, exec_lo
	s_wait_dscnt 0x0
	v_xor_b32_e32 v2, 0x80000000, v5
	ds_store_b32 v104, v4
.LBB32_68:                              ;   in Loop: Header=BB32_4 Depth=1
	s_or_b32 exec_lo, exec_lo, s72
	s_wait_alu 0xfffe
	s_and_saveexec_b32 s72, s22
; %bb.69:                               ;   in Loop: Header=BB32_4 Depth=1
	ds_store_b32 v3, v2 offset:4
; %bb.70:                               ;   in Loop: Header=BB32_4 Depth=1
	s_wait_alu 0xfffe
	s_or_b32 exec_lo, exec_lo, s72
	s_mov_b32 s22, 0
                                        ; implicit-def: $vgpr2
	s_and_saveexec_b32 s72, s8
	s_wait_alu 0xfffe
	s_xor_b32 s72, exec_lo, s72
	s_cbranch_execnz .LBB32_168
; %bb.71:                               ;   in Loop: Header=BB32_4 Depth=1
	s_wait_alu 0xfffe
	s_or_saveexec_b32 s72, s72
	v_mov_b32_e32 v3, v105
	s_wait_alu 0xfffe
	s_xor_b32 exec_lo, exec_lo, s72
	s_cbranch_execnz .LBB32_169
.LBB32_72:                              ;   in Loop: Header=BB32_4 Depth=1
	s_or_b32 exec_lo, exec_lo, s72
	s_and_saveexec_b32 s72, s22
.LBB32_73:                              ;   in Loop: Header=BB32_4 Depth=1
	ds_store_b32 v3, v2 offset:4
.LBB32_74:                              ;   in Loop: Header=BB32_4 Depth=1
	s_wait_alu 0xfffe
	s_or_b32 exec_lo, exec_lo, s72
	s_mov_b32 s22, 0
	s_and_saveexec_b32 s72, s10
	s_wait_alu 0xfffe
	s_xor_b32 s72, exec_lo, s72
; %bb.75:                               ;   in Loop: Header=BB32_4 Depth=1
	s_and_b32 s22, s11, exec_lo
; %bb.76:                               ;   in Loop: Header=BB32_4 Depth=1
	s_wait_alu 0xfffe
	s_or_saveexec_b32 s72, s72
	v_dual_mov_b32 v2, 0 :: v_dual_mov_b32 v3, v103
	s_wait_alu 0xfffe
	s_xor_b32 exec_lo, exec_lo, s72
	s_cbranch_execz .LBB32_78
; %bb.77:                               ;   in Loop: Header=BB32_4 Depth=1
	ds_load_b64 v[4:5], v172 offset:264
	v_mov_b32_e32 v3, v106
	s_or_b32 s22, s22, exec_lo
	s_wait_dscnt 0x0
	v_xor_b32_e32 v2, 0x80000000, v5
	ds_store_b32 v106, v4
.LBB32_78:                              ;   in Loop: Header=BB32_4 Depth=1
	s_or_b32 exec_lo, exec_lo, s72
	s_wait_alu 0xfffe
	s_and_saveexec_b32 s72, s22
; %bb.79:                               ;   in Loop: Header=BB32_4 Depth=1
	ds_store_b32 v3, v2 offset:4
; %bb.80:                               ;   in Loop: Header=BB32_4 Depth=1
	s_wait_alu 0xfffe
	s_or_b32 exec_lo, exec_lo, s72
	s_mov_b32 s22, 0
	s_and_saveexec_b32 s72, s12
	s_wait_alu 0xfffe
	s_xor_b32 s72, exec_lo, s72
; %bb.81:                               ;   in Loop: Header=BB32_4 Depth=1
	s_and_b32 s22, s13, exec_lo
; %bb.82:                               ;   in Loop: Header=BB32_4 Depth=1
	s_wait_alu 0xfffe
	s_or_saveexec_b32 s72, s72
	v_dual_mov_b32 v2, 0 :: v_dual_mov_b32 v3, v103
	s_wait_alu 0xfffe
	s_xor_b32 exec_lo, exec_lo, s72
	s_cbranch_execz .LBB32_84
; %bb.83:                               ;   in Loop: Header=BB32_4 Depth=1
	ds_load_b64 v[4:5], v172 offset:528
	v_mov_b32_e32 v3, v108
	s_or_b32 s22, s22, exec_lo
	s_wait_dscnt 0x0
	v_xor_b32_e32 v2, 0x80000000, v5
	ds_store_b32 v108, v4
.LBB32_84:                              ;   in Loop: Header=BB32_4 Depth=1
	s_or_b32 exec_lo, exec_lo, s72
	s_wait_alu 0xfffe
	s_and_saveexec_b32 s72, s22
; %bb.85:                               ;   in Loop: Header=BB32_4 Depth=1
	ds_store_b32 v3, v2 offset:4
; %bb.86:                               ;   in Loop: Header=BB32_4 Depth=1
	s_wait_alu 0xfffe
	s_or_b32 exec_lo, exec_lo, s72
	s_wait_loadcnt_dscnt 0x0
	s_barrier_signal -1
	s_barrier_wait -1
	global_inv scope:SCOPE_SE
	ds_load_b64 v[10:11], v171
	ds_load_b128 v[2:5], v109 offset:256
	ds_load_2addr_b64 v[6:9], v172 offset1:33
	ds_load_b128 v[14:17], v109 offset:272
	ds_load_b64 v[18:19], v172 offset:528
	s_wait_loadcnt_dscnt 0x0
	s_barrier_signal -1
	s_barrier_wait -1
	global_inv scope:SCOPE_SE
	v_mul_f32_e32 v20, v3, v11
	v_dual_mul_f32 v11, v2, v11 :: v_dual_mul_f32 v22, v15, v9
	v_mul_f32_e32 v9, v14, v9
	s_delay_alu instid0(VALU_DEP_3) | instskip(SKIP_1) | instid1(VALU_DEP_4)
	v_fma_f32 v2, v2, v10, -v20
	v_mul_f32_e32 v21, v5, v7
	v_fmac_f32_e32 v11, v3, v10
	s_delay_alu instid0(VALU_DEP_4) | instskip(SKIP_3) | instid1(VALU_DEP_1)
	v_fmac_f32_e32 v9, v15, v8
	v_fma_f32 v10, v14, v8, -v22
	v_dual_add_f32 v2, 0, v2 :: v_dual_mul_f32 v7, v4, v7
	v_fma_f32 v4, v4, v6, -v21
	v_dual_add_f32 v2, v2, v4 :: v_dual_fmac_f32 v7, v5, v6
	v_mul_f32_e32 v6, v16, v19
	v_add_f32_e32 v5, 0, v11
	s_delay_alu instid0(VALU_DEP_3) | instskip(NEXT) | instid1(VALU_DEP_3)
	v_dual_mul_f32 v3, v17, v19 :: v_dual_add_f32 v2, v2, v10
	v_fmac_f32_e32 v6, v17, v18
	s_delay_alu instid0(VALU_DEP_3) | instskip(NEXT) | instid1(VALU_DEP_3)
	v_add_f32_e32 v4, v5, v7
	v_fma_f32 v3, v16, v18, -v3
	s_delay_alu instid0(VALU_DEP_2) | instskip(NEXT) | instid1(VALU_DEP_1)
	v_add_f32_e32 v4, v4, v9
	v_dual_add_f32 v2, v2, v3 :: v_dual_add_f32 v3, v4, v6
	ds_store_b64 v110, v[2:3]
	s_wait_loadcnt_dscnt 0x0
	s_barrier_signal -1
	s_barrier_wait -1
	global_inv scope:SCOPE_SE
	s_and_saveexec_b32 s22, s20
	s_cbranch_execz .LBB32_88
; %bb.87:                               ;   in Loop: Header=BB32_4 Depth=1
	ds_load_2addr_b64 v[2:5], v107 offset1:7
	ds_load_2addr_b64 v[6:9], v107 offset0:1 offset1:2
	ds_load_2addr_b64 v[14:17], v107 offset0:3 offset1:4
	ds_load_2addr_b64 v[18:21], v107 offset0:5 offset1:6
	s_wait_dscnt 0x2
	v_dual_add_f32 v2, v6, v2 :: v_dual_add_f32 v3, v7, v3
	s_delay_alu instid0(VALU_DEP_1) | instskip(SKIP_1) | instid1(VALU_DEP_1)
	v_dual_add_f32 v2, v8, v2 :: v_dual_add_f32 v3, v9, v3
	s_wait_dscnt 0x1
	v_dual_add_f32 v2, v2, v14 :: v_dual_add_f32 v3, v3, v15
	s_delay_alu instid0(VALU_DEP_1) | instskip(SKIP_1) | instid1(VALU_DEP_1)
	v_dual_add_f32 v2, v2, v16 :: v_dual_add_f32 v3, v3, v17
	s_wait_dscnt 0x0
	v_dual_add_f32 v2, v2, v18 :: v_dual_add_f32 v3, v3, v19
	s_delay_alu instid0(VALU_DEP_1) | instskip(NEXT) | instid1(VALU_DEP_1)
	v_dual_add_f32 v2, v2, v20 :: v_dual_add_f32 v3, v3, v21
	v_dual_add_f32 v66, v2, v4 :: v_dual_add_f32 v67, v3, v5
.LBB32_88:                              ;   in Loop: Header=BB32_4 Depth=1
	s_wait_alu 0xfffe
	s_or_b32 exec_lo, exec_lo, s22
	v_add_co_u32 v2, vcc_lo, 0xffffff00, v0
	s_wait_alu 0xfffd
	v_add_co_ci_u32_e64 v3, null, -1, v1, vcc_lo
	s_and_b32 vcc_lo, exec_lo, s76
	s_mov_b32 s22, -1
	s_wait_loadcnt 0x0
	s_barrier_signal -1
	s_barrier_wait -1
	global_inv scope:SCOPE_SE
                                        ; implicit-def: $vgpr14_vgpr15
	s_wait_alu 0xfffe
	s_cbranch_vccz .LBB32_100
; %bb.89:                               ;   in Loop: Header=BB32_4 Depth=1
	s_and_saveexec_b32 s22, s16
	s_wait_alu 0xfffe
	s_xor_b32 s22, exec_lo, s22
; %bb.90:                               ;   in Loop: Header=BB32_4 Depth=1
	v_mov_b32_e32 v57, v56
	ds_store_b64 v169, v[56:57]
; %bb.91:                               ;   in Loop: Header=BB32_4 Depth=1
	s_wait_alu 0xfffe
	s_or_saveexec_b32 s22, s22
	v_add_co_u32 v4, vcc_lo, v0, v64
	s_wait_alu 0xfffd
	v_add_co_ci_u32_e64 v5, null, v1, v65, vcc_lo
	s_lshl_b64 s[72:73], s[48:49], 3
	s_wait_alu 0xfffe
	v_add_co_u32 v4, vcc_lo, v4, s72
	s_wait_alu 0xfffd
	v_add_co_ci_u32_e64 v5, null, s73, v5, vcc_lo
	s_delay_alu instid0(VALU_DEP_2) | instskip(SKIP_1) | instid1(VALU_DEP_2)
	v_add_co_u32 v4, vcc_lo, 0xfffffef8, v4
	s_wait_alu 0xfffd
	v_add_co_ci_u32_e64 v5, null, -1, v5, vcc_lo
	s_delay_alu instid0(VALU_DEP_2) | instskip(NEXT) | instid1(VALU_DEP_2)
	v_cndmask_b32_e64 v4, v4, v2, s1
	v_cndmask_b32_e64 v5, v5, v3, s1
	s_xor_b32 exec_lo, exec_lo, s22
	s_cbranch_execnz .LBB32_182
; %bb.92:                               ;   in Loop: Header=BB32_4 Depth=1
	s_or_b32 exec_lo, exec_lo, s22
	s_and_saveexec_b32 s22, s17
	s_wait_alu 0xfffe
	s_xor_b32 s22, exec_lo, s22
	s_cbranch_execnz .LBB32_183
.LBB32_93:                              ;   in Loop: Header=BB32_4 Depth=1
	s_wait_alu 0xfffe
	s_and_not1_saveexec_b32 s22, s22
	s_cbranch_execnz .LBB32_184
.LBB32_94:                              ;   in Loop: Header=BB32_4 Depth=1
	s_wait_alu 0xfffe
	s_or_b32 exec_lo, exec_lo, s22
	s_and_saveexec_b32 s22, s18
	s_wait_alu 0xfffe
	s_xor_b32 s22, exec_lo, s22
	s_cbranch_execnz .LBB32_185
.LBB32_95:                              ;   in Loop: Header=BB32_4 Depth=1
	s_wait_alu 0xfffe
	s_and_not1_saveexec_b32 s22, s22
	s_cbranch_execnz .LBB32_186
.LBB32_96:                              ;   in Loop: Header=BB32_4 Depth=1
	s_wait_alu 0xfffe
	s_or_b32 exec_lo, exec_lo, s22
	s_and_saveexec_b32 s22, s19
	s_wait_alu 0xfffe
	s_xor_b32 s22, exec_lo, s22
	s_cbranch_execnz .LBB32_187
.LBB32_97:                              ;   in Loop: Header=BB32_4 Depth=1
	s_wait_alu 0xfffe
	s_and_not1_saveexec_b32 s22, s22
	s_cbranch_execz .LBB32_99
.LBB32_98:                              ;   in Loop: Header=BB32_4 Depth=1
	v_add_co_u32 v6, vcc_lo, v4, s58
	s_wait_alu 0xfffd
	v_add_co_ci_u32_e64 v7, null, s59, v5, vcc_lo
	flat_load_b64 v[6:7], v[6:7]
	s_wait_loadcnt_dscnt 0x0
	ds_store_b64 v169, v[6:7] offset:6336
.LBB32_99:                              ;   in Loop: Header=BB32_4 Depth=1
	s_wait_alu 0xfffe
	s_or_b32 exec_lo, exec_lo, s22
	v_add_co_u32 v4, vcc_lo, v4, v170
	s_wait_alu 0xfffd
	v_add_co_ci_u32_e64 v5, null, 0, v5, vcc_lo
	s_lshl_b64 s[72:73], s[60:61], 3
	s_mov_b32 s22, 0
	s_wait_alu 0xfffe
	v_add_co_u32 v4, vcc_lo, v4, s72
	s_wait_alu 0xfffd
	v_add_co_ci_u32_e64 v5, null, s73, v5, vcc_lo
	s_delay_alu instid0(VALU_DEP_2) | instskip(SKIP_1) | instid1(VALU_DEP_2)
	v_add_co_u32 v4, vcc_lo, v4, 8
	s_wait_alu 0xfffd
	v_add_co_ci_u32_e64 v5, null, 0, v5, vcc_lo
	s_delay_alu instid0(VALU_DEP_2) | instskip(NEXT) | instid1(VALU_DEP_2)
	v_cndmask_b32_e64 v14, v4, v2, s1
	v_cndmask_b32_e64 v15, v5, v3, s1
.LBB32_100:                             ;   in Loop: Header=BB32_4 Depth=1
	s_and_b32 vcc_lo, exec_lo, s22
	s_wait_alu 0xfffe
	s_cbranch_vccz .LBB32_102
; %bb.101:                              ;   in Loop: Header=BB32_4 Depth=1
	v_add_co_u32 v4, vcc_lo, v0, s54
	s_wait_alu 0xfffd
	v_add_co_ci_u32_e64 v5, null, s55, v1, vcc_lo
	v_dual_mov_b32 v15, v3 :: v_dual_mov_b32 v14, v2
	s_delay_alu instid0(VALU_DEP_3) | instskip(SKIP_1) | instid1(VALU_DEP_3)
	v_add_co_u32 v6, vcc_lo, v4, s54
	s_wait_alu 0xfffd
	v_add_co_ci_u32_e64 v7, null, s55, v5, vcc_lo
	s_delay_alu instid0(VALU_DEP_2) | instskip(SKIP_1) | instid1(VALU_DEP_2)
	v_add_co_u32 v8, vcc_lo, v6, s54
	s_wait_alu 0xfffd
	v_add_co_ci_u32_e64 v9, null, s55, v7, vcc_lo
	s_clause 0x3
	flat_load_b64 v[0:1], v[0:1] offset:-256
	flat_load_b64 v[4:5], v[4:5] offset:-256
	;; [unrolled: 1-line block ×4, first 2 shown]
	s_wait_loadcnt_dscnt 0x303
	ds_store_b64 v169, v[0:1]
	s_wait_loadcnt_dscnt 0x203
	ds_store_b64 v169, v[4:5] offset:2112
	s_wait_loadcnt_dscnt 0x103
	ds_store_b64 v169, v[6:7] offset:4224
	;; [unrolled: 2-line block ×3, first 2 shown]
.LBB32_102:                             ;   in Loop: Header=BB32_4 Depth=1
	v_add_nc_u32_e32 v0, v104, v111
	v_add_nc_u32_e32 v1, v109, v111
	s_wait_loadcnt_dscnt 0x0
	s_barrier_signal -1
	s_barrier_wait -1
	global_inv scope:SCOPE_SE
	ds_load_2addr_b64 v[20:23], v110 offset0:8 offset1:16
	ds_load_2addr_b64 v[24:27], v135 offset0:8 offset1:16
	ds_load_b64 v[28:29], v0
	ds_load_b64 v[30:31], v1
	ds_load_b64 v[32:33], v110 offset:192
	ds_load_b64 v[34:35], v135 offset:192
	ds_load_b128 v[8:11], v109 offset:256
	ds_load_b128 v[0:3], v109 offset:272
	ds_load_2addr_b64 v[4:7], v172 offset1:33
	ds_load_b64 v[18:19], v171
	ds_load_b64 v[16:17], v172 offset:528
	s_wait_loadcnt_dscnt 0x0
	s_barrier_signal -1
	s_barrier_wait -1
	global_inv scope:SCOPE_SE
	v_mul_f32_e32 v36, v21, v25
	v_dual_mul_f32 v21, v21, v24 :: v_dual_mul_f32 v38, v23, v27
	v_mul_f32_e32 v37, v29, v31
	v_mul_f32_e32 v29, v29, v30
	s_delay_alu instid0(VALU_DEP_4) | instskip(NEXT) | instid1(VALU_DEP_4)
	v_dual_mul_f32 v23, v23, v26 :: v_dual_fmac_f32 v36, v20, v24
	v_fmac_f32_e32 v38, v22, v26
	s_delay_alu instid0(VALU_DEP_4) | instskip(NEXT) | instid1(VALU_DEP_4)
	v_fmac_f32_e32 v37, v28, v30
	v_fma_f32 v28, v28, v31, -v29
	v_fma_f32 v20, v20, v25, -v21
	v_mul_f32_e32 v26, v33, v34
	v_fma_f32 v22, v22, v27, -v23
	s_delay_alu instid0(VALU_DEP_4) | instskip(SKIP_1) | instid1(VALU_DEP_4)
	v_dual_add_f32 v24, 0, v28 :: v_dual_add_f32 v21, 0, v37
	v_mul_f32_e32 v25, v33, v35
	v_fma_f32 v23, v32, v35, -v26
	s_delay_alu instid0(VALU_DEP_3) | instskip(NEXT) | instid1(VALU_DEP_4)
	v_add_f32_e32 v20, v24, v20
	v_add_f32_e32 v21, v21, v36
	s_delay_alu instid0(VALU_DEP_4) | instskip(NEXT) | instid1(VALU_DEP_3)
	v_fmac_f32_e32 v25, v32, v34
	v_add_f32_e32 v22, v20, v22
	s_delay_alu instid0(VALU_DEP_3) | instskip(NEXT) | instid1(VALU_DEP_1)
	v_add_f32_e32 v21, v21, v38
	v_dual_add_f32 v20, v21, v25 :: v_dual_add_f32 v21, v22, v23
	ds_store_b64 v110, v[20:21]
	s_wait_loadcnt_dscnt 0x0
	s_barrier_signal -1
	s_barrier_wait -1
	global_inv scope:SCOPE_SE
	s_and_saveexec_b32 s22, s20
	s_cbranch_execz .LBB32_104
; %bb.103:                              ;   in Loop: Header=BB32_4 Depth=1
	ds_load_2addr_b64 v[20:23], v107 offset1:1
	ds_load_2addr_b64 v[24:27], v107 offset0:2 offset1:3
	ds_load_2addr_b64 v[28:31], v107 offset0:4 offset1:5
	s_wait_dscnt 0x2
	v_dual_add_f32 v20, v66, v20 :: v_dual_add_f32 v21, v67, v21
	s_delay_alu instid0(VALU_DEP_1) | instskip(SKIP_3) | instid1(VALU_DEP_1)
	v_dual_add_f32 v32, v20, v22 :: v_dual_add_f32 v33, v21, v23
	ds_load_2addr_b64 v[20:23], v107 offset0:6 offset1:7
	s_wait_dscnt 0x2
	v_dual_add_f32 v24, v32, v24 :: v_dual_add_f32 v25, v33, v25
	v_dual_add_f32 v24, v24, v26 :: v_dual_add_f32 v25, v25, v27
	s_wait_dscnt 0x1
	s_delay_alu instid0(VALU_DEP_1) | instskip(NEXT) | instid1(VALU_DEP_1)
	v_dual_add_f32 v24, v24, v28 :: v_dual_add_f32 v25, v25, v29
	v_dual_add_f32 v24, v24, v30 :: v_dual_add_f32 v25, v25, v31
	s_wait_dscnt 0x0
	s_delay_alu instid0(VALU_DEP_1) | instskip(NEXT) | instid1(VALU_DEP_1)
	v_dual_add_f32 v20, v24, v20 :: v_dual_add_f32 v21, v25, v21
	v_dual_add_f32 v66, v20, v22 :: v_dual_add_f32 v67, v21, v23
.LBB32_104:                             ;   in Loop: Header=BB32_4 Depth=1
	s_wait_alu 0xfffe
	s_or_b32 exec_lo, exec_lo, s22
	v_dual_mul_f32 v20, v9, v19 :: v_dual_mul_f32 v21, v11, v5
	v_mul_f32_e32 v19, v8, v19
	v_dual_mul_f32 v5, v10, v5 :: v_dual_mul_f32 v22, v1, v7
	s_delay_alu instid0(VALU_DEP_3) | instskip(NEXT) | instid1(VALU_DEP_4)
	v_fma_f32 v8, v8, v18, -v20
	v_fma_f32 v10, v10, v4, -v21
	v_mul_f32_e32 v7, v0, v7
	s_wait_loadcnt 0x0
	v_fma_f32 v0, v0, v6, -v22
	v_add_f32_e32 v8, 0, v8
	v_fmac_f32_e32 v5, v11, v4
	v_fmac_f32_e32 v7, v1, v6
	s_barrier_signal -1
	s_barrier_wait -1
	v_add_f32_e32 v8, v8, v10
	v_fmac_f32_e32 v19, v9, v18
	global_inv scope:SCOPE_SE
	v_dual_add_f32 v0, v8, v0 :: v_dual_mul_f32 v9, v3, v17
	v_dual_add_f32 v4, 0, v19 :: v_dual_mul_f32 v11, v2, v17
	s_delay_alu instid0(VALU_DEP_2) | instskip(NEXT) | instid1(VALU_DEP_2)
	v_fma_f32 v2, v2, v16, -v9
	v_add_f32_e32 v1, v4, v5
	s_delay_alu instid0(VALU_DEP_2) | instskip(NEXT) | instid1(VALU_DEP_2)
	v_dual_add_f32 v0, v0, v2 :: v_dual_fmac_f32 v11, v3, v16
	v_add_f32_e32 v1, v1, v7
	s_delay_alu instid0(VALU_DEP_1)
	v_add_f32_e32 v1, v1, v11
	ds_store_b64 v110, v[0:1]
	s_wait_loadcnt_dscnt 0x0
	s_barrier_signal -1
	s_barrier_wait -1
	global_inv scope:SCOPE_SE
	s_and_saveexec_b32 s22, s14
	s_cbranch_execz .LBB32_106
; %bb.105:                              ;   in Loop: Header=BB32_4 Depth=1
	ds_load_2addr_b64 v[0:3], v107 offset1:1
	ds_load_2addr_b64 v[4:7], v107 offset0:2 offset1:3
	ds_load_2addr_b64 v[8:11], v107 offset0:4 offset1:5
	s_wait_dscnt 0x2
	v_dual_add_f32 v0, v66, v0 :: v_dual_add_f32 v1, v67, v1
	s_delay_alu instid0(VALU_DEP_1) | instskip(SKIP_3) | instid1(VALU_DEP_1)
	v_dual_add_f32 v16, v0, v2 :: v_dual_add_f32 v17, v1, v3
	ds_load_2addr_b64 v[0:3], v107 offset0:6 offset1:7
	s_wait_dscnt 0x2
	v_dual_add_f32 v4, v16, v4 :: v_dual_add_f32 v5, v17, v5
	v_dual_add_f32 v4, v4, v6 :: v_dual_add_f32 v5, v5, v7
	s_wait_dscnt 0x1
	s_delay_alu instid0(VALU_DEP_1) | instskip(NEXT) | instid1(VALU_DEP_1)
	v_dual_add_f32 v4, v4, v8 :: v_dual_add_f32 v5, v5, v9
	v_dual_add_f32 v4, v4, v10 :: v_dual_add_f32 v5, v5, v11
	s_wait_dscnt 0x0
	s_delay_alu instid0(VALU_DEP_1) | instskip(NEXT) | instid1(VALU_DEP_1)
	v_dual_add_f32 v0, v4, v0 :: v_dual_add_f32 v1, v5, v1
	v_dual_add_f32 v66, v0, v2 :: v_dual_add_f32 v67, v1, v3
.LBB32_106:                             ;   in Loop: Header=BB32_4 Depth=1
	s_wait_alu 0xfffe
	s_or_b32 exec_lo, exec_lo, s22
	s_mul_u64 s[72:73], s[50:51], s[34:35]
	s_and_not1_b32 vcc_lo, exec_lo, s47
	s_wait_alu 0xfffe
	s_lshl_b64 s[72:73], s[72:73], 3
	s_wait_loadcnt 0x0
	s_wait_alu 0xfffe
	s_add_nc_u64 s[72:73], s[52:53], s[72:73]
	s_barrier_signal -1
	s_barrier_wait -1
	global_inv scope:SCOPE_SE
	s_cbranch_vccnz .LBB32_164
; %bb.107:                              ;   in Loop: Header=BB32_4 Depth=1
	v_add_co_u32 v173, vcc_lo, v12, s70
	s_wait_alu 0xfffd
	v_add_co_ci_u32_e64 v174, null, s71, v13, vcc_lo
	v_add_co_u32 v175, vcc_lo, v14, v137
	s_wait_alu 0xfffd
	v_add_co_ci_u32_e64 v176, null, v15, v136, vcc_lo
	;; [unrolled: 3-line block ×17, first 2 shown]
	s_mov_b32 s81, ttmp9
	s_mov_b32 s74, s80
	s_cmp_eq_u32 s78, s81
	s_cselect_b32 s82, s33, 0
	s_and_saveexec_b32 s22, s0
	s_cbranch_execz .LBB32_112
.LBB32_108:                             ;   in Loop: Header=BB32_4 Depth=1
	s_wait_alu 0xfffe
	v_cmp_le_i32_e32 vcc_lo, s82, v100
	s_cmp_lg_u32 s82, 0
	s_cselect_b32 s75, -1, 0
	s_wait_alu 0xfffe
	s_and_b32 s75, s75, vcc_lo
	s_wait_alu 0xfffe
	s_and_saveexec_b32 s83, s75
	s_wait_alu 0xfffe
	s_xor_b32 s75, exec_lo, s83
; %bb.109:                              ;   in Loop: Header=BB32_4 Depth=1
	v_mov_b32_e32 v57, v56
	ds_store_b64 v113, v[56:57]
; %bb.110:                              ;   in Loop: Header=BB32_4 Depth=1
	s_wait_alu 0xfffe
	s_and_not1_saveexec_b32 s75, s75
	s_cbranch_execz .LBB32_112
; %bb.111:                              ;   in Loop: Header=BB32_4 Depth=1
	s_ashr_i32 s75, s74, 31
	s_wait_alu 0xfffe
	s_mul_u64 s[84:85], s[44:45], s[74:75]
	s_wait_alu 0xfffe
	s_lshl_b64 s[84:85], s[84:85], 3
	s_wait_alu 0xfffe
	v_add_co_u32 v0, vcc_lo, v173, s84
	s_wait_alu 0xfffd
	v_add_co_ci_u32_e64 v1, null, s85, v174, vcc_lo
	flat_load_b64 v[0:1], v[0:1]
	s_wait_loadcnt_dscnt 0x0
	ds_store_b64 v113, v[0:1]
.LBB32_112:                             ;   Parent Loop BB32_4 Depth=1
                                        ; =>  This Inner Loop Header: Depth=2
	s_wait_alu 0xfffe
	s_or_b32 exec_lo, exec_lo, s22
	s_cmp_eq_u32 s82, 0
	v_add_co_u32 v0, vcc_lo, v183, v101
	s_cselect_b32 s75, -1, 0
	s_cmp_lg_u32 s82, 0
	s_wait_alu 0xfffd
	v_add_co_ci_u32_e64 v1, null, 0, v184, vcc_lo
	s_cselect_b32 s22, -1, 0
	s_wait_loadcnt_dscnt 0x0
	s_wait_alu 0xfffe
	s_and_b32 vcc_lo, exec_lo, s22
	s_barrier_signal -1
	s_barrier_wait -1
	global_inv scope:SCOPE_SE
	s_wait_alu 0xfffe
	s_cbranch_vccz .LBB32_120
; %bb.113:                              ;   in Loop: Header=BB32_112 Depth=2
	v_dual_mov_b32 v70, 0 :: v_dual_mov_b32 v69, 0
	v_mov_b32_e32 v68, 0
	s_mov_b32 s83, exec_lo
	v_cmpx_gt_i32_e64 s82, v112
	s_cbranch_execz .LBB32_115
; %bb.114:                              ;   in Loop: Header=BB32_112 Depth=2
	flat_load_b64 v[68:69], v[0:1]
.LBB32_115:                             ;   in Loop: Header=BB32_112 Depth=2
	s_wait_alu 0xfffe
	s_or_b32 exec_lo, exec_lo, s83
	v_mov_b32_e32 v71, 0
	s_mov_b32 s83, exec_lo
	v_cmpx_gt_i32_e64 s82, v119
	s_cbranch_execz .LBB32_117
; %bb.116:                              ;   in Loop: Header=BB32_112 Depth=2
	v_add_co_u32 v2, vcc_lo, v179, v101
	s_wait_alu 0xfffd
	v_add_co_ci_u32_e64 v3, null, 0, v180, vcc_lo
	flat_load_b64 v[70:71], v[2:3]
.LBB32_117:                             ;   in Loop: Header=BB32_112 Depth=2
	s_wait_alu 0xfffe
	s_or_b32 exec_lo, exec_lo, s83
	v_dual_mov_b32 v72, 0 :: v_dual_mov_b32 v73, 0
	s_mov_b32 s83, exec_lo
	v_cmpx_gt_i32_e64 s82, v120
	s_cbranch_execz .LBB32_119
; %bb.118:                              ;   in Loop: Header=BB32_112 Depth=2
	v_add_co_u32 v2, vcc_lo, v175, v101
	s_wait_alu 0xfffd
	v_add_co_ci_u32_e64 v3, null, 0, v176, vcc_lo
	flat_load_b64 v[72:73], v[2:3] offset:-4
.LBB32_119:                             ;   in Loop: Header=BB32_112 Depth=2
	s_wait_alu 0xfffe
	s_or_b32 exec_lo, exec_lo, s83
	v_cmp_gt_i32_e64 s83, s82, v121
	s_branch .LBB32_122
.LBB32_120:                             ;   in Loop: Header=BB32_112 Depth=2
	s_mov_b32 s83, 0
                                        ; implicit-def: $vgpr69
                                        ; implicit-def: $vgpr71
                                        ; implicit-def: $vgpr73
	s_cbranch_execz .LBB32_122
; %bb.121:                              ;   in Loop: Header=BB32_112 Depth=2
	v_add_co_u32 v2, vcc_lo, v179, v101
	s_wait_alu 0xfffd
	v_add_co_ci_u32_e64 v3, null, 0, v180, vcc_lo
	v_add_co_u32 v4, vcc_lo, v175, v101
	s_wait_alu 0xfffd
	v_add_co_ci_u32_e64 v5, null, 0, v176, vcc_lo
	s_wait_loadcnt_dscnt 0x0
	flat_load_b64 v[68:69], v[0:1]
	flat_load_b64 v[70:71], v[2:3]
	flat_load_b64 v[72:73], v[4:5] offset:-4
	s_wait_alu 0xfffe
	s_or_b32 s83, s83, exec_lo
.LBB32_122:                             ;   in Loop: Header=BB32_112 Depth=2
	v_dual_mov_b32 v74, 0 :: v_dual_mov_b32 v75, 0
	s_wait_alu 0xfffe
	s_delay_alu instid0(VALU_DEP_2)
	s_and_saveexec_b32 s84, s83
	s_cbranch_execz .LBB32_124
; %bb.123:                              ;   in Loop: Header=BB32_112 Depth=2
	v_add_co_u32 v0, vcc_lo, v187, v101
	s_wait_alu 0xfffd
	v_add_co_ci_u32_e64 v1, null, 0, v188, vcc_lo
	flat_load_b64 v[74:75], v[0:1]
.LBB32_124:                             ;   in Loop: Header=BB32_112 Depth=2
	s_wait_alu 0xfffe
	s_or_b32 exec_lo, exec_lo, s84
	ds_load_b64 v[4:5], v102
	ds_load_b128 v[0:3], v114
	v_cndmask_b32_e64 v40, 0, 1, s22
	s_wait_loadcnt_dscnt 0x1
	v_dual_mul_f32 v8, v69, v5 :: v_dual_mul_f32 v7, v71, v4
	v_mul_f32_e32 v6, v69, v4
	v_dual_mul_f32 v10, v71, v5 :: v_dual_mul_f32 v13, v73, v4
	v_dual_mul_f32 v12, v73, v5 :: v_dual_mul_f32 v15, v75, v4
	v_mul_f32_e32 v14, v75, v5
	v_fmac_f32_e32 v8, v68, v4
	v_fma_f32 v9, v68, v5, -v6
	v_fmac_f32_e32 v10, v70, v4
	v_fma_f32 v11, v70, v5, -v7
	;; [unrolled: 2-line block ×4, first 2 shown]
	ds_load_b128 v[4:7], v114 offset:16
	ds_store_2addr_b64 v115, v[8:9], v[10:11] offset1:67
	ds_store_2addr_b64 v115, v[12:13], v[14:15] offset0:134 offset1:201
	s_wait_dscnt 0x0
	s_barrier_signal -1
	s_barrier_wait -1
	global_inv scope:SCOPE_SE
	ds_load_2addr_b64 v[16:19], v116 offset1:1
	ds_load_2addr_b64 v[8:11], v116 offset0:2 offset1:3
	v_add_co_u32 v12, vcc_lo, v199, v101
	s_wait_alu 0xfffd
	v_add_co_ci_u32_e64 v13, null, 0, v200, vcc_lo
	s_and_not1_b32 vcc_lo, exec_lo, s22
	s_wait_loadcnt_dscnt 0x0
	s_barrier_signal -1
	s_barrier_wait -1
	global_inv scope:SCOPE_SE
	s_wait_alu 0xfffe
	s_cbranch_vccnz .LBB32_132
; %bb.125:                              ;   in Loop: Header=BB32_112 Depth=2
	v_dual_mov_b32 v76, 0 :: v_dual_mov_b32 v79, 0
	v_mov_b32_e32 v78, 0
	s_mov_b32 s22, exec_lo
	v_cmpx_gt_i32_e64 s82, v122
	s_cbranch_execz .LBB32_127
; %bb.126:                              ;   in Loop: Header=BB32_112 Depth=2
	flat_load_b64 v[78:79], v[12:13]
.LBB32_127:                             ;   in Loop: Header=BB32_112 Depth=2
	s_wait_alu 0xfffe
	s_or_b32 exec_lo, exec_lo, s22
	v_mov_b32_e32 v77, 0
	s_mov_b32 s22, exec_lo
	v_cmpx_gt_i32_e64 s82, v123
	s_cbranch_execz .LBB32_129
; %bb.128:                              ;   in Loop: Header=BB32_112 Depth=2
	v_add_co_u32 v14, vcc_lo, v195, v101
	s_wait_alu 0xfffd
	v_add_co_ci_u32_e64 v15, null, 0, v196, vcc_lo
	flat_load_b64 v[76:77], v[14:15]
.LBB32_129:                             ;   in Loop: Header=BB32_112 Depth=2
	s_wait_alu 0xfffe
	s_or_b32 exec_lo, exec_lo, s22
	v_dual_mov_b32 v80, 0 :: v_dual_mov_b32 v81, 0
	s_mov_b32 s22, exec_lo
	v_cmpx_gt_i32_e64 s82, v124
	s_cbranch_execz .LBB32_131
; %bb.130:                              ;   in Loop: Header=BB32_112 Depth=2
	v_add_co_u32 v14, vcc_lo, v191, v101
	s_wait_alu 0xfffd
	v_add_co_ci_u32_e64 v15, null, 0, v192, vcc_lo
	flat_load_b64 v[80:81], v[14:15] offset:-4
.LBB32_131:                             ;   in Loop: Header=BB32_112 Depth=2
	s_wait_alu 0xfffe
	s_or_b32 exec_lo, exec_lo, s22
	v_cmp_gt_i32_e64 s22, s82, v125
	s_branch .LBB32_134
.LBB32_132:                             ;   in Loop: Header=BB32_112 Depth=2
	s_mov_b32 s22, 0
                                        ; implicit-def: $vgpr79
                                        ; implicit-def: $vgpr77
                                        ; implicit-def: $vgpr81
	s_cbranch_execz .LBB32_134
; %bb.133:                              ;   in Loop: Header=BB32_112 Depth=2
	v_add_co_u32 v14, vcc_lo, v195, v101
	s_wait_alu 0xfffd
	v_add_co_ci_u32_e64 v15, null, 0, v196, vcc_lo
	v_add_co_u32 v20, vcc_lo, v191, v101
	s_wait_alu 0xfffd
	v_add_co_ci_u32_e64 v21, null, 0, v192, vcc_lo
	s_wait_loadcnt_dscnt 0x0
	flat_load_b64 v[78:79], v[12:13]
	flat_load_b64 v[76:77], v[14:15]
	flat_load_b64 v[80:81], v[20:21] offset:-4
	s_wait_alu 0xfffe
	s_or_b32 s22, s22, exec_lo
.LBB32_134:                             ;   in Loop: Header=BB32_112 Depth=2
	v_dual_mov_b32 v82, 0 :: v_dual_mov_b32 v83, 0
	s_wait_alu 0xfffe
	s_delay_alu instid0(VALU_DEP_2)
	s_and_saveexec_b32 s83, s22
	s_cbranch_execz .LBB32_136
; %bb.135:                              ;   in Loop: Header=BB32_112 Depth=2
	v_add_co_u32 v12, vcc_lo, v203, v101
	s_wait_alu 0xfffd
	v_add_co_ci_u32_e64 v13, null, 0, v204, vcc_lo
	flat_load_b64 v[82:83], v[12:13]
.LBB32_136:                             ;   in Loop: Header=BB32_112 Depth=2
	s_wait_alu 0xfffe
	s_or_b32 exec_lo, exec_lo, s83
	ds_load_b64 v[20:21], v102
	ds_load_b128 v[12:15], v114 offset:128
	v_cmp_ne_u32_e32 vcc_lo, 1, v40
	s_and_b32 vcc_lo, exec_lo, vcc_lo
	s_wait_loadcnt_dscnt 0x1
	v_dual_mul_f32 v24, v79, v21 :: v_dual_mul_f32 v23, v77, v20
	v_mul_f32_e32 v22, v79, v20
	v_dual_mul_f32 v26, v77, v21 :: v_dual_mul_f32 v31, v83, v20
	v_mul_f32_e32 v28, v81, v21
	v_dual_mul_f32 v29, v81, v20 :: v_dual_mul_f32 v30, v83, v21
	v_fmac_f32_e32 v24, v78, v20
	v_fma_f32 v25, v78, v21, -v22
	v_fmac_f32_e32 v26, v76, v20
	v_fma_f32 v27, v76, v21, -v23
	;; [unrolled: 2-line block ×4, first 2 shown]
	ds_load_b128 v[20:23], v114 offset:144
	ds_store_2addr_b64 v115, v[24:25], v[26:27] offset1:67
	ds_store_2addr_b64 v115, v[28:29], v[30:31] offset0:134 offset1:201
	s_wait_dscnt 0x0
	s_barrier_signal -1
	s_barrier_wait -1
	global_inv scope:SCOPE_SE
	ds_load_2addr_b64 v[36:39], v116 offset1:1
	ds_load_2addr_b64 v[32:35], v116 offset0:2 offset1:3
	v_add_co_u32 v24, s22, v197, v101
	s_wait_alu 0xf1ff
	v_add_co_ci_u32_e64 v25, null, 0, v198, s22
	s_wait_loadcnt_dscnt 0x0
	s_barrier_signal -1
	s_barrier_wait -1
	global_inv scope:SCOPE_SE
	s_wait_alu 0xfffe
	s_cbranch_vccnz .LBB32_144
; %bb.137:                              ;   in Loop: Header=BB32_112 Depth=2
	v_dual_mov_b32 v84, 0 :: v_dual_mov_b32 v87, 0
	v_mov_b32_e32 v86, 0
	s_mov_b32 s22, exec_lo
	v_cmpx_gt_i32_e64 s82, v126
	s_cbranch_execz .LBB32_139
; %bb.138:                              ;   in Loop: Header=BB32_112 Depth=2
	flat_load_b64 v[86:87], v[24:25] offset:-4
.LBB32_139:                             ;   in Loop: Header=BB32_112 Depth=2
	s_wait_alu 0xfffe
	s_or_b32 exec_lo, exec_lo, s22
	v_mov_b32_e32 v85, 0
	s_mov_b32 s22, exec_lo
	v_cmpx_gt_i32_e64 s82, v127
	s_cbranch_execz .LBB32_141
; %bb.140:                              ;   in Loop: Header=BB32_112 Depth=2
	v_add_co_u32 v26, vcc_lo, v201, v101
	s_wait_alu 0xfffd
	v_add_co_ci_u32_e64 v27, null, 0, v202, vcc_lo
	flat_load_b64 v[84:85], v[26:27] offset:-4
.LBB32_141:                             ;   in Loop: Header=BB32_112 Depth=2
	s_wait_alu 0xfffe
	s_or_b32 exec_lo, exec_lo, s22
	v_dual_mov_b32 v88, 0 :: v_dual_mov_b32 v89, 0
	s_mov_b32 s22, exec_lo
	v_cmpx_gt_i32_e64 s82, v128
	s_cbranch_execz .LBB32_143
; %bb.142:                              ;   in Loop: Header=BB32_112 Depth=2
	v_add_co_u32 v26, vcc_lo, v205, v101
	s_wait_alu 0xfffd
	v_add_co_ci_u32_e64 v27, null, 0, v206, vcc_lo
	flat_load_b64 v[88:89], v[26:27] offset:-4
.LBB32_143:                             ;   in Loop: Header=BB32_112 Depth=2
	s_wait_alu 0xfffe
	s_or_b32 exec_lo, exec_lo, s22
	v_cmp_gt_i32_e64 s22, s82, v129
	s_branch .LBB32_146
.LBB32_144:                             ;   in Loop: Header=BB32_112 Depth=2
	s_mov_b32 s22, 0
                                        ; implicit-def: $vgpr87
                                        ; implicit-def: $vgpr85
                                        ; implicit-def: $vgpr89
	s_cbranch_execz .LBB32_146
; %bb.145:                              ;   in Loop: Header=BB32_112 Depth=2
	v_add_co_u32 v26, vcc_lo, v201, v101
	s_wait_alu 0xfffd
	v_add_co_ci_u32_e64 v27, null, 0, v202, vcc_lo
	v_add_co_u32 v28, vcc_lo, v205, v101
	s_wait_alu 0xfffd
	v_add_co_ci_u32_e64 v29, null, 0, v206, vcc_lo
	s_wait_loadcnt_dscnt 0x0
	flat_load_b64 v[86:87], v[24:25] offset:-4
	flat_load_b64 v[84:85], v[26:27] offset:-4
	;; [unrolled: 1-line block ×3, first 2 shown]
	s_wait_alu 0xfffe
	s_or_b32 s22, s22, exec_lo
.LBB32_146:                             ;   in Loop: Header=BB32_112 Depth=2
	v_dual_mov_b32 v90, 0 :: v_dual_mov_b32 v91, 0
	s_wait_alu 0xfffe
	s_delay_alu instid0(VALU_DEP_2)
	s_and_saveexec_b32 s83, s22
	s_cbranch_execz .LBB32_148
; %bb.147:                              ;   in Loop: Header=BB32_112 Depth=2
	v_add_co_u32 v24, vcc_lo, v193, v101
	s_wait_alu 0xfffd
	v_add_co_ci_u32_e64 v25, null, 0, v194, vcc_lo
	flat_load_b64 v[90:91], v[24:25] offset:-4
.LBB32_148:                             ;   in Loop: Header=BB32_112 Depth=2
	s_wait_alu 0xfffe
	s_or_b32 exec_lo, exec_lo, s83
	ds_load_b64 v[28:29], v102
	ds_load_b128 v[24:27], v114 offset:256
	v_cmp_ne_u32_e32 vcc_lo, 1, v40
	v_add_co_u32 v40, s22, v181, v101
	s_and_b32 vcc_lo, exec_lo, vcc_lo
	s_wait_loadcnt_dscnt 0x1
	v_dual_mul_f32 v41, v87, v29 :: v_dual_mul_f32 v46, v89, v28
	v_dual_mul_f32 v30, v87, v28 :: v_dual_mul_f32 v43, v85, v29
	v_mul_f32_e32 v31, v85, v28
	v_dual_mul_f32 v45, v89, v29 :: v_dual_mul_f32 v48, v91, v28
	v_mul_f32_e32 v47, v91, v29
	v_fmac_f32_e32 v41, v86, v28
	v_fma_f32 v42, v86, v29, -v30
	v_fmac_f32_e32 v43, v84, v28
	v_fma_f32 v44, v84, v29, -v31
	;; [unrolled: 2-line block ×4, first 2 shown]
	ds_load_b128 v[28:31], v114 offset:272
	ds_store_2addr_b64 v115, v[41:42], v[43:44] offset1:67
	ds_store_2addr_b64 v115, v[45:46], v[47:48] offset0:134 offset1:201
	s_wait_dscnt 0x0
	s_barrier_signal -1
	s_barrier_wait -1
	global_inv scope:SCOPE_SE
	ds_load_2addr_b64 v[52:55], v116 offset1:1
	ds_load_2addr_b64 v[48:51], v116 offset0:2 offset1:3
	s_wait_alu 0xf1ff
	v_add_co_ci_u32_e64 v41, null, 0, v182, s22
	s_wait_loadcnt_dscnt 0x0
	s_barrier_signal -1
	s_barrier_wait -1
	global_inv scope:SCOPE_SE
	s_wait_alu 0xfffe
	s_cbranch_vccnz .LBB32_156
; %bb.149:                              ;   in Loop: Header=BB32_112 Depth=2
	v_dual_mov_b32 v94, 0 :: v_dual_mov_b32 v93, 0
	v_mov_b32_e32 v92, 0
	s_mov_b32 s22, exec_lo
	v_cmpx_gt_i32_e64 s82, v130
	s_cbranch_execz .LBB32_151
; %bb.150:                              ;   in Loop: Header=BB32_112 Depth=2
	flat_load_b64 v[92:93], v[40:41] offset:-4
.LBB32_151:                             ;   in Loop: Header=BB32_112 Depth=2
	s_wait_alu 0xfffe
	s_or_b32 exec_lo, exec_lo, s22
	v_mov_b32_e32 v95, 0
	s_mov_b32 s22, exec_lo
	v_cmpx_gt_i32_e64 s82, v131
	s_cbranch_execz .LBB32_153
; %bb.152:                              ;   in Loop: Header=BB32_112 Depth=2
	v_add_co_u32 v42, vcc_lo, v185, v101
	s_wait_alu 0xfffd
	v_add_co_ci_u32_e64 v43, null, 0, v186, vcc_lo
	flat_load_b64 v[94:95], v[42:43] offset:-4
.LBB32_153:                             ;   in Loop: Header=BB32_112 Depth=2
	s_wait_alu 0xfffe
	s_or_b32 exec_lo, exec_lo, s22
	v_dual_mov_b32 v96, 0 :: v_dual_mov_b32 v97, 0
	s_mov_b32 s22, exec_lo
	v_cmpx_gt_i32_e64 s82, v132
	s_cbranch_execz .LBB32_155
; %bb.154:                              ;   in Loop: Header=BB32_112 Depth=2
	v_add_co_u32 v42, vcc_lo, v189, v101
	s_wait_alu 0xfffd
	v_add_co_ci_u32_e64 v43, null, 0, v190, vcc_lo
	flat_load_b64 v[96:97], v[42:43]
.LBB32_155:                             ;   in Loop: Header=BB32_112 Depth=2
	s_wait_alu 0xfffe
	s_or_b32 exec_lo, exec_lo, s22
	v_cmp_gt_i32_e64 s22, s82, v133
	s_branch .LBB32_158
.LBB32_156:                             ;   in Loop: Header=BB32_112 Depth=2
	s_mov_b32 s22, 0
                                        ; implicit-def: $vgpr93
                                        ; implicit-def: $vgpr95
                                        ; implicit-def: $vgpr97
	s_cbranch_execz .LBB32_158
; %bb.157:                              ;   in Loop: Header=BB32_112 Depth=2
	v_add_co_u32 v42, vcc_lo, v185, v101
	s_wait_alu 0xfffd
	v_add_co_ci_u32_e64 v43, null, 0, v186, vcc_lo
	v_add_co_u32 v44, vcc_lo, v189, v101
	s_wait_alu 0xfffd
	v_add_co_ci_u32_e64 v45, null, 0, v190, vcc_lo
	s_wait_loadcnt_dscnt 0x0
	flat_load_b64 v[92:93], v[40:41] offset:-4
	flat_load_b64 v[94:95], v[42:43] offset:-4
	flat_load_b64 v[96:97], v[44:45]
	s_wait_alu 0xfffe
	s_or_b32 s22, s22, exec_lo
.LBB32_158:                             ;   in Loop: Header=BB32_112 Depth=2
	v_dual_mov_b32 v98, 0 :: v_dual_mov_b32 v99, 0
	s_wait_alu 0xfffe
	s_delay_alu instid0(VALU_DEP_2)
	s_and_saveexec_b32 s83, s22
	s_cbranch_execz .LBB32_160
; %bb.159:                              ;   in Loop: Header=BB32_112 Depth=2
	v_add_co_u32 v40, vcc_lo, v177, v101
	s_wait_alu 0xfffd
	v_add_co_ci_u32_e64 v41, null, 0, v178, vcc_lo
	flat_load_b64 v[98:99], v[40:41] offset:-4
.LBB32_160:                             ;   in Loop: Header=BB32_112 Depth=2
	s_wait_alu 0xfffe
	s_or_b32 exec_lo, exec_lo, s83
	ds_load_b64 v[44:45], v102
	ds_load_b128 v[40:43], v114 offset:384
	v_dual_add_f32 v53, 0, v53 :: v_dual_add_f32 v16, 0, v16
	v_cmp_gt_i32_e32 vcc_lo, s82, v100
	v_add_f32_e32 v52, 0, v52
	v_add_f32_e32 v36, 0, v36
	s_delay_alu instid0(VALU_DEP_4)
	v_add_f32_e32 v16, v16, v18
	s_or_b32 s22, s75, vcc_lo
	s_wait_alu 0xfffe
	s_and_b32 s75, s21, s22
	v_dual_add_f32 v36, v36, v38 :: v_dual_add_f32 v17, 0, v17
	v_add_f32_e32 v38, v16, v8
	s_delay_alu instid0(VALU_DEP_2) | instskip(SKIP_1) | instid1(VALU_DEP_2)
	v_dual_add_f32 v32, v36, v32 :: v_dual_add_f32 v17, v17, v19
	s_wait_loadcnt_dscnt 0x1
	v_dual_add_f32 v10, v38, v10 :: v_dual_mul_f32 v211, v97, v45
	v_mul_f32_e32 v57, v97, v44
	v_dual_mul_f32 v207, v93, v45 :: v_dual_mul_f32 v214, v99, v44
	v_dual_mul_f32 v46, v93, v44 :: v_dual_mul_f32 v209, v95, v45
	v_mul_f32_e32 v47, v95, v44
	v_mul_f32_e32 v213, v99, v45
	v_fma_f32 v212, v96, v45, -v57
	v_add_f32_e32 v57, v52, v54
	v_fma_f32 v208, v92, v45, -v46
	v_fmac_f32_e32 v209, v94, v44
	v_fma_f32 v210, v94, v45, -v47
	s_delay_alu instid0(VALU_DEP_4)
	v_dual_add_f32 v37, 0, v37 :: v_dual_add_f32 v18, v57, v48
	v_fmac_f32_e32 v207, v92, v44
	v_fmac_f32_e32 v211, v96, v44
	;; [unrolled: 1-line block ×3, first 2 shown]
	v_fma_f32 v214, v98, v45, -v214
	ds_load_b128 v[44:47], v114 offset:400
	v_dual_add_f32 v37, v37, v39 :: v_dual_add_f32 v8, v18, v50
	ds_store_2addr_b64 v115, v[207:208], v[209:210] offset1:67
	ds_store_2addr_b64 v115, v[211:212], v[213:214] offset0:134 offset1:201
	s_wait_dscnt 0x0
	s_barrier_signal -1
	s_barrier_wait -1
	global_inv scope:SCOPE_SE
	ds_load_2addr_b64 v[207:210], v116 offset1:1
	v_dual_add_f32 v211, v53, v55 :: v_dual_add_f32 v16, v32, v34
	ds_load_2addr_b64 v[52:55], v116 offset0:2 offset1:3
	v_add_f32_e32 v33, v37, v33
	v_add_f32_e32 v39, v17, v9
	s_wait_loadcnt_dscnt 0x0
	s_barrier_signal -1
	s_barrier_wait -1
	v_add_f32_e32 v17, v33, v35
	v_add_f32_e32 v11, v39, v11
	global_inv scope:SCOPE_SE
	v_dual_add_f32 v36, 0, v207 :: v_dual_add_f32 v37, 0, v208
	s_delay_alu instid0(VALU_DEP_1) | instskip(NEXT) | instid1(VALU_DEP_2)
	v_add_f32_e32 v18, v36, v209
	v_add_f32_e32 v36, v37, v210
	s_delay_alu instid0(VALU_DEP_2) | instskip(NEXT) | instid1(VALU_DEP_1)
	v_dual_add_f32 v18, v18, v52 :: v_dual_add_f32 v19, v211, v49
	v_dual_add_f32 v18, v18, v54 :: v_dual_add_f32 v9, v19, v51
	s_delay_alu instid0(VALU_DEP_3) | instskip(NEXT) | instid1(VALU_DEP_1)
	v_add_f32_e32 v19, v36, v53
	v_add_f32_e32 v19, v19, v55
	ds_store_2addr_b64 v168, v[10:11], v[16:17] offset1:16
	ds_store_2addr_b64 v168, v[8:9], v[18:19] offset0:32 offset1:48
	s_wait_loadcnt_dscnt 0x0
	s_barrier_signal -1
	s_barrier_wait -1
	global_inv scope:SCOPE_SE
	s_wait_alu 0xfffe
	s_and_saveexec_b32 s22, s75
	s_cbranch_execz .LBB32_162
; %bb.161:                              ;   in Loop: Header=BB32_112 Depth=2
	ds_load_b64 v[36:37], v117
	ds_load_2addr_b64 v[8:11], v117 offset0:1 offset1:2
	ds_load_2addr_b64 v[16:19], v117 offset0:3 offset1:4
	;; [unrolled: 1-line block ×3, first 2 shown]
	s_wait_dscnt 0x2
	v_dual_add_f32 v8, v8, v36 :: v_dual_add_f32 v9, v9, v37
	s_delay_alu instid0(VALU_DEP_1) | instskip(SKIP_3) | instid1(VALU_DEP_1)
	v_dual_add_f32 v36, v10, v8 :: v_dual_add_f32 v37, v11, v9
	ds_load_2addr_b64 v[8:11], v117 offset0:7 offset1:8
	s_wait_dscnt 0x2
	v_dual_add_f32 v16, v36, v16 :: v_dual_add_f32 v17, v37, v17
	v_dual_add_f32 v36, v16, v18 :: v_dual_add_f32 v37, v17, v19
	ds_load_2addr_b64 v[16:19], v117 offset0:9 offset1:10
	s_wait_dscnt 0x2
	v_dual_add_f32 v32, v36, v32 :: v_dual_add_f32 v33, v37, v33
	s_delay_alu instid0(VALU_DEP_1) | instskip(SKIP_3) | instid1(VALU_DEP_1)
	v_dual_add_f32 v36, v32, v34 :: v_dual_add_f32 v37, v33, v35
	ds_load_2addr_b64 v[32:35], v117 offset0:11 offset1:12
	s_wait_dscnt 0x2
	v_dual_add_f32 v8, v36, v8 :: v_dual_add_f32 v9, v37, v9
	v_dual_add_f32 v36, v8, v10 :: v_dual_add_f32 v37, v9, v11
	ds_load_2addr_b64 v[8:11], v117 offset0:13 offset1:14
	s_wait_dscnt 0x2
	v_dual_add_f32 v16, v36, v16 :: v_dual_add_f32 v17, v37, v17
	s_delay_alu instid0(VALU_DEP_1) | instskip(SKIP_3) | instid1(VALU_DEP_1)
	v_dual_add_f32 v18, v16, v18 :: v_dual_add_f32 v19, v17, v19
	ds_load_b64 v[16:17], v118
	s_wait_dscnt 0x2
	v_dual_add_f32 v18, v18, v32 :: v_dual_add_f32 v19, v19, v33
	v_dual_add_f32 v32, v18, v34 :: v_dual_add_f32 v19, v19, v35
	s_wait_dscnt 0x1
	s_delay_alu instid0(VALU_DEP_1) | instskip(NEXT) | instid1(VALU_DEP_2)
	v_dual_add_f32 v9, v19, v9 :: v_dual_add_nc_u32 v18, s74, v100
	v_add_f32_e32 v8, v32, v8
	s_delay_alu instid0(VALU_DEP_2) | instskip(NEXT) | instid1(VALU_DEP_2)
	v_ashrrev_i32_e32 v19, 31, v18
	v_dual_add_f32 v11, v9, v11 :: v_dual_add_f32 v10, v8, v10
	s_delay_alu instid0(VALU_DEP_2) | instskip(SKIP_1) | instid1(VALU_DEP_2)
	v_lshlrev_b64_e32 v[8:9], 3, v[18:19]
	s_wait_dscnt 0x0
	v_dual_add_f32 v11, v11, v17 :: v_dual_add_f32 v10, v10, v16
	s_delay_alu instid0(VALU_DEP_2) | instskip(SKIP_1) | instid1(VALU_DEP_3)
	v_add_co_u32 v8, vcc_lo, s72, v8
	s_wait_alu 0xfffd
	v_add_co_ci_u32_e64 v9, null, s73, v9, vcc_lo
	global_store_b64 v[8:9], v[10:11], off
.LBB32_162:                             ;   in Loop: Header=BB32_112 Depth=2
	s_wait_alu 0xfffe
	s_or_b32 exec_lo, exec_lo, s22
	v_dual_mul_f32 v8, v69, v1 :: v_dual_mul_f32 v9, v71, v3
	v_dual_mul_f32 v3, v70, v3 :: v_dual_mul_f32 v10, v73, v5
	v_add_co_u32 v175, vcc_lo, v175, s62
	s_delay_alu instid0(VALU_DEP_3)
	v_fma_f32 v8, v68, v0, -v8
	v_mul_f32_e32 v1, v68, v1
	v_fma_f32 v9, v70, v2, -v9
	v_fmac_f32_e32 v3, v71, v2
	v_mul_f32_e32 v16, v79, v13
	v_dual_add_f32 v8, v66, v8 :: v_dual_mul_f32 v11, v75, v7
	v_fmac_f32_e32 v1, v69, v0
	v_fma_f32 v0, v72, v4, -v10
	s_delay_alu instid0(VALU_DEP_3)
	v_dual_mul_f32 v7, v74, v7 :: v_dual_add_f32 v8, v8, v9
	v_mul_f32_e32 v13, v78, v13
	v_fma_f32 v2, v74, v6, -v11
	s_wait_alu 0xfffd
	v_add_co_ci_u32_e64 v176, null, s63, v176, vcc_lo
	v_dual_add_f32 v0, v8, v0 :: v_dual_mul_f32 v9, v77, v15
	v_mul_f32_e32 v8, v76, v15
	v_mul_f32_e32 v5, v72, v5
	v_add_co_u32 v177, vcc_lo, v177, s62
	s_delay_alu instid0(VALU_DEP_4)
	v_dual_add_f32 v0, v0, v2 :: v_dual_add_f32 v1, v67, v1
	v_mul_f32_e32 v2, v81, v21
	v_fmac_f32_e32 v8, v77, v14
	v_fmac_f32_e32 v5, v73, v4
	v_fma_f32 v4, v76, v14, -v9
	v_add_f32_e32 v1, v1, v3
	v_fma_f32 v3, v78, v12, -v16
	v_fma_f32 v2, v80, v20, -v2
	s_wait_alu 0xfffd
	v_add_co_ci_u32_e64 v178, null, s63, v178, vcc_lo
	v_add_co_u32 v179, vcc_lo, v179, s62
	v_add_f32_e32 v0, v0, v3
	v_mul_f32_e32 v3, v83, v23
	s_wait_alu 0xfffd
	v_add_co_ci_u32_e64 v180, null, s63, v180, vcc_lo
	v_add_co_u32 v181, vcc_lo, v181, s62
	v_add_f32_e32 v0, v0, v4
	v_dual_mul_f32 v4, v80, v21 :: v_dual_fmac_f32 v7, v75, v6
	v_add_f32_e32 v1, v1, v5
	s_wait_alu 0xfffd
	v_add_co_ci_u32_e64 v182, null, s63, v182, vcc_lo
	v_dual_add_f32 v0, v0, v2 :: v_dual_fmac_f32 v13, v79, v12
	v_mul_f32_e32 v2, v87, v25
	v_fmac_f32_e32 v4, v81, v20
	v_add_f32_e32 v1, v1, v7
	v_add_co_u32 v183, vcc_lo, v183, s62
	s_delay_alu instid0(VALU_DEP_4)
	v_fma_f32 v2, v86, v24, -v2
	s_wait_alu 0xfffd
	v_add_co_ci_u32_e64 v184, null, s63, v184, vcc_lo
	v_add_f32_e32 v1, v1, v13
	v_add_co_u32 v185, vcc_lo, v185, s62
	s_wait_alu 0xfffd
	v_add_co_ci_u32_e64 v186, null, s63, v186, vcc_lo
	s_delay_alu instid0(VALU_DEP_3) | instskip(SKIP_3) | instid1(VALU_DEP_3)
	v_add_f32_e32 v1, v1, v8
	v_add_co_u32 v187, vcc_lo, v187, s62
	s_wait_alu 0xfffd
	v_add_co_ci_u32_e64 v188, null, s63, v188, vcc_lo
	v_dual_add_f32 v1, v1, v4 :: v_dual_mul_f32 v4, v86, v25
	v_mul_f32_e32 v5, v82, v23
	v_fma_f32 v3, v82, v22, -v3
	v_add_co_u32 v189, vcc_lo, v189, s62
	s_delay_alu instid0(VALU_DEP_4) | instskip(NEXT) | instid1(VALU_DEP_3)
	v_fmac_f32_e32 v4, v87, v24
	v_dual_fmac_f32 v5, v83, v22 :: v_dual_add_f32 v0, v0, v3
	v_mul_f32_e32 v3, v85, v27
	v_mul_f32_e32 v6, v98, v47
	s_wait_alu 0xfffd
	v_add_co_ci_u32_e64 v190, null, s63, v190, vcc_lo
	v_add_f32_e32 v1, v1, v5
	v_mul_f32_e32 v5, v84, v27
	v_add_f32_e32 v0, v0, v2
	v_fmac_f32_e32 v6, v99, v46
	v_add_co_u32 v191, vcc_lo, v191, s62
	v_add_f32_e32 v1, v1, v4
	v_dual_fmac_f32 v5, v85, v26 :: v_dual_mul_f32 v4, v88, v29
	v_fma_f32 v2, v84, v26, -v3
	v_mul_f32_e32 v3, v89, v29
	s_wait_alu 0xfffd
	v_add_co_ci_u32_e64 v192, null, s63, v192, vcc_lo
	v_add_f32_e32 v1, v1, v5
	v_dual_fmac_f32 v4, v89, v28 :: v_dual_mul_f32 v5, v90, v31
	v_add_f32_e32 v0, v0, v2
	v_fma_f32 v2, v88, v28, -v3
	v_mul_f32_e32 v3, v91, v31
	s_delay_alu instid0(VALU_DEP_4) | instskip(SKIP_1) | instid1(VALU_DEP_4)
	v_add_f32_e32 v1, v1, v4
	v_dual_fmac_f32 v5, v91, v30 :: v_dual_mul_f32 v4, v92, v41
	v_add_f32_e32 v0, v0, v2
	s_delay_alu instid0(VALU_DEP_4) | instskip(SKIP_1) | instid1(VALU_DEP_4)
	v_fma_f32 v2, v90, v30, -v3
	v_add_co_u32 v193, vcc_lo, v193, s62
	v_add_f32_e32 v1, v1, v5
	v_fmac_f32_e32 v4, v93, v40
	s_delay_alu instid0(VALU_DEP_4) | instskip(SKIP_2) | instid1(VALU_DEP_3)
	v_dual_mul_f32 v5, v97, v45 :: v_dual_add_f32 v0, v0, v2
	s_wait_alu 0xfffd
	v_add_co_ci_u32_e64 v194, null, s63, v194, vcc_lo
	v_add_f32_e32 v1, v1, v4
	s_delay_alu instid0(VALU_DEP_3)
	v_fma_f32 v4, v96, v44, -v5
	v_mul_f32_e32 v3, v93, v41
	v_add_co_u32 v195, vcc_lo, v195, s62
	v_mul_f32_e32 v5, v99, v47
	s_wait_alu 0xfffd
	v_add_co_ci_u32_e64 v196, null, s63, v196, vcc_lo
	v_fma_f32 v2, v92, v40, -v3
	v_mul_f32_e32 v3, v95, v43
	v_add_co_u32 v197, vcc_lo, v197, s62
	s_wait_alu 0xfffd
	v_add_co_ci_u32_e64 v198, null, s63, v198, vcc_lo
	v_add_f32_e32 v0, v0, v2
	v_fma_f32 v2, v94, v42, -v3
	v_mul_f32_e32 v3, v94, v43
	v_add_co_u32 v199, vcc_lo, v199, s62
	s_wait_alu 0xfffd
	v_add_co_ci_u32_e64 v200, null, s63, v200, vcc_lo
	v_add_f32_e32 v0, v0, v2
	v_dual_mul_f32 v2, v96, v45 :: v_dual_fmac_f32 v3, v95, v42
	v_add_co_u32 v201, vcc_lo, v201, s62
	s_delay_alu instid0(VALU_DEP_3) | instskip(NEXT) | instid1(VALU_DEP_3)
	v_add_f32_e32 v0, v0, v4
	v_fmac_f32_e32 v2, v97, v44
	s_delay_alu instid0(VALU_DEP_4)
	v_add_f32_e32 v1, v1, v3
	v_fma_f32 v3, v98, v46, -v5
	s_wait_alu 0xfffd
	v_add_co_ci_u32_e64 v202, null, s63, v202, vcc_lo
	v_add_co_u32 v203, vcc_lo, v203, s62
	v_add_f32_e32 v1, v1, v2
	s_wait_alu 0xfffd
	v_add_co_ci_u32_e64 v204, null, s63, v204, vcc_lo
	v_add_co_u32 v205, vcc_lo, v205, s62
	s_delay_alu instid0(VALU_DEP_3)
	v_dual_add_f32 v66, v0, v3 :: v_dual_add_f32 v67, v1, v6
	s_wait_alu 0xfffd
	v_add_co_ci_u32_e64 v206, null, s63, v206, vcc_lo
	s_add_co_i32 s75, s81, 2
	s_add_co_i32 s22, s81, 1
	;; [unrolled: 1-line block ×3, first 2 shown]
	s_wait_alu 0xfffe
	s_cmp_ge_u32 s75, s46
	s_wait_loadcnt 0x0
	s_wait_storecnt 0x0
	s_barrier_signal -1
	s_barrier_wait -1
	global_inv scope:SCOPE_SE
	s_cbranch_scc1 .LBB32_164
; %bb.163:                              ;   in Loop: Header=BB32_112 Depth=2
	s_mov_b32 s81, s22
	s_delay_alu instid0(SALU_CYCLE_1)
	s_cmp_eq_u32 s78, s81
	s_cselect_b32 s82, s33, 0
	s_and_saveexec_b32 s22, s0
	s_cbranch_execnz .LBB32_108
	s_branch .LBB32_112
.LBB32_164:                             ;   in Loop: Header=BB32_4 Depth=1
	ds_store_b64 v134, v[66:67]
	s_wait_loadcnt_dscnt 0x0
	s_barrier_signal -1
	s_barrier_wait -1
	global_inv scope:SCOPE_SE
	s_and_saveexec_b32 s22, s79
	s_cbranch_execz .LBB32_2
; %bb.165:                              ;   in Loop: Header=BB32_4 Depth=1
	ds_load_2addr_b64 v[0:3], v101 offset1:67
	ds_load_2addr_b64 v[4:7], v101 offset0:134 offset1:201
	s_wait_dscnt 0x1
	v_dual_add_f32 v0, v2, v0 :: v_dual_add_f32 v1, v3, v1
	s_wait_alu 0xfffe
	v_add_co_u32 v2, vcc_lo, s72, v62
	s_wait_alu 0xfffd
	v_add_co_ci_u32_e64 v3, null, s73, v63, vcc_lo
	s_wait_dscnt 0x0
	v_dual_add_f32 v0, v4, v0 :: v_dual_add_f32 v1, v5, v1
	s_delay_alu instid0(VALU_DEP_1)
	v_dual_add_f32 v0, v0, v6 :: v_dual_add_f32 v1, v1, v7
	global_store_b64 v[2:3], v[0:1], off
	s_branch .LBB32_2
.LBB32_166:                             ;   in Loop: Header=BB32_4 Depth=1
	ds_load_b64 v[3:4], v172
	s_mov_b32 s22, exec_lo
	s_wait_dscnt 0x0
	v_xor_b32_e32 v2, 0x80000000, v4
	ds_store_b32 v105, v3
	s_wait_alu 0xfffe
	s_or_saveexec_b32 s72, s72
	v_mov_b32_e32 v3, v105
	s_wait_alu 0xfffe
	s_xor_b32 exec_lo, exec_lo, s72
	s_cbranch_execz .LBB32_34
.LBB32_167:                             ;   in Loop: Header=BB32_4 Depth=1
	v_dual_mov_b32 v2, 0 :: v_dual_mov_b32 v3, v103
	s_and_not1_b32 s22, s22, exec_lo
	s_and_b32 s73, s9, exec_lo
	s_wait_alu 0xfffe
	s_or_b32 s22, s22, s73
	s_or_b32 exec_lo, exec_lo, s72
	s_wait_alu 0xfffe
	s_and_saveexec_b32 s72, s22
	s_cbranch_execnz .LBB32_35
	s_branch .LBB32_36
.LBB32_168:                             ;   in Loop: Header=BB32_4 Depth=1
	ds_load_b64 v[3:4], v172
	s_mov_b32 s22, exec_lo
	s_wait_dscnt 0x0
	v_xor_b32_e32 v2, 0x80000000, v4
	ds_store_b32 v105, v3
	s_wait_alu 0xfffe
	s_or_saveexec_b32 s72, s72
	v_mov_b32_e32 v3, v105
	s_wait_alu 0xfffe
	s_xor_b32 exec_lo, exec_lo, s72
	s_cbranch_execz .LBB32_72
.LBB32_169:                             ;   in Loop: Header=BB32_4 Depth=1
	v_dual_mov_b32 v2, 0 :: v_dual_mov_b32 v3, v103
	s_and_not1_b32 s22, s22, exec_lo
	s_and_b32 s73, s9, exec_lo
	s_wait_alu 0xfffe
	s_or_b32 s22, s22, s73
	s_or_b32 exec_lo, exec_lo, s72
	s_wait_alu 0xfffe
	s_and_saveexec_b32 s72, s22
	s_cbranch_execnz .LBB32_73
	s_branch .LBB32_74
.LBB32_170:                             ;   in Loop: Header=BB32_4 Depth=1
	flat_load_b64 v[4:5], v[0:1]
	s_wait_loadcnt_dscnt 0x0
	ds_store_b64 v169, v[4:5]
	s_or_b32 exec_lo, exec_lo, s22
	s_and_saveexec_b32 s22, s3
	s_wait_alu 0xfffe
	s_xor_b32 s22, exec_lo, s22
	s_cbranch_execz .LBB32_17
.LBB32_171:                             ;   in Loop: Header=BB32_4 Depth=1
	v_mov_b32_e32 v57, v56
	ds_store_b64 v169, v[56:57] offset:2112
	s_wait_alu 0xfffe
	s_and_not1_saveexec_b32 s22, s22
	s_cbranch_execz .LBB32_18
.LBB32_172:                             ;   in Loop: Header=BB32_4 Depth=1
	v_add_co_u32 v4, vcc_lo, v0, s54
	s_wait_alu 0xfffd
	v_add_co_ci_u32_e64 v5, null, s55, v1, vcc_lo
	flat_load_b64 v[4:5], v[4:5]
	s_wait_loadcnt_dscnt 0x0
	ds_store_b64 v169, v[4:5] offset:2112
	s_wait_alu 0xfffe
	s_or_b32 exec_lo, exec_lo, s22
	s_and_saveexec_b32 s22, s4
	s_wait_alu 0xfffe
	s_xor_b32 s22, exec_lo, s22
	s_cbranch_execz .LBB32_19
.LBB32_173:                             ;   in Loop: Header=BB32_4 Depth=1
	v_mov_b32_e32 v57, v56
	ds_store_b64 v169, v[56:57] offset:4224
	s_wait_alu 0xfffe
	s_and_not1_saveexec_b32 s22, s22
	s_cbranch_execz .LBB32_20
.LBB32_174:                             ;   in Loop: Header=BB32_4 Depth=1
	v_add_co_u32 v4, vcc_lo, v0, s56
	s_wait_alu 0xfffd
	v_add_co_ci_u32_e64 v5, null, s57, v1, vcc_lo
	flat_load_b64 v[4:5], v[4:5]
	s_wait_loadcnt_dscnt 0x0
	ds_store_b64 v169, v[4:5] offset:4224
	s_wait_alu 0xfffe
	s_or_b32 exec_lo, exec_lo, s22
	s_and_saveexec_b32 s22, s5
	s_wait_alu 0xfffe
	s_xor_b32 s22, exec_lo, s22
	s_cbranch_execz .LBB32_21
.LBB32_175:                             ;   in Loop: Header=BB32_4 Depth=1
	v_mov_b32_e32 v57, v56
	ds_store_b64 v169, v[56:57] offset:6336
	s_wait_alu 0xfffe
	s_and_not1_saveexec_b32 s22, s22
	s_cbranch_execnz .LBB32_22
	s_branch .LBB32_23
.LBB32_176:                             ;   in Loop: Header=BB32_4 Depth=1
	flat_load_b64 v[6:7], v[0:1]
	s_wait_loadcnt_dscnt 0x0
	ds_store_b64 v169, v[6:7]
	s_or_b32 exec_lo, exec_lo, s22
	s_and_saveexec_b32 s22, s17
	s_wait_alu 0xfffe
	s_xor_b32 s22, exec_lo, s22
	s_cbranch_execz .LBB32_55
.LBB32_177:                             ;   in Loop: Header=BB32_4 Depth=1
	v_mov_b32_e32 v57, v56
	ds_store_b64 v169, v[56:57] offset:2112
	s_wait_alu 0xfffe
	s_and_not1_saveexec_b32 s22, s22
	s_cbranch_execz .LBB32_56
.LBB32_178:                             ;   in Loop: Header=BB32_4 Depth=1
	v_add_co_u32 v6, vcc_lo, v0, s54
	s_wait_alu 0xfffd
	v_add_co_ci_u32_e64 v7, null, s55, v1, vcc_lo
	flat_load_b64 v[6:7], v[6:7]
	s_wait_loadcnt_dscnt 0x0
	ds_store_b64 v169, v[6:7] offset:2112
	s_wait_alu 0xfffe
	s_or_b32 exec_lo, exec_lo, s22
	s_and_saveexec_b32 s22, s18
	s_wait_alu 0xfffe
	s_xor_b32 s22, exec_lo, s22
	s_cbranch_execz .LBB32_57
.LBB32_179:                             ;   in Loop: Header=BB32_4 Depth=1
	v_mov_b32_e32 v57, v56
	ds_store_b64 v169, v[56:57] offset:4224
	s_wait_alu 0xfffe
	s_and_not1_saveexec_b32 s22, s22
	s_cbranch_execz .LBB32_58
.LBB32_180:                             ;   in Loop: Header=BB32_4 Depth=1
	v_add_co_u32 v6, vcc_lo, v0, s56
	s_wait_alu 0xfffd
	v_add_co_ci_u32_e64 v7, null, s57, v1, vcc_lo
	flat_load_b64 v[6:7], v[6:7]
	s_wait_loadcnt_dscnt 0x0
	ds_store_b64 v169, v[6:7] offset:4224
	s_wait_alu 0xfffe
	s_or_b32 exec_lo, exec_lo, s22
	s_and_saveexec_b32 s22, s19
	s_wait_alu 0xfffe
	s_xor_b32 s22, exec_lo, s22
	s_cbranch_execz .LBB32_59
.LBB32_181:                             ;   in Loop: Header=BB32_4 Depth=1
	v_mov_b32_e32 v57, v56
	ds_store_b64 v169, v[56:57] offset:6336
	s_wait_alu 0xfffe
	s_and_not1_saveexec_b32 s22, s22
	s_cbranch_execnz .LBB32_60
	s_branch .LBB32_61
.LBB32_182:                             ;   in Loop: Header=BB32_4 Depth=1
	flat_load_b64 v[6:7], v[4:5]
	s_wait_loadcnt_dscnt 0x0
	ds_store_b64 v169, v[6:7]
	s_or_b32 exec_lo, exec_lo, s22
	s_and_saveexec_b32 s22, s17
	s_wait_alu 0xfffe
	s_xor_b32 s22, exec_lo, s22
	s_cbranch_execz .LBB32_93
.LBB32_183:                             ;   in Loop: Header=BB32_4 Depth=1
	v_mov_b32_e32 v57, v56
	ds_store_b64 v169, v[56:57] offset:2112
	s_wait_alu 0xfffe
	s_and_not1_saveexec_b32 s22, s22
	s_cbranch_execz .LBB32_94
.LBB32_184:                             ;   in Loop: Header=BB32_4 Depth=1
	v_add_co_u32 v6, vcc_lo, v4, s54
	s_wait_alu 0xfffd
	v_add_co_ci_u32_e64 v7, null, s55, v5, vcc_lo
	flat_load_b64 v[6:7], v[6:7]
	s_wait_loadcnt_dscnt 0x0
	ds_store_b64 v169, v[6:7] offset:2112
	s_wait_alu 0xfffe
	s_or_b32 exec_lo, exec_lo, s22
	s_and_saveexec_b32 s22, s18
	s_wait_alu 0xfffe
	s_xor_b32 s22, exec_lo, s22
	s_cbranch_execz .LBB32_95
.LBB32_185:                             ;   in Loop: Header=BB32_4 Depth=1
	v_mov_b32_e32 v57, v56
	ds_store_b64 v169, v[56:57] offset:4224
	s_wait_alu 0xfffe
	s_and_not1_saveexec_b32 s22, s22
	s_cbranch_execz .LBB32_96
.LBB32_186:                             ;   in Loop: Header=BB32_4 Depth=1
	v_add_co_u32 v6, vcc_lo, v4, s56
	s_wait_alu 0xfffd
	v_add_co_ci_u32_e64 v7, null, s57, v5, vcc_lo
	flat_load_b64 v[6:7], v[6:7]
	s_wait_loadcnt_dscnt 0x0
	ds_store_b64 v169, v[6:7] offset:4224
	s_wait_alu 0xfffe
	s_or_b32 exec_lo, exec_lo, s22
	s_and_saveexec_b32 s22, s19
	s_wait_alu 0xfffe
	s_xor_b32 s22, exec_lo, s22
	s_cbranch_execz .LBB32_97
.LBB32_187:                             ;   in Loop: Header=BB32_4 Depth=1
	v_mov_b32_e32 v57, v56
	ds_store_b64 v169, v[56:57] offset:6336
	s_wait_alu 0xfffe
	s_and_not1_saveexec_b32 s22, s22
	s_cbranch_execnz .LBB32_98
	s_branch .LBB32_99
.LBB32_188:
	s_nop 0
	s_sendmsg sendmsg(MSG_DEALLOC_VGPRS)
	s_endpgm
	.section	.rodata,"a",@progbits
	.p2align	6, 0x0
	.amdhsa_kernel _ZL26rocblas_hemvn_kernel_upperILb1ELi64ELi4ELi33ELi32ELi16ElPK19rocblas_complex_numIfEPKS3_PS1_EviT6_lT7_lT5_lS8_lS9_lS7_lT8_i
		.amdhsa_group_segment_fixed_size 9600
		.amdhsa_private_segment_fixed_size 0
		.amdhsa_kernarg_size 376
		.amdhsa_user_sgpr_count 2
		.amdhsa_user_sgpr_dispatch_ptr 0
		.amdhsa_user_sgpr_queue_ptr 0
		.amdhsa_user_sgpr_kernarg_segment_ptr 1
		.amdhsa_user_sgpr_dispatch_id 0
		.amdhsa_user_sgpr_private_segment_size 0
		.amdhsa_wavefront_size32 1
		.amdhsa_uses_dynamic_stack 0
		.amdhsa_enable_private_segment 0
		.amdhsa_system_sgpr_workgroup_id_x 1
		.amdhsa_system_sgpr_workgroup_id_y 0
		.amdhsa_system_sgpr_workgroup_id_z 1
		.amdhsa_system_sgpr_workgroup_info 0
		.amdhsa_system_vgpr_workitem_id 1
		.amdhsa_next_free_vgpr 215
		.amdhsa_next_free_sgpr 86
		.amdhsa_reserve_vcc 1
		.amdhsa_float_round_mode_32 0
		.amdhsa_float_round_mode_16_64 0
		.amdhsa_float_denorm_mode_32 3
		.amdhsa_float_denorm_mode_16_64 3
		.amdhsa_fp16_overflow 0
		.amdhsa_workgroup_processor_mode 1
		.amdhsa_memory_ordered 1
		.amdhsa_forward_progress 1
		.amdhsa_inst_pref_size 94
		.amdhsa_round_robin_scheduling 0
		.amdhsa_exception_fp_ieee_invalid_op 0
		.amdhsa_exception_fp_denorm_src 0
		.amdhsa_exception_fp_ieee_div_zero 0
		.amdhsa_exception_fp_ieee_overflow 0
		.amdhsa_exception_fp_ieee_underflow 0
		.amdhsa_exception_fp_ieee_inexact 0
		.amdhsa_exception_int_div_zero 0
	.end_amdhsa_kernel
	.section	.text._ZL26rocblas_hemvn_kernel_upperILb1ELi64ELi4ELi33ELi32ELi16ElPK19rocblas_complex_numIfEPKS3_PS1_EviT6_lT7_lT5_lS8_lS9_lS7_lT8_i,"axG",@progbits,_ZL26rocblas_hemvn_kernel_upperILb1ELi64ELi4ELi33ELi32ELi16ElPK19rocblas_complex_numIfEPKS3_PS1_EviT6_lT7_lT5_lS8_lS9_lS7_lT8_i,comdat
.Lfunc_end32:
	.size	_ZL26rocblas_hemvn_kernel_upperILb1ELi64ELi4ELi33ELi32ELi16ElPK19rocblas_complex_numIfEPKS3_PS1_EviT6_lT7_lT5_lS8_lS9_lS7_lT8_i, .Lfunc_end32-_ZL26rocblas_hemvn_kernel_upperILb1ELi64ELi4ELi33ELi32ELi16ElPK19rocblas_complex_numIfEPKS3_PS1_EviT6_lT7_lT5_lS8_lS9_lS7_lT8_i
                                        ; -- End function
	.set _ZL26rocblas_hemvn_kernel_upperILb1ELi64ELi4ELi33ELi32ELi16ElPK19rocblas_complex_numIfEPKS3_PS1_EviT6_lT7_lT5_lS8_lS9_lS7_lT8_i.num_vgpr, 215
	.set _ZL26rocblas_hemvn_kernel_upperILb1ELi64ELi4ELi33ELi32ELi16ElPK19rocblas_complex_numIfEPKS3_PS1_EviT6_lT7_lT5_lS8_lS9_lS7_lT8_i.num_agpr, 0
	.set _ZL26rocblas_hemvn_kernel_upperILb1ELi64ELi4ELi33ELi32ELi16ElPK19rocblas_complex_numIfEPKS3_PS1_EviT6_lT7_lT5_lS8_lS9_lS7_lT8_i.numbered_sgpr, 86
	.set _ZL26rocblas_hemvn_kernel_upperILb1ELi64ELi4ELi33ELi32ELi16ElPK19rocblas_complex_numIfEPKS3_PS1_EviT6_lT7_lT5_lS8_lS9_lS7_lT8_i.num_named_barrier, 0
	.set _ZL26rocblas_hemvn_kernel_upperILb1ELi64ELi4ELi33ELi32ELi16ElPK19rocblas_complex_numIfEPKS3_PS1_EviT6_lT7_lT5_lS8_lS9_lS7_lT8_i.private_seg_size, 0
	.set _ZL26rocblas_hemvn_kernel_upperILb1ELi64ELi4ELi33ELi32ELi16ElPK19rocblas_complex_numIfEPKS3_PS1_EviT6_lT7_lT5_lS8_lS9_lS7_lT8_i.uses_vcc, 1
	.set _ZL26rocblas_hemvn_kernel_upperILb1ELi64ELi4ELi33ELi32ELi16ElPK19rocblas_complex_numIfEPKS3_PS1_EviT6_lT7_lT5_lS8_lS9_lS7_lT8_i.uses_flat_scratch, 1
	.set _ZL26rocblas_hemvn_kernel_upperILb1ELi64ELi4ELi33ELi32ELi16ElPK19rocblas_complex_numIfEPKS3_PS1_EviT6_lT7_lT5_lS8_lS9_lS7_lT8_i.has_dyn_sized_stack, 0
	.set _ZL26rocblas_hemvn_kernel_upperILb1ELi64ELi4ELi33ELi32ELi16ElPK19rocblas_complex_numIfEPKS3_PS1_EviT6_lT7_lT5_lS8_lS9_lS7_lT8_i.has_recursion, 0
	.set _ZL26rocblas_hemvn_kernel_upperILb1ELi64ELi4ELi33ELi32ELi16ElPK19rocblas_complex_numIfEPKS3_PS1_EviT6_lT7_lT5_lS8_lS9_lS7_lT8_i.has_indirect_call, 0
	.section	.AMDGPU.csdata,"",@progbits
; Kernel info:
; codeLenInByte = 12008
; TotalNumSgprs: 88
; NumVgprs: 215
; ScratchSize: 0
; MemoryBound: 1
; FloatMode: 240
; IeeeMode: 1
; LDSByteSize: 9600 bytes/workgroup (compile time only)
; SGPRBlocks: 0
; VGPRBlocks: 26
; NumSGPRsForWavesPerEU: 88
; NumVGPRsForWavesPerEU: 215
; Occupancy: 7
; WaveLimiterHint : 1
; COMPUTE_PGM_RSRC2:SCRATCH_EN: 0
; COMPUTE_PGM_RSRC2:USER_SGPR: 2
; COMPUTE_PGM_RSRC2:TRAP_HANDLER: 0
; COMPUTE_PGM_RSRC2:TGID_X_EN: 1
; COMPUTE_PGM_RSRC2:TGID_Y_EN: 0
; COMPUTE_PGM_RSRC2:TGID_Z_EN: 1
; COMPUTE_PGM_RSRC2:TIDIG_COMP_CNT: 1
	.section	.text._ZL36rocblas_hemvn_kernel_upper_block_sumILi64ElPK19rocblas_complex_numIfEPKPS1_S1_EviT1_lS7_lT2_lT0_lPT3_i,"axG",@progbits,_ZL36rocblas_hemvn_kernel_upper_block_sumILi64ElPK19rocblas_complex_numIfEPKPS1_S1_EviT1_lS7_lT2_lT0_lPT3_i,comdat
	.globl	_ZL36rocblas_hemvn_kernel_upper_block_sumILi64ElPK19rocblas_complex_numIfEPKPS1_S1_EviT1_lS7_lT2_lT0_lPT3_i ; -- Begin function _ZL36rocblas_hemvn_kernel_upper_block_sumILi64ElPK19rocblas_complex_numIfEPKPS1_S1_EviT1_lS7_lT2_lT0_lPT3_i
	.p2align	8
	.type	_ZL36rocblas_hemvn_kernel_upper_block_sumILi64ElPK19rocblas_complex_numIfEPKPS1_S1_EviT1_lS7_lT2_lT0_lPT3_i,@function
_ZL36rocblas_hemvn_kernel_upper_block_sumILi64ElPK19rocblas_complex_numIfEPKPS1_S1_EviT1_lS7_lT2_lT0_lPT3_i: ; @_ZL36rocblas_hemvn_kernel_upper_block_sumILi64ElPK19rocblas_complex_numIfEPKPS1_S1_EviT1_lS7_lT2_lT0_lPT3_i
; %bb.0:
	s_load_b32 s22, s[0:1], 0x50
	s_lshr_b32 s2, ttmp7, 16
	s_wait_kmcnt 0x0
	s_cmp_ge_u32 s2, s22
	s_cbranch_scc1 .LBB33_23
; %bb.1:
	s_clause 0x2
	s_load_b32 s20, s[0:1], 0x0
	s_load_b128 s[12:15], s[0:1], 0x30
	s_load_b64 s[24:25], s[0:1], 0x48
	v_lshl_or_b32 v0, ttmp9, 6, v0
	s_clause 0x1
	s_load_b64 s[16:17], s[0:1], 0x28
	s_load_b256 s[4:11], s[0:1], 0x8
	s_add_nc_u64 s[18:19], s[0:1], 0x58
	s_mov_b32 s3, 0
	v_ashrrev_i32_e32 v1, 31, v0
	s_delay_alu instid0(VALU_DEP_1)
	v_lshlrev_b64_e32 v[2:3], 3, v[0:1]
	s_wait_kmcnt 0x0
	v_cmp_gt_i32_e64 s0, s20, v0
	v_mul_lo_u32 v1, s14, v1
	v_mul_lo_u32 v6, s15, v0
	v_mad_co_u64_u32 v[4:5], null, s14, v0, 0
	v_add_co_u32 v0, vcc_lo, s24, v2
	s_delay_alu instid0(VALU_DEP_1)
	v_add_co_ci_u32_e64 v2, null, s25, v3, vcc_lo
	s_ashr_i32 s21, s20, 31
	v_add_co_u32 v0, vcc_lo, v0, 4
	v_add3_u32 v5, v5, v1, v6
	s_wait_alu 0xfffd
	v_add_co_ci_u32_e64 v1, null, 0, v2, vcc_lo
	v_mov_b32_e32 v6, 0
	s_cmp_gt_i32 ttmp9, -1
	v_lshlrev_b64_e32 v[2:3], 3, v[4:5]
	s_cselect_b32 s1, -1, 0
	s_add_co_i32 s23, ttmp9, 1
	s_wait_alu 0xfffe
	s_lshl_b64 s[14:15], s[20:21], 3
	s_lshl_b64 s[12:13], s[12:13], 3
	s_branch .LBB33_5
.LBB33_2:                               ;   in Loop: Header=BB33_5 Depth=1
	v_add_co_u32 v7, vcc_lo, s20, v2
	s_wait_alu 0xfffd
	v_add_co_ci_u32_e64 v8, null, s21, v3, vcc_lo
	flat_store_b64 v[7:8], v[4:5]
.LBB33_3:                               ;   in Loop: Header=BB33_5 Depth=1
	s_or_b32 exec_lo, exec_lo, s28
.LBB33_4:                               ;   in Loop: Header=BB33_5 Depth=1
	s_add_co_i32 s2, s2, 0x10000
	s_wait_alu 0xfffe
	s_cmp_lt_u32 s2, s22
	s_cbranch_scc0 .LBB33_23
.LBB33_5:                               ; =>This Loop Header: Depth=1
                                        ;     Child Loop BB33_18 Depth 2
	s_mul_u64 s[20:21], s[6:7], s[2:3]
	s_wait_alu 0xfffe
	s_lshl_b64 s[20:21], s[20:21], 3
	s_wait_alu 0xfffe
	s_add_nc_u64 s[20:21], s[4:5], s[20:21]
	global_load_b64 v[4:5], v6, s[20:21]
	s_mul_u64 s[20:21], s[10:11], s[2:3]
	s_wait_alu 0xfffe
	s_lshl_b64 s[20:21], s[20:21], 3
	s_wait_alu 0xfffe
	s_add_nc_u64 s[20:21], s[8:9], s[20:21]
	global_load_b64 v[7:8], v6, s[20:21]
	s_wait_loadcnt 0x1
	v_readfirstlane_b32 s27, v4
	v_readfirstlane_b32 s26, v5
	s_or_b32 s20, s27, s26
	s_wait_loadcnt 0x0
	v_readfirstlane_b32 s24, v7
	s_wait_alu 0xfffe
	s_and_b32 s21, s20, 0x7fffffff
	v_readfirstlane_b32 s25, v8
	s_wait_alu 0xfffe
	s_cmp_eq_u32 s21, 0
	s_cselect_b32 s20, -1, 0
	s_cmp_lg_u32 s21, 0
	s_mov_b32 s21, -1
	s_cbranch_scc1 .LBB33_7
; %bb.6:                                ;   in Loop: Header=BB33_5 Depth=1
	s_cmp_neq_f32 s24, 1.0
	s_cselect_b32 s21, -1, 0
	s_cmp_neq_f32 s25, 0
	s_cselect_b32 s28, -1, 0
	s_wait_alu 0xfffe
	s_or_b32 s21, s21, s28
.LBB33_7:                               ;   in Loop: Header=BB33_5 Depth=1
	s_wait_alu 0xfffe
	s_and_not1_b32 vcc_lo, exec_lo, s21
	s_wait_alu 0xfffe
	s_cbranch_vccnz .LBB33_4
; %bb.8:                                ;   in Loop: Header=BB33_5 Depth=1
	s_lshl_b64 s[28:29], s[2:3], 3
	s_and_not1_b32 vcc_lo, exec_lo, s20
	s_add_nc_u64 s[28:29], s[16:17], s[28:29]
	s_load_b64 s[28:29], s[28:29], 0x0
	s_wait_kmcnt 0x0
	s_add_nc_u64 s[20:21], s[28:29], s[12:13]
	s_mov_b32 s28, -1
	s_cbranch_vccnz .LBB33_14
; %bb.9:                                ;   in Loop: Header=BB33_5 Depth=1
	s_and_saveexec_b32 s28, s0
	s_cbranch_execz .LBB33_13
; %bb.10:                               ;   in Loop: Header=BB33_5 Depth=1
	s_cmp_neq_f32 s24, 0
	v_dual_mov_b32 v4, 0 :: v_dual_mov_b32 v5, 0
	s_cselect_b32 s29, -1, 0
	s_cmp_neq_f32 s25, 0
	s_cselect_b32 s30, -1, 0
	s_wait_alu 0xfffe
	s_or_b32 s29, s29, s30
	s_delay_alu instid0(SALU_CYCLE_1)
	s_and_not1_b32 vcc_lo, exec_lo, s29
	s_wait_alu 0xfffe
	s_cbranch_vccnz .LBB33_12
; %bb.11:                               ;   in Loop: Header=BB33_5 Depth=1
	v_add_co_u32 v4, vcc_lo, s20, v2
	s_wait_alu 0xfffd
	v_add_co_ci_u32_e64 v5, null, s21, v3, vcc_lo
	flat_load_b64 v[7:8], v[4:5]
	s_wait_loadcnt_dscnt 0x0
	v_mul_f32_e32 v5, s24, v8
	s_delay_alu instid0(VALU_DEP_1) | instskip(NEXT) | instid1(VALU_DEP_1)
	v_dual_mul_f32 v4, s25, v8 :: v_dual_fmac_f32 v5, s25, v7
	v_fma_f32 v4, v7, s24, -v4
.LBB33_12:                              ;   in Loop: Header=BB33_5 Depth=1
	v_add_co_u32 v7, vcc_lo, s20, v2
	s_wait_alu 0xfffd
	v_add_co_ci_u32_e64 v8, null, s21, v3, vcc_lo
	flat_store_b64 v[7:8], v[4:5]
.LBB33_13:                              ;   in Loop: Header=BB33_5 Depth=1
	s_or_b32 exec_lo, exec_lo, s28
	s_mov_b32 s28, 0
.LBB33_14:                              ;   in Loop: Header=BB33_5 Depth=1
	s_delay_alu instid0(SALU_CYCLE_1)
	s_and_not1_b32 vcc_lo, exec_lo, s28
	s_wait_alu 0xfffe
	s_cbranch_vccnz .LBB33_4
; %bb.15:                               ;   in Loop: Header=BB33_5 Depth=1
	s_and_saveexec_b32 s28, s0
	s_cbranch_execz .LBB33_3
; %bb.16:                               ;   in Loop: Header=BB33_5 Depth=1
	v_dual_mov_b32 v7, 0 :: v_dual_mov_b32 v8, 0
	s_and_not1_b32 vcc_lo, exec_lo, s1
	s_wait_alu 0xfffe
	s_cbranch_vccnz .LBB33_19
; %bb.17:                               ;   in Loop: Header=BB33_5 Depth=1
	s_load_b32 s30, s[18:19], 0x0
	s_mov_b32 s31, s3
	v_mov_b32_e32 v7, 0
	s_mov_b32 s29, s23
	s_wait_kmcnt 0x0
	s_wait_alu 0xfffe
	s_mul_u64 s[30:31], s[14:15], s[30:31]
	s_wait_alu 0xfffe
	v_mad_co_u64_u32 v[4:5], null, s30, s2, v[0:1]
	s_delay_alu instid0(VALU_DEP_1) | instskip(NEXT) | instid1(VALU_DEP_1)
	v_mad_co_u64_u32 v[8:9], null, s31, s2, v[5:6]
	v_dual_mov_b32 v5, v8 :: v_dual_mov_b32 v8, 0
.LBB33_18:                              ;   Parent Loop BB33_5 Depth=1
                                        ; =>  This Inner Loop Header: Depth=2
	global_load_b64 v[9:10], v[4:5], off offset:-4
	v_add_co_u32 v4, vcc_lo, v4, s14
	s_wait_alu 0xfffd
	v_add_co_ci_u32_e64 v5, null, s15, v5, vcc_lo
	s_add_co_i32 s29, s29, -1
	s_delay_alu instid0(SALU_CYCLE_1)
	s_cmp_eq_u32 s29, 0
	s_wait_loadcnt 0x0
	v_dual_add_f32 v8, v8, v9 :: v_dual_add_f32 v7, v7, v10
	s_cbranch_scc0 .LBB33_18
.LBB33_19:                              ;   in Loop: Header=BB33_5 Depth=1
	s_cmp_neq_f32 s24, 0
	s_delay_alu instid0(VALU_DEP_1) | instskip(SKIP_3) | instid1(VALU_DEP_2)
	v_mul_f32_e32 v5, s27, v7
	v_mul_f32_e32 v4, s26, v7
	s_cselect_b32 s29, -1, 0
	s_cmp_neq_f32 s25, 0
	v_fmac_f32_e32 v5, s26, v8
	s_delay_alu instid0(VALU_DEP_2) | instskip(SKIP_4) | instid1(SALU_CYCLE_1)
	v_fma_f32 v4, v8, s27, -v4
	s_mov_b32 s26, -1
	s_cselect_b32 s30, -1, 0
	s_wait_alu 0xfffe
	s_or_b32 s29, s29, s30
	s_and_not1_b32 vcc_lo, exec_lo, s29
	s_wait_alu 0xfffe
	s_cbranch_vccz .LBB33_21
; %bb.20:                               ;   in Loop: Header=BB33_5 Depth=1
	s_mov_b32 s26, 0
.LBB33_21:                              ;   in Loop: Header=BB33_5 Depth=1
	s_wait_alu 0xfffe
	s_and_not1_b32 vcc_lo, exec_lo, s26
	s_wait_alu 0xfffe
	s_cbranch_vccnz .LBB33_2
; %bb.22:                               ;   in Loop: Header=BB33_5 Depth=1
	v_add_co_u32 v7, vcc_lo, s20, v2
	s_wait_alu 0xfffd
	v_add_co_ci_u32_e64 v8, null, s21, v3, vcc_lo
	flat_load_b64 v[7:8], v[7:8]
	s_wait_loadcnt_dscnt 0x0
	v_mul_f32_e32 v9, s25, v8
	v_mul_f32_e32 v8, s24, v8
	s_delay_alu instid0(VALU_DEP_1) | instskip(NEXT) | instid1(VALU_DEP_3)
	v_fmac_f32_e32 v8, s25, v7
	v_fma_f32 v9, v7, s24, -v9
	s_delay_alu instid0(VALU_DEP_1)
	v_dual_add_f32 v5, v5, v8 :: v_dual_add_f32 v4, v4, v9
	s_branch .LBB33_2
.LBB33_23:
	s_endpgm
	.section	.rodata,"a",@progbits
	.p2align	6, 0x0
	.amdhsa_kernel _ZL36rocblas_hemvn_kernel_upper_block_sumILi64ElPK19rocblas_complex_numIfEPKPS1_S1_EviT1_lS7_lT2_lT0_lPT3_i
		.amdhsa_group_segment_fixed_size 0
		.amdhsa_private_segment_fixed_size 0
		.amdhsa_kernarg_size 344
		.amdhsa_user_sgpr_count 2
		.amdhsa_user_sgpr_dispatch_ptr 0
		.amdhsa_user_sgpr_queue_ptr 0
		.amdhsa_user_sgpr_kernarg_segment_ptr 1
		.amdhsa_user_sgpr_dispatch_id 0
		.amdhsa_user_sgpr_private_segment_size 0
		.amdhsa_wavefront_size32 1
		.amdhsa_uses_dynamic_stack 0
		.amdhsa_enable_private_segment 0
		.amdhsa_system_sgpr_workgroup_id_x 1
		.amdhsa_system_sgpr_workgroup_id_y 0
		.amdhsa_system_sgpr_workgroup_id_z 1
		.amdhsa_system_sgpr_workgroup_info 0
		.amdhsa_system_vgpr_workitem_id 0
		.amdhsa_next_free_vgpr 11
		.amdhsa_next_free_sgpr 32
		.amdhsa_reserve_vcc 1
		.amdhsa_float_round_mode_32 0
		.amdhsa_float_round_mode_16_64 0
		.amdhsa_float_denorm_mode_32 3
		.amdhsa_float_denorm_mode_16_64 3
		.amdhsa_fp16_overflow 0
		.amdhsa_workgroup_processor_mode 1
		.amdhsa_memory_ordered 1
		.amdhsa_forward_progress 1
		.amdhsa_inst_pref_size 8
		.amdhsa_round_robin_scheduling 0
		.amdhsa_exception_fp_ieee_invalid_op 0
		.amdhsa_exception_fp_denorm_src 0
		.amdhsa_exception_fp_ieee_div_zero 0
		.amdhsa_exception_fp_ieee_overflow 0
		.amdhsa_exception_fp_ieee_underflow 0
		.amdhsa_exception_fp_ieee_inexact 0
		.amdhsa_exception_int_div_zero 0
	.end_amdhsa_kernel
	.section	.text._ZL36rocblas_hemvn_kernel_upper_block_sumILi64ElPK19rocblas_complex_numIfEPKPS1_S1_EviT1_lS7_lT2_lT0_lPT3_i,"axG",@progbits,_ZL36rocblas_hemvn_kernel_upper_block_sumILi64ElPK19rocblas_complex_numIfEPKPS1_S1_EviT1_lS7_lT2_lT0_lPT3_i,comdat
.Lfunc_end33:
	.size	_ZL36rocblas_hemvn_kernel_upper_block_sumILi64ElPK19rocblas_complex_numIfEPKPS1_S1_EviT1_lS7_lT2_lT0_lPT3_i, .Lfunc_end33-_ZL36rocblas_hemvn_kernel_upper_block_sumILi64ElPK19rocblas_complex_numIfEPKPS1_S1_EviT1_lS7_lT2_lT0_lPT3_i
                                        ; -- End function
	.set _ZL36rocblas_hemvn_kernel_upper_block_sumILi64ElPK19rocblas_complex_numIfEPKPS1_S1_EviT1_lS7_lT2_lT0_lPT3_i.num_vgpr, 11
	.set _ZL36rocblas_hemvn_kernel_upper_block_sumILi64ElPK19rocblas_complex_numIfEPKPS1_S1_EviT1_lS7_lT2_lT0_lPT3_i.num_agpr, 0
	.set _ZL36rocblas_hemvn_kernel_upper_block_sumILi64ElPK19rocblas_complex_numIfEPKPS1_S1_EviT1_lS7_lT2_lT0_lPT3_i.numbered_sgpr, 32
	.set _ZL36rocblas_hemvn_kernel_upper_block_sumILi64ElPK19rocblas_complex_numIfEPKPS1_S1_EviT1_lS7_lT2_lT0_lPT3_i.num_named_barrier, 0
	.set _ZL36rocblas_hemvn_kernel_upper_block_sumILi64ElPK19rocblas_complex_numIfEPKPS1_S1_EviT1_lS7_lT2_lT0_lPT3_i.private_seg_size, 0
	.set _ZL36rocblas_hemvn_kernel_upper_block_sumILi64ElPK19rocblas_complex_numIfEPKPS1_S1_EviT1_lS7_lT2_lT0_lPT3_i.uses_vcc, 1
	.set _ZL36rocblas_hemvn_kernel_upper_block_sumILi64ElPK19rocblas_complex_numIfEPKPS1_S1_EviT1_lS7_lT2_lT0_lPT3_i.uses_flat_scratch, 0
	.set _ZL36rocblas_hemvn_kernel_upper_block_sumILi64ElPK19rocblas_complex_numIfEPKPS1_S1_EviT1_lS7_lT2_lT0_lPT3_i.has_dyn_sized_stack, 0
	.set _ZL36rocblas_hemvn_kernel_upper_block_sumILi64ElPK19rocblas_complex_numIfEPKPS1_S1_EviT1_lS7_lT2_lT0_lPT3_i.has_recursion, 0
	.set _ZL36rocblas_hemvn_kernel_upper_block_sumILi64ElPK19rocblas_complex_numIfEPKPS1_S1_EviT1_lS7_lT2_lT0_lPT3_i.has_indirect_call, 0
	.section	.AMDGPU.csdata,"",@progbits
; Kernel info:
; codeLenInByte = 980
; TotalNumSgprs: 34
; NumVgprs: 11
; ScratchSize: 0
; MemoryBound: 0
; FloatMode: 240
; IeeeMode: 1
; LDSByteSize: 0 bytes/workgroup (compile time only)
; SGPRBlocks: 0
; VGPRBlocks: 1
; NumSGPRsForWavesPerEU: 34
; NumVGPRsForWavesPerEU: 11
; Occupancy: 16
; WaveLimiterHint : 1
; COMPUTE_PGM_RSRC2:SCRATCH_EN: 0
; COMPUTE_PGM_RSRC2:USER_SGPR: 2
; COMPUTE_PGM_RSRC2:TRAP_HANDLER: 0
; COMPUTE_PGM_RSRC2:TGID_X_EN: 1
; COMPUTE_PGM_RSRC2:TGID_Y_EN: 0
; COMPUTE_PGM_RSRC2:TGID_Z_EN: 1
; COMPUTE_PGM_RSRC2:TIDIG_COMP_CNT: 0
	.section	.text._ZL26rocblas_hemvn_kernel_upperILb1ELi64ELi4ELi33ELi32ELi16EiPK19rocblas_complex_numIfEPKS3_PS1_EviT6_lT7_lT5_lS8_lS9_lS7_lT8_i,"axG",@progbits,_ZL26rocblas_hemvn_kernel_upperILb1ELi64ELi4ELi33ELi32ELi16EiPK19rocblas_complex_numIfEPKS3_PS1_EviT6_lT7_lT5_lS8_lS9_lS7_lT8_i,comdat
	.globl	_ZL26rocblas_hemvn_kernel_upperILb1ELi64ELi4ELi33ELi32ELi16EiPK19rocblas_complex_numIfEPKS3_PS1_EviT6_lT7_lT5_lS8_lS9_lS7_lT8_i ; -- Begin function _ZL26rocblas_hemvn_kernel_upperILb1ELi64ELi4ELi33ELi32ELi16EiPK19rocblas_complex_numIfEPKS3_PS1_EviT6_lT7_lT5_lS8_lS9_lS7_lT8_i
	.p2align	8
	.type	_ZL26rocblas_hemvn_kernel_upperILb1ELi64ELi4ELi33ELi32ELi16EiPK19rocblas_complex_numIfEPKS3_PS1_EviT6_lT7_lT5_lS8_lS9_lS7_lT8_i,@function
_ZL26rocblas_hemvn_kernel_upperILb1ELi64ELi4ELi33ELi32ELi16EiPK19rocblas_complex_numIfEPKS3_PS1_EviT6_lT7_lT5_lS8_lS9_lS7_lT8_i: ; @_ZL26rocblas_hemvn_kernel_upperILb1ELi64ELi4ELi33ELi32ELi16EiPK19rocblas_complex_numIfEPKS3_PS1_EviT6_lT7_lT5_lS8_lS9_lS7_lT8_i
; %bb.0:
	s_clause 0x1
	s_load_b64 s[2:3], s[0:1], 0x84
	s_load_b32 s33, s[0:1], 0x70
	s_lshr_b32 s34, ttmp7, 16
	s_wait_kmcnt 0x0
	s_lshr_b32 s4, s2, 16
	s_and_b32 s2, s2, 0xffff
	s_and_b32 s3, s3, 0xffff
	s_mul_i32 s2, s4, s2
	s_delay_alu instid0(SALU_CYCLE_1) | instskip(NEXT) | instid1(SALU_CYCLE_1)
	s_mul_i32 s2, s2, s3
	s_cmp_lg_u32 s2, 0x100
	s_cselect_b32 s2, -1, 0
	s_cmp_ge_u32 s34, s33
	s_cselect_b32 s3, -1, 0
	s_delay_alu instid0(SALU_CYCLE_1) | instskip(NEXT) | instid1(SALU_CYCLE_1)
	s_or_b32 s2, s2, s3
	s_and_b32 vcc_lo, exec_lo, s2
	s_cbranch_vccnz .LBB34_188
; %bb.1:
	s_load_b32 s2, s[0:1], 0x0
	s_add_nc_u64 s[6:7], s[0:1], 0x78
	s_load_b32 s60, s[0:1], 0x28
	s_load_b32 s44, s[6:7], 0x0
	s_clause 0x4
	s_load_b256 s[24:31], s[0:1], 0x8
	s_load_b128 s[36:39], s[0:1], 0x38
	s_load_b32 s64, s[0:1], 0x48
	s_load_b64 s[6:7], s[0:1], 0x68
	s_load_b128 s[40:43], s[0:1], 0x58
	v_dual_mov_b32 v67, 0 :: v_dual_and_b32 v56, 0x3ff, v0
	v_bfe_u32 v3, v0, 10, 10
	s_lshl_b32 s22, ttmp9, 6
	v_and_b32_e32 v1, 31, v0
	s_mov_b32 s4, ttmp9
	s_mov_b32 s35, 0
	v_lshl_add_u32 v12, v3, 6, v56
	s_mov_b32 s45, s35
	v_lshlrev_b32_e32 v14, 3, v1
	v_add_nc_u32_e32 v2, s22, v56
	v_lshlrev_b32_e32 v115, 2, v3
	v_lshrrev_b32_e32 v10, 5, v12
	s_wait_kmcnt 0x0
	s_ashr_i32 s61, s60, 31
	s_add_co_i32 s1, s44, -1
	v_lshl_or_b32 v18, v1, 8, v14
	v_and_b32_e32 v19, 0x7fe0, v12
	s_ashr_i32 s3, s2, 31
	v_lshlrev_b32_e32 v17, 2, v10
	s_lshr_b32 s0, s3, 26
	v_add_nc_u32_e32 v11, 8, v10
	s_add_co_i32 s0, s2, s0
	s_mul_u64 s[48:49], s[44:45], s[2:3]
	s_and_not1_b32 s0, s0, 63
	v_or_b32_e32 v21, 2, v17
	s_sub_co_i32 s76, s2, s0
	s_cmp_eq_u32 ttmp9, s1
	v_add_nc_u32_e32 v13, 16, v10
	s_cselect_b32 s46, s76, 0
	v_or_b32_e32 v20, 1, v17
	s_cmp_lg_u32 s46, 0
	v_cmp_ge_u32_e64 s8, v17, v1
	s_cselect_b32 s77, -1, 0
	s_cmp_eq_u32 s46, 0
	v_mad_co_u64_u32 v[6:7], null, s60, v10, v[1:2]
	s_cselect_b32 s1, -1, 0
	s_ashr_i32 s5, ttmp9, 31
	s_sub_co_i32 s19, s46, 32
	s_mul_u64 s[4:5], s[2:3], s[4:5]
	v_mul_u32_u24_e32 v15, 0x108, v10
	s_lshl_b64 s[2:3], s[4:5], 3
	v_add_nc_u32_e32 v16, 24, v10
	s_add_nc_u64 s[50:51], s[6:7], s[2:3]
	v_sub_co_u32 v8, s2, 0, v1
	v_cmp_le_u32_e64 s6, v17, v1
	v_cmp_eq_u32_e64 s7, v17, v1
	v_or_b32_e32 v17, 3, v17
	v_sub_co_ci_u32_e64 v9, null, 0, 0, s2
	v_cmp_le_i32_e64 s2, s46, v10
	v_cmp_le_i32_e64 s3, s46, v11
	v_add_nc_u32_e32 v108, v18, v19
	v_mul_u32_u24_e32 v18, 0x420, v10
	v_cmp_le_u32_e64 s10, v21, v1
	v_cmp_eq_u32_e64 s11, v21, v1
	v_lshlrev_b32_e32 v21, 3, v10
	v_cmp_le_i32_e64 s16, s19, v10
	v_cmp_le_i32_e64 s17, s19, v11
	v_cmp_eq_u32_e64 s20, 1, v10
	v_mul_i32_i24_e32 v116, 0xffffffe8, v10
	v_mad_co_u64_u32 v[10:11], null, s60, v115, v[56:57]
	v_cmp_le_i32_e64 s4, s46, v13
	v_cmp_le_u32_e64 s12, v17, v1
	v_cmp_eq_u32_e64 s13, v17, v1
	v_or_b32_e32 v17, 32, v1
	v_cmp_le_i32_e64 s18, s19, v13
	v_lshrrev_b32_e32 v13, 4, v12
	v_cmp_gt_i32_e32 vcc_lo, s46, v56
	v_cmp_le_i32_e64 s5, s46, v16
	v_cmp_gt_i32_e64 s15, s46, v17
	v_cmp_le_i32_e64 s19, s19, v16
	v_and_b32_e32 v16, 15, v0
	v_ashrrev_i32_e32 v11, 31, v10
	v_lshlrev_b32_e32 v17, 5, v13
	s_lshl_b32 s62, s60, 5
	s_or_b32 s58, s1, vcc_lo
	v_cmp_gt_u32_e64 s14, 32, v12
	s_ashr_i32 s63, s62, 31
	v_cmp_gt_u32_e64 s21, 64, v12
	v_add_co_u32 v12, vcc_lo, s62, v10
	v_ashrrev_i32_e32 v7, 31, v6
	v_mad_u32_u24 v120, 0x218, v16, v17
	v_mul_i32_i24_e32 v17, 0xffffffe8, v13
	v_add_co_ci_u32_e64 v13, null, s63, v11, vcc_lo
	s_mul_i32 s68, s60, s22
	s_lshl_b32 s52, s60, 3
	s_lshl_b32 s66, s60, 4
	s_mul_i32 s54, s60, 24
	s_mul_i32 s56, s64, s22
	s_add_co_i32 s65, ttmp9, 1
	v_and_b32_e32 v0, 48, v0
	v_cmp_eq_u32_e64 s0, 0, v3
	s_xor_b32 s45, s58, -1
	s_ashr_i32 s23, s22, 31
	s_ashr_i32 s69, s68, 31
	;; [unrolled: 1-line block ×7, first 2 shown]
	v_lshlrev_b64_e32 v[57:58], 3, v[6:7]
	v_lshlrev_b64_e32 v[6:7], 3, v[10:11]
	;; [unrolled: 1-line block ×3, first 2 shown]
	s_cmp_lt_u32 s65, s44
	v_mul_lo_u32 v4, s64, v2
	s_cselect_b32 s78, -1, 0
	s_lshl_b32 s80, s64, 6
	s_mul_i32 s64, s64, s65
	v_lshlrev_b32_e32 v0, 3, v0
	s_lshl_b32 s74, s60, 1
	s_mul_i32 s84, s60, 3
	s_and_b32 s81, s0, s58
	s_lshl_b64 s[58:59], s[60:61], 6
	s_lshl_b64 s[72:73], s[60:61], 3
	s_wait_alu 0xfffe
	s_lshl_b32 s82, s64, 6
	s_lshl_b64 s[64:65], s[60:61], 4
	s_lshl_b64 s[60:61], s[62:63], 3
	v_mad_co_i64_i32 v[59:60], null, s66, 24, v[10:11]
	v_sub_co_u32 v141, vcc_lo, 0, v57
	s_wait_alu 0xfffe
	s_add_nc_u64 s[86:87], s[64:65], s[60:61]
	v_mad_u32_u24 v121, 0x218, v16, v0
	s_wait_alu 0xfffd
	v_sub_co_ci_u32_e64 v142, null, 0, v58, vcc_lo
	v_add_co_u32 v0, vcc_lo, s86, v6
	s_ashr_i32 s85, s84, 31
	s_ashr_i32 s75, s74, 31
	s_lshl_b64 s[84:85], s[84:85], 3
	s_wait_alu 0xfffd
	v_add_co_ci_u32_e64 v143, null, s87, v7, vcc_lo
	v_or_b32_e32 v144, 4, v0
	v_add_co_u32 v0, vcc_lo, v59, s84
	s_add_nc_u64 s[90:91], s[72:73], s[60:61]
	s_wait_alu 0xfffd
	v_add_co_ci_u32_e64 v145, null, s85, v60, vcc_lo
	v_add_co_u32 v146, vcc_lo, s90, v6
	s_lshl_b64 s[74:75], s[74:75], 3
	s_wait_alu 0xfffd
	v_add_co_ci_u32_e64 v147, null, s91, v7, vcc_lo
	v_add_co_u32 v148, vcc_lo, s60, v6
	s_add_nc_u64 s[92:93], s[60:61], s[74:75]
	s_wait_alu 0xfffd
	v_add_co_ci_u32_e64 v149, null, s61, v7, vcc_lo
	v_add_co_u32 v150, vcc_lo, s92, v6
	s_mul_u64 s[88:89], s[66:67], 24
	s_wait_alu 0xfffd
	v_add_co_ci_u32_e64 v151, null, s93, v7, vcc_lo
	s_add_nc_u64 s[92:93], s[60:61], s[84:85]
	s_add_nc_u64 s[64:65], s[88:89], s[64:65]
	s_wait_alu 0xfffe
	v_add_co_u32 v152, vcc_lo, s92, v6
	s_wait_alu 0xfffd
	v_add_co_ci_u32_e64 v153, null, s93, v7, vcc_lo
	v_add_co_u32 v154, vcc_lo, s64, v10
	s_wait_alu 0xfffd
	v_add_co_ci_u32_e64 v155, null, s65, v11, vcc_lo
	s_lshl_b64 s[64:65], s[66:67], 3
	s_lshl_b64 s[62:63], s[66:67], 5
	;; [unrolled: 1-line block ×3, first 2 shown]
	s_wait_alu 0xfffe
	s_add_nc_u64 s[88:89], s[86:87], s[64:65]
	s_add_nc_u64 s[92:93], s[66:67], s[60:61]
	v_add_co_u32 v10, vcc_lo, s88, v6
	s_wait_alu 0xfffd
	v_add_co_ci_u32_e64 v156, null, s89, v7, vcc_lo
	s_wait_alu 0xfffe
	s_add_nc_u64 s[88:89], s[92:93], s[84:85]
	v_lshlrev_b32_e32 v105, 3, v56
	s_wait_alu 0xfffe
	v_add_co_u32 v11, vcc_lo, s88, v6
	s_wait_alu 0xfffd
	v_add_co_ci_u32_e64 v157, null, s89, v7, vcc_lo
	s_add_nc_u64 s[88:89], s[90:91], s[64:65]
	v_add_nc_u32_e32 v113, 0x2380, v19
	s_wait_alu 0xfffe
	v_add_co_u32 v158, vcc_lo, s88, v6
	s_wait_alu 0xfffd
	v_add_co_ci_u32_e64 v159, null, s89, v7, vcc_lo
	s_add_nc_u64 s[88:89], s[92:93], s[74:75]
	v_or_b32_e32 v19, 0x78, v105
	s_wait_alu 0xfffe
	v_add_co_u32 v12, vcc_lo, s88, v6
	s_wait_alu 0xfffd
	v_add_co_ci_u32_e64 v160, null, s89, v7, vcc_lo
	s_add_nc_u64 s[88:89], s[60:61], s[64:65]
	v_mad_u32_u24 v122, 0x218, v16, v19
	s_wait_alu 0xfffe
	v_add_co_u32 v161, vcc_lo, s88, v6
	s_wait_alu 0xfffd
	v_add_co_ci_u32_e64 v162, null, s89, v7, vcc_lo
	v_add_co_u32 v13, vcc_lo, s92, v6
	s_add_nc_u64 s[90:91], s[88:89], s[74:75]
	s_wait_alu 0xfffd
	v_add_co_ci_u32_e64 v163, null, s93, v7, vcc_lo
	s_wait_alu 0xfffe
	v_add_co_u32 v164, vcc_lo, s90, v6
	s_wait_alu 0xfffd
	v_add_co_ci_u32_e64 v165, null, s91, v7, vcc_lo
	s_add_nc_u64 s[90:91], s[92:93], s[72:73]
	s_add_nc_u64 s[84:85], s[88:89], s[84:85]
	s_wait_alu 0xfffe
	v_add_co_u32 v16, vcc_lo, s90, v6
	s_wait_alu 0xfffd
	v_add_co_ci_u32_e64 v166, null, s91, v7, vcc_lo
	v_add_co_u32 v167, vcc_lo, s84, v6
	s_add_nc_u64 s[66:67], s[86:87], s[66:67]
	v_mul_u32_u24_e32 v22, 0x108, v20
	v_cmp_eq_u32_e64 s9, v20, v1
	v_mul_u32_u24_e32 v20, 33, v1
	s_wait_alu 0xfffd
	v_add_co_ci_u32_e64 v168, null, s85, v7, vcc_lo
	s_wait_alu 0xfffe
	v_add_co_u32 v6, vcc_lo, s66, v6
	s_wait_alu 0xfffd
	v_add_co_ci_u32_e64 v169, null, s67, v7, vcc_lo
	v_add_co_u32 v7, vcc_lo, v59, s74
	v_or_b32_e32 v59, 4, v59
	v_ashrrev_i32_e32 v5, 31, v4
	v_lshl_add_u32 v118, v3, 5, 0x2180
	v_mad_u32_u24 v119, 0x860, v3, v105
	v_mad_u32_u24 v138, 0x218, v3, v105
	v_ashrrev_i32_e32 v3, 31, v2
	v_lshlrev_b32_e32 v111, 3, v20
	s_wait_alu 0xfffd
	v_add_co_ci_u32_e64 v172, null, s75, v60, vcc_lo
	v_add_co_u32 v184, vcc_lo, v59, s72
	v_lshlrev_b64_e32 v[61:62], 3, v[4:5]
	v_lshlrev_b64_e32 v[63:64], 3, v[8:9]
	v_lshlrev_b64_e32 v[65:66], 3, v[2:3]
	v_add_nc_u32_e32 v106, 0x2380, v105
	v_cmp_gt_i32_e64 s1, s46, v1
	v_mad_u32_u24 v107, 0x108, v1, v14
	v_add_nc_u32_e32 v109, 8, v108
	v_add_nc_u32_e32 v110, 16, v108
	;; [unrolled: 1-line block ×5, first 2 shown]
	v_or_b32_e32 v123, 1, v115
	v_or_b32_e32 v124, 2, v115
	;; [unrolled: 1-line block ×3, first 2 shown]
	v_add_nc_u32_e32 v126, 16, v115
	v_add_nc_u32_e32 v127, 17, v115
	;; [unrolled: 1-line block ×14, first 2 shown]
	v_or_b32_e32 v170, 4, v0
	v_lshlrev_b32_e32 v171, 3, v1
	v_or_b32_e32 v173, 4, v7
	v_or_b32_e32 v174, 4, v10
	;; [unrolled: 1-line block ×7, first 2 shown]
	v_add_nc_u32_e32 v180, v14, v15
	v_add_nc_u32_e32 v181, v120, v17
	;; [unrolled: 1-line block ×4, first 2 shown]
	s_wait_alu 0xfffd
	v_add_co_ci_u32_e64 v185, null, s73, v60, vcc_lo
	s_sub_nc_u64 s[70:71], 0, s[56:57]
	s_add_co_i32 s79, s44, -2
	s_sub_nc_u64 s[56:57], 0, s[46:47]
	s_lshl_b64 s[38:39], s[38:39], 3
	s_lshl_b64 s[30:31], s[30:31], 3
	;; [unrolled: 1-line block ×5, first 2 shown]
	s_branch .LBB34_4
.LBB34_2:                               ;   in Loop: Header=BB34_4 Depth=1
	s_wait_alu 0xfffe
	s_or_b32 exec_lo, exec_lo, s22
.LBB34_3:                               ;   in Loop: Header=BB34_4 Depth=1
	s_add_co_i32 s34, s34, 0x10000
	s_delay_alu instid0(SALU_CYCLE_1)
	s_cmp_lt_u32 s34, s33
	s_cbranch_scc0 .LBB34_188
.LBB34_4:                               ; =>This Loop Header: Depth=1
                                        ;     Child Loop BB34_112 Depth 2
	s_mul_u64 s[22:23], s[26:27], s[34:35]
	s_wait_alu 0xfffe
	s_lshl_b64 s[22:23], s[22:23], 3
	s_wait_alu 0xfffe
	s_add_nc_u64 s[22:23], s[24:25], s[22:23]
	global_load_b64 v[0:1], v67, s[22:23]
	s_mov_b32 s22, -1
	s_wait_loadcnt 0x0
	v_or_b32_e32 v0, v0, v1
	s_delay_alu instid0(VALU_DEP_1) | instskip(NEXT) | instid1(VALU_DEP_1)
	v_and_b32_e32 v0, 0x7fffffff, v0
	v_cmp_ne_u32_e32 vcc_lo, 0, v0
	s_cbranch_vccz .LBB34_6
; %bb.5:                                ;   in Loop: Header=BB34_4 Depth=1
	s_wait_alu 0xfffe
	s_and_not1_b32 vcc_lo, exec_lo, s22
	s_wait_alu 0xfffe
	s_cbranch_vccnz .LBB34_3
	s_branch .LBB34_7
.LBB34_6:                               ;   in Loop: Header=BB34_4 Depth=1
	s_mul_u64 s[22:23], s[42:43], s[34:35]
	s_wait_alu 0xfffe
	s_lshl_b64 s[22:23], s[22:23], 3
	s_wait_alu 0xfffe
	s_add_nc_u64 s[22:23], s[40:41], s[22:23]
	global_load_b64 v[0:1], v67, s[22:23]
	s_wait_loadcnt 0x0
	v_cmp_eq_f32_e32 vcc_lo, 1.0, v0
	v_cmp_eq_f32_e64 s22, 0, v1
	s_wait_alu 0xfffe
	s_and_b32 s22, vcc_lo, s22
	s_wait_alu 0xfffe
	s_and_not1_b32 vcc_lo, exec_lo, s22
	s_cbranch_execnz .LBB34_3
.LBB34_7:                               ;   in Loop: Header=BB34_4 Depth=1
	s_lshl_b64 s[22:23], s[34:35], 3
	s_wait_alu 0xfffe
	s_add_nc_u64 s[72:73], s[36:37], s[22:23]
	s_add_nc_u64 s[22:23], s[28:29], s[22:23]
	s_clause 0x1
	global_load_b64 v[2:3], v67, s[72:73]
	global_load_b64 v[0:1], v67, s[22:23]
	s_wait_loadcnt 0x1
	v_add_co_u32 v2, vcc_lo, v2, s38
	s_wait_alu 0xfffd
	v_add_co_ci_u32_e64 v3, null, s39, v3, vcc_lo
	s_delay_alu instid0(VALU_DEP_2) | instskip(SKIP_1) | instid1(VALU_DEP_2)
	v_add_co_u32 v12, vcc_lo, v2, v61
	s_wait_alu 0xfffd
	v_add_co_ci_u32_e64 v13, null, v3, v62, vcc_lo
	s_and_saveexec_b32 s22, s0
	s_cbranch_execz .LBB34_12
; %bb.8:                                ;   in Loop: Header=BB34_4 Depth=1
	s_and_saveexec_b32 s23, s45
	s_wait_alu 0xfffe
	s_xor_b32 s23, exec_lo, s23
; %bb.9:                                ;   in Loop: Header=BB34_4 Depth=1
	v_mov_b32_e32 v68, v67
	ds_store_b64 v106, v[67:68]
; %bb.10:                               ;   in Loop: Header=BB34_4 Depth=1
	s_wait_alu 0xfffe
	s_and_not1_saveexec_b32 s23, s23
	s_cbranch_execz .LBB34_12
; %bb.11:                               ;   in Loop: Header=BB34_4 Depth=1
	flat_load_b64 v[2:3], v[12:13]
	s_wait_loadcnt_dscnt 0x0
	ds_store_b64 v106, v[2:3]
.LBB34_12:                              ;   in Loop: Header=BB34_4 Depth=1
	s_wait_alu 0xfffe
	s_or_b32 exec_lo, exec_lo, s22
	s_wait_loadcnt 0x0
	v_add_co_u32 v0, vcc_lo, v0, s30
	s_wait_alu 0xfffd
	v_add_co_ci_u32_e64 v1, null, s31, v1, vcc_lo
	s_mov_b32 s22, -1
	v_add_co_u32 v0, vcc_lo, v0, s66
	s_wait_alu 0xfffd
	v_add_co_ci_u32_e64 v1, null, s67, v1, vcc_lo
	s_delay_alu instid0(VALU_DEP_2) | instskip(SKIP_1) | instid1(VALU_DEP_2)
	v_add_co_u32 v0, vcc_lo, v0, v57
	s_wait_alu 0xfffd
	v_add_co_ci_u32_e64 v1, null, v1, v58, vcc_lo
	s_delay_alu instid0(VALU_DEP_2) | instskip(SKIP_1) | instid1(VALU_DEP_2)
	v_add_co_u32 v2, vcc_lo, v0, s68
	s_wait_alu 0xfffd
	v_add_co_ci_u32_e64 v3, null, s69, v1, vcc_lo
	s_and_b32 vcc_lo, exec_lo, s77
                                        ; implicit-def: $vgpr0_vgpr1
	s_wait_alu 0xfffe
	s_cbranch_vccz .LBB34_24
; %bb.13:                               ;   in Loop: Header=BB34_4 Depth=1
	s_and_saveexec_b32 s22, s2
	s_wait_alu 0xfffe
	s_xor_b32 s22, exec_lo, s22
; %bb.14:                               ;   in Loop: Header=BB34_4 Depth=1
	v_mov_b32_e32 v68, v67
	ds_store_b64 v180, v[67:68]
; %bb.15:                               ;   in Loop: Header=BB34_4 Depth=1
	s_wait_alu 0xfffe
	s_or_saveexec_b32 s22, s22
	v_add_co_u32 v0, vcc_lo, v2, v63
	s_wait_alu 0xfffd
	v_add_co_ci_u32_e64 v1, null, v3, v64, vcc_lo
	s_lshl_b64 s[72:73], s[46:47], 3
	s_wait_alu 0xfffe
	v_add_co_u32 v0, vcc_lo, v0, s72
	s_wait_alu 0xfffd
	v_add_co_ci_u32_e64 v1, null, s73, v1, vcc_lo
	s_delay_alu instid0(VALU_DEP_2) | instskip(SKIP_1) | instid1(VALU_DEP_2)
	v_add_co_u32 v0, vcc_lo, v0, -8
	s_wait_alu 0xfffd
	v_add_co_ci_u32_e64 v1, null, -1, v1, vcc_lo
	s_delay_alu instid0(VALU_DEP_2) | instskip(NEXT) | instid1(VALU_DEP_2)
	v_cndmask_b32_e64 v0, v0, v2, s1
	v_cndmask_b32_e64 v1, v1, v3, s1
	s_xor_b32 exec_lo, exec_lo, s22
	s_cbranch_execnz .LBB34_170
; %bb.16:                               ;   in Loop: Header=BB34_4 Depth=1
	s_or_b32 exec_lo, exec_lo, s22
	s_and_saveexec_b32 s22, s3
	s_wait_alu 0xfffe
	s_xor_b32 s22, exec_lo, s22
	s_cbranch_execnz .LBB34_171
.LBB34_17:                              ;   in Loop: Header=BB34_4 Depth=1
	s_wait_alu 0xfffe
	s_and_not1_saveexec_b32 s22, s22
	s_cbranch_execnz .LBB34_172
.LBB34_18:                              ;   in Loop: Header=BB34_4 Depth=1
	s_wait_alu 0xfffe
	s_or_b32 exec_lo, exec_lo, s22
	s_and_saveexec_b32 s22, s4
	s_wait_alu 0xfffe
	s_xor_b32 s22, exec_lo, s22
	s_cbranch_execnz .LBB34_173
.LBB34_19:                              ;   in Loop: Header=BB34_4 Depth=1
	s_wait_alu 0xfffe
	s_and_not1_saveexec_b32 s22, s22
	s_cbranch_execnz .LBB34_174
.LBB34_20:                              ;   in Loop: Header=BB34_4 Depth=1
	s_wait_alu 0xfffe
	s_or_b32 exec_lo, exec_lo, s22
	s_and_saveexec_b32 s22, s5
	s_wait_alu 0xfffe
	s_xor_b32 s22, exec_lo, s22
	s_cbranch_execnz .LBB34_175
.LBB34_21:                              ;   in Loop: Header=BB34_4 Depth=1
	s_wait_alu 0xfffe
	s_and_not1_saveexec_b32 s22, s22
	s_cbranch_execz .LBB34_23
.LBB34_22:                              ;   in Loop: Header=BB34_4 Depth=1
	s_lshl_b64 s[72:73], s[54:55], 3
	s_wait_alu 0xfffe
	v_add_co_u32 v4, vcc_lo, v0, s72
	s_wait_alu 0xfffd
	v_add_co_ci_u32_e64 v5, null, s73, v1, vcc_lo
	flat_load_b64 v[4:5], v[4:5]
	s_wait_loadcnt_dscnt 0x0
	ds_store_b64 v180, v[4:5] offset:6336
.LBB34_23:                              ;   in Loop: Header=BB34_4 Depth=1
	s_wait_alu 0xfffe
	s_or_b32 exec_lo, exec_lo, s22
	v_add_co_u32 v0, vcc_lo, v0, v171
	s_wait_alu 0xfffd
	v_add_co_ci_u32_e64 v1, null, 0, v1, vcc_lo
	s_lshl_b64 s[22:23], s[56:57], 3
	s_wait_alu 0xfffe
	v_add_co_u32 v0, vcc_lo, v0, s22
	s_wait_alu 0xfffd
	v_add_co_ci_u32_e64 v1, null, s23, v1, vcc_lo
	s_mov_b32 s22, 0
	v_add_co_u32 v0, vcc_lo, v0, 8
	s_wait_alu 0xfffd
	v_add_co_ci_u32_e64 v1, null, 0, v1, vcc_lo
	s_delay_alu instid0(VALU_DEP_2) | instskip(NEXT) | instid1(VALU_DEP_2)
	v_cndmask_b32_e64 v0, v0, v2, s1
	v_cndmask_b32_e64 v1, v1, v3, s1
.LBB34_24:                              ;   in Loop: Header=BB34_4 Depth=1
	s_wait_alu 0xfffe
	s_and_b32 vcc_lo, exec_lo, s22
	s_wait_alu 0xfffe
	s_cbranch_vccz .LBB34_26
; %bb.25:                               ;   in Loop: Header=BB34_4 Depth=1
	s_lshl_b64 s[22:23], s[52:53], 3
	s_wait_alu 0xfffe
	v_add_co_u32 v0, vcc_lo, v2, s22
	s_wait_alu 0xfffd
	v_add_co_ci_u32_e64 v1, null, s23, v3, vcc_lo
	s_delay_alu instid0(VALU_DEP_2) | instskip(SKIP_1) | instid1(VALU_DEP_2)
	v_add_co_u32 v4, vcc_lo, v0, s58
	s_wait_alu 0xfffd
	v_add_co_ci_u32_e64 v5, null, s59, v1, vcc_lo
	s_delay_alu instid0(VALU_DEP_2) | instskip(SKIP_1) | instid1(VALU_DEP_2)
	v_add_co_u32 v6, vcc_lo, v4, s58
	s_wait_alu 0xfffd
	v_add_co_ci_u32_e64 v7, null, s59, v5, vcc_lo
	s_clause 0x3
	flat_load_b64 v[8:9], v[2:3]
	flat_load_b64 v[10:11], v[0:1]
	flat_load_b64 v[4:5], v[4:5]
	flat_load_b64 v[6:7], v[6:7]
	v_dual_mov_b32 v0, v2 :: v_dual_mov_b32 v1, v3
	s_wait_loadcnt_dscnt 0x303
	ds_store_b64 v180, v[8:9]
	s_wait_loadcnt_dscnt 0x203
	ds_store_b64 v180, v[10:11] offset:2112
	s_wait_loadcnt_dscnt 0x103
	ds_store_b64 v180, v[4:5] offset:4224
	;; [unrolled: 2-line block ×3, first 2 shown]
.LBB34_26:                              ;   in Loop: Header=BB34_4 Depth=1
	s_mov_b32 s22, 0
	s_wait_dscnt 0x0
	s_barrier_signal -1
	s_barrier_wait -1
	global_inv scope:SCOPE_SE
	s_and_saveexec_b32 s23, s6
	s_wait_alu 0xfffe
	s_xor_b32 s23, exec_lo, s23
; %bb.27:                               ;   in Loop: Header=BB34_4 Depth=1
	s_and_b32 s22, s7, exec_lo
; %bb.28:                               ;   in Loop: Header=BB34_4 Depth=1
	s_wait_alu 0xfffe
	s_or_saveexec_b32 s23, s23
	v_dual_mov_b32 v2, 0 :: v_dual_mov_b32 v3, v107
	s_wait_alu 0xfffe
	s_xor_b32 exec_lo, exec_lo, s23
	s_cbranch_execz .LBB34_30
; %bb.29:                               ;   in Loop: Header=BB34_4 Depth=1
	ds_load_b64 v[4:5], v182
	v_mov_b32_e32 v3, v108
	s_or_b32 s22, s22, exec_lo
	s_wait_dscnt 0x0
	v_xor_b32_e32 v2, 0x80000000, v5
	ds_store_b32 v108, v4
.LBB34_30:                              ;   in Loop: Header=BB34_4 Depth=1
	s_or_b32 exec_lo, exec_lo, s23
	s_wait_alu 0xfffe
	s_and_saveexec_b32 s23, s22
; %bb.31:                               ;   in Loop: Header=BB34_4 Depth=1
	ds_store_b32 v3, v2 offset:4
; %bb.32:                               ;   in Loop: Header=BB34_4 Depth=1
	s_wait_alu 0xfffe
	s_or_b32 exec_lo, exec_lo, s23
	s_mov_b32 s22, 0
                                        ; implicit-def: $vgpr2
	s_and_saveexec_b32 s23, s8
	s_wait_alu 0xfffe
	s_xor_b32 s23, exec_lo, s23
	s_cbranch_execnz .LBB34_166
; %bb.33:                               ;   in Loop: Header=BB34_4 Depth=1
	s_wait_alu 0xfffe
	s_or_saveexec_b32 s23, s23
	v_mov_b32_e32 v3, v109
	s_wait_alu 0xfffe
	s_xor_b32 exec_lo, exec_lo, s23
	s_cbranch_execnz .LBB34_167
.LBB34_34:                              ;   in Loop: Header=BB34_4 Depth=1
	s_or_b32 exec_lo, exec_lo, s23
	s_and_saveexec_b32 s23, s22
.LBB34_35:                              ;   in Loop: Header=BB34_4 Depth=1
	ds_store_b32 v3, v2 offset:4
.LBB34_36:                              ;   in Loop: Header=BB34_4 Depth=1
	s_wait_alu 0xfffe
	s_or_b32 exec_lo, exec_lo, s23
	s_mov_b32 s22, 0
	s_and_saveexec_b32 s23, s10
	s_wait_alu 0xfffe
	s_xor_b32 s23, exec_lo, s23
; %bb.37:                               ;   in Loop: Header=BB34_4 Depth=1
	s_and_b32 s22, s11, exec_lo
; %bb.38:                               ;   in Loop: Header=BB34_4 Depth=1
	s_wait_alu 0xfffe
	s_or_saveexec_b32 s23, s23
	v_dual_mov_b32 v2, 0 :: v_dual_mov_b32 v3, v107
	s_wait_alu 0xfffe
	s_xor_b32 exec_lo, exec_lo, s23
	s_cbranch_execz .LBB34_40
; %bb.39:                               ;   in Loop: Header=BB34_4 Depth=1
	ds_load_b64 v[4:5], v183 offset:264
	v_mov_b32_e32 v3, v110
	s_or_b32 s22, s22, exec_lo
	s_wait_dscnt 0x0
	v_xor_b32_e32 v2, 0x80000000, v5
	ds_store_b32 v110, v4
.LBB34_40:                              ;   in Loop: Header=BB34_4 Depth=1
	s_or_b32 exec_lo, exec_lo, s23
	s_wait_alu 0xfffe
	s_and_saveexec_b32 s23, s22
; %bb.41:                               ;   in Loop: Header=BB34_4 Depth=1
	ds_store_b32 v3, v2 offset:4
; %bb.42:                               ;   in Loop: Header=BB34_4 Depth=1
	s_wait_alu 0xfffe
	s_or_b32 exec_lo, exec_lo, s23
	s_mov_b32 s22, 0
	s_and_saveexec_b32 s23, s12
	s_wait_alu 0xfffe
	s_xor_b32 s23, exec_lo, s23
; %bb.43:                               ;   in Loop: Header=BB34_4 Depth=1
	s_and_b32 s22, s13, exec_lo
; %bb.44:                               ;   in Loop: Header=BB34_4 Depth=1
	s_wait_alu 0xfffe
	s_or_saveexec_b32 s23, s23
	v_dual_mov_b32 v2, 0 :: v_dual_mov_b32 v3, v107
	s_wait_alu 0xfffe
	s_xor_b32 exec_lo, exec_lo, s23
	s_cbranch_execz .LBB34_46
; %bb.45:                               ;   in Loop: Header=BB34_4 Depth=1
	ds_load_b64 v[4:5], v183 offset:528
	v_mov_b32_e32 v3, v112
	s_or_b32 s22, s22, exec_lo
	s_wait_dscnt 0x0
	v_xor_b32_e32 v2, 0x80000000, v5
	ds_store_b32 v112, v4
.LBB34_46:                              ;   in Loop: Header=BB34_4 Depth=1
	s_or_b32 exec_lo, exec_lo, s23
	s_wait_alu 0xfffe
	s_and_saveexec_b32 s23, s22
; %bb.47:                               ;   in Loop: Header=BB34_4 Depth=1
	ds_store_b32 v3, v2 offset:4
; %bb.48:                               ;   in Loop: Header=BB34_4 Depth=1
	s_wait_alu 0xfffe
	s_or_b32 exec_lo, exec_lo, s23
	s_wait_loadcnt_dscnt 0x0
	s_barrier_signal -1
	s_barrier_wait -1
	global_inv scope:SCOPE_SE
	ds_load_b64 v[10:11], v182
	ds_load_b128 v[2:5], v113
	ds_load_2addr_b64 v[6:9], v183 offset1:33
	ds_load_b128 v[14:17], v113 offset:16
	ds_load_b64 v[18:19], v183 offset:528
	s_wait_loadcnt_dscnt 0x0
	s_barrier_signal -1
	s_barrier_wait -1
	global_inv scope:SCOPE_SE
	v_mov_b32_e32 v70, 0
	v_mul_f32_e32 v20, v3, v11
	v_dual_mul_f32 v11, v2, v11 :: v_dual_mul_f32 v22, v15, v9
	v_mul_f32_e32 v9, v14, v9
	s_delay_alu instid0(VALU_DEP_3) | instskip(SKIP_1) | instid1(VALU_DEP_4)
	v_fma_f32 v2, v2, v10, -v20
	v_mul_f32_e32 v21, v5, v7
	v_fmac_f32_e32 v11, v3, v10
	s_delay_alu instid0(VALU_DEP_4) | instskip(SKIP_3) | instid1(VALU_DEP_1)
	v_fmac_f32_e32 v9, v15, v8
	v_fma_f32 v10, v14, v8, -v22
	v_dual_add_f32 v2, 0, v2 :: v_dual_mul_f32 v7, v4, v7
	v_fma_f32 v4, v4, v6, -v21
	v_dual_add_f32 v2, v2, v4 :: v_dual_fmac_f32 v7, v5, v6
	v_mul_f32_e32 v6, v16, v19
	v_add_f32_e32 v5, 0, v11
	s_delay_alu instid0(VALU_DEP_3) | instskip(NEXT) | instid1(VALU_DEP_3)
	v_dual_mul_f32 v3, v17, v19 :: v_dual_add_f32 v2, v2, v10
	v_fmac_f32_e32 v6, v17, v18
	s_delay_alu instid0(VALU_DEP_3) | instskip(NEXT) | instid1(VALU_DEP_3)
	v_add_f32_e32 v4, v5, v7
	v_fma_f32 v3, v16, v18, -v3
	s_delay_alu instid0(VALU_DEP_2) | instskip(NEXT) | instid1(VALU_DEP_1)
	v_dual_mov_b32 v69, 0 :: v_dual_add_f32 v4, v4, v9
	v_dual_add_f32 v2, v2, v3 :: v_dual_add_f32 v3, v4, v6
	ds_store_b64 v114, v[2:3]
	s_wait_loadcnt_dscnt 0x0
	s_barrier_signal -1
	s_barrier_wait -1
	global_inv scope:SCOPE_SE
	s_and_saveexec_b32 s22, s14
	s_cbranch_execz .LBB34_50
; %bb.49:                               ;   in Loop: Header=BB34_4 Depth=1
	ds_load_2addr_b64 v[2:5], v111 offset1:7
	ds_load_2addr_b64 v[6:9], v111 offset0:1 offset1:2
	ds_load_2addr_b64 v[14:17], v111 offset0:3 offset1:4
	;; [unrolled: 1-line block ×3, first 2 shown]
	s_wait_dscnt 0x2
	v_dual_add_f32 v2, v6, v2 :: v_dual_add_f32 v3, v7, v3
	s_delay_alu instid0(VALU_DEP_1) | instskip(SKIP_1) | instid1(VALU_DEP_1)
	v_dual_add_f32 v2, v8, v2 :: v_dual_add_f32 v3, v9, v3
	s_wait_dscnt 0x1
	v_dual_add_f32 v2, v2, v14 :: v_dual_add_f32 v3, v3, v15
	s_delay_alu instid0(VALU_DEP_1) | instskip(SKIP_1) | instid1(VALU_DEP_1)
	v_dual_add_f32 v2, v2, v16 :: v_dual_add_f32 v3, v3, v17
	s_wait_dscnt 0x0
	v_dual_add_f32 v2, v2, v18 :: v_dual_add_f32 v3, v3, v19
	s_delay_alu instid0(VALU_DEP_1) | instskip(NEXT) | instid1(VALU_DEP_1)
	v_dual_add_f32 v2, v2, v20 :: v_dual_add_f32 v3, v3, v21
	v_dual_add_f32 v69, v2, v4 :: v_dual_add_f32 v70, v3, v5
.LBB34_50:                              ;   in Loop: Header=BB34_4 Depth=1
	s_wait_alu 0xfffe
	s_or_b32 exec_lo, exec_lo, s22
	v_add_co_u32 v4, vcc_lo, v0, s60
	s_wait_alu 0xfffd
	v_add_co_ci_u32_e64 v5, null, s61, v1, vcc_lo
	s_mov_b32 s22, -1
	v_add_co_u32 v2, vcc_lo, 0x100, v4
	s_wait_alu 0xfffd
	v_add_co_ci_u32_e64 v3, null, 0, v5, vcc_lo
	s_and_b32 vcc_lo, exec_lo, s77
	s_wait_loadcnt 0x0
	s_barrier_signal -1
	s_barrier_wait -1
	global_inv scope:SCOPE_SE
                                        ; implicit-def: $vgpr0_vgpr1
	s_wait_alu 0xfffe
	s_cbranch_vccz .LBB34_62
; %bb.51:                               ;   in Loop: Header=BB34_4 Depth=1
	s_and_saveexec_b32 s22, s16
	s_wait_alu 0xfffe
	s_xor_b32 s22, exec_lo, s22
; %bb.52:                               ;   in Loop: Header=BB34_4 Depth=1
	v_mov_b32_e32 v68, v67
	ds_store_b64 v180, v[67:68]
; %bb.53:                               ;   in Loop: Header=BB34_4 Depth=1
	s_wait_alu 0xfffe
	s_or_saveexec_b32 s22, s22
	v_add_co_u32 v0, vcc_lo, v4, v63
	s_wait_alu 0xfffd
	v_add_co_ci_u32_e64 v1, null, v5, v64, vcc_lo
	s_lshl_b64 s[72:73], s[46:47], 3
	s_wait_alu 0xfffe
	v_add_co_u32 v0, vcc_lo, v0, s72
	s_wait_alu 0xfffd
	v_add_co_ci_u32_e64 v1, null, s73, v1, vcc_lo
	s_delay_alu instid0(VALU_DEP_2) | instskip(SKIP_1) | instid1(VALU_DEP_2)
	v_add_co_u32 v0, vcc_lo, v0, -8
	s_wait_alu 0xfffd
	v_add_co_ci_u32_e64 v1, null, -1, v1, vcc_lo
	s_delay_alu instid0(VALU_DEP_2) | instskip(NEXT) | instid1(VALU_DEP_2)
	v_cndmask_b32_e64 v0, v0, v2, s15
	v_cndmask_b32_e64 v1, v1, v3, s15
	s_xor_b32 exec_lo, exec_lo, s22
	s_cbranch_execnz .LBB34_176
; %bb.54:                               ;   in Loop: Header=BB34_4 Depth=1
	s_or_b32 exec_lo, exec_lo, s22
	s_and_saveexec_b32 s22, s17
	s_wait_alu 0xfffe
	s_xor_b32 s22, exec_lo, s22
	s_cbranch_execnz .LBB34_177
.LBB34_55:                              ;   in Loop: Header=BB34_4 Depth=1
	s_wait_alu 0xfffe
	s_and_not1_saveexec_b32 s22, s22
	s_cbranch_execnz .LBB34_178
.LBB34_56:                              ;   in Loop: Header=BB34_4 Depth=1
	s_wait_alu 0xfffe
	s_or_b32 exec_lo, exec_lo, s22
	s_and_saveexec_b32 s22, s18
	s_wait_alu 0xfffe
	s_xor_b32 s22, exec_lo, s22
	s_cbranch_execnz .LBB34_179
.LBB34_57:                              ;   in Loop: Header=BB34_4 Depth=1
	s_wait_alu 0xfffe
	s_and_not1_saveexec_b32 s22, s22
	s_cbranch_execnz .LBB34_180
.LBB34_58:                              ;   in Loop: Header=BB34_4 Depth=1
	s_wait_alu 0xfffe
	s_or_b32 exec_lo, exec_lo, s22
	s_and_saveexec_b32 s22, s19
	s_wait_alu 0xfffe
	s_xor_b32 s22, exec_lo, s22
	s_cbranch_execnz .LBB34_181
.LBB34_59:                              ;   in Loop: Header=BB34_4 Depth=1
	s_wait_alu 0xfffe
	s_and_not1_saveexec_b32 s22, s22
	s_cbranch_execz .LBB34_61
.LBB34_60:                              ;   in Loop: Header=BB34_4 Depth=1
	s_lshl_b64 s[72:73], s[54:55], 3
	s_wait_alu 0xfffe
	v_add_co_u32 v6, vcc_lo, v0, s72
	s_wait_alu 0xfffd
	v_add_co_ci_u32_e64 v7, null, s73, v1, vcc_lo
	flat_load_b64 v[6:7], v[6:7]
	s_wait_loadcnt_dscnt 0x0
	ds_store_b64 v180, v[6:7] offset:6336
.LBB34_61:                              ;   in Loop: Header=BB34_4 Depth=1
	s_wait_alu 0xfffe
	s_or_b32 exec_lo, exec_lo, s22
	v_add_co_u32 v0, vcc_lo, v0, v171
	s_wait_alu 0xfffd
	v_add_co_ci_u32_e64 v1, null, 0, v1, vcc_lo
	s_lshl_b64 s[22:23], s[56:57], 3
	s_wait_alu 0xfffe
	v_add_co_u32 v0, vcc_lo, v0, s22
	s_wait_alu 0xfffd
	v_add_co_ci_u32_e64 v1, null, s23, v1, vcc_lo
	s_mov_b32 s22, 0
	v_add_co_u32 v0, vcc_lo, 0x108, v0
	s_wait_alu 0xfffd
	v_add_co_ci_u32_e64 v1, null, 0, v1, vcc_lo
	s_delay_alu instid0(VALU_DEP_2) | instskip(NEXT) | instid1(VALU_DEP_2)
	v_cndmask_b32_e64 v0, v0, v2, s15
	v_cndmask_b32_e64 v1, v1, v3, s15
.LBB34_62:                              ;   in Loop: Header=BB34_4 Depth=1
	s_wait_alu 0xfffe
	s_and_b32 vcc_lo, exec_lo, s22
	s_wait_alu 0xfffe
	s_cbranch_vccz .LBB34_64
; %bb.63:                               ;   in Loop: Header=BB34_4 Depth=1
	s_lshl_b64 s[22:23], s[52:53], 3
	s_wait_alu 0xfffe
	v_add_co_u32 v0, vcc_lo, v4, s22
	s_wait_alu 0xfffd
	v_add_co_ci_u32_e64 v1, null, s23, v5, vcc_lo
	s_delay_alu instid0(VALU_DEP_2) | instskip(SKIP_1) | instid1(VALU_DEP_2)
	v_add_co_u32 v6, vcc_lo, v0, s58
	s_wait_alu 0xfffd
	v_add_co_ci_u32_e64 v7, null, s59, v1, vcc_lo
	s_delay_alu instid0(VALU_DEP_2) | instskip(SKIP_1) | instid1(VALU_DEP_2)
	v_add_co_u32 v8, vcc_lo, v6, s58
	s_wait_alu 0xfffd
	v_add_co_ci_u32_e64 v9, null, s59, v7, vcc_lo
	s_clause 0x3
	flat_load_b64 v[4:5], v[4:5] offset:256
	flat_load_b64 v[10:11], v[0:1] offset:256
	;; [unrolled: 1-line block ×4, first 2 shown]
	v_dual_mov_b32 v0, v2 :: v_dual_mov_b32 v1, v3
	s_wait_loadcnt_dscnt 0x303
	ds_store_b64 v180, v[4:5]
	s_wait_loadcnt_dscnt 0x203
	ds_store_b64 v180, v[10:11] offset:2112
	s_wait_loadcnt_dscnt 0x103
	ds_store_b64 v180, v[6:7] offset:4224
	s_wait_loadcnt_dscnt 0x3
	ds_store_b64 v180, v[8:9] offset:6336
.LBB34_64:                              ;   in Loop: Header=BB34_4 Depth=1
	s_mov_b32 s22, 0
	s_wait_loadcnt_dscnt 0x0
	s_barrier_signal -1
	s_barrier_wait -1
	global_inv scope:SCOPE_SE
	s_and_saveexec_b32 s23, s6
	s_wait_alu 0xfffe
	s_xor_b32 s23, exec_lo, s23
; %bb.65:                               ;   in Loop: Header=BB34_4 Depth=1
	s_and_b32 s22, s7, exec_lo
; %bb.66:                               ;   in Loop: Header=BB34_4 Depth=1
	s_wait_alu 0xfffe
	s_or_saveexec_b32 s23, s23
	v_dual_mov_b32 v2, 0 :: v_dual_mov_b32 v3, v107
	s_wait_alu 0xfffe
	s_xor_b32 exec_lo, exec_lo, s23
	s_cbranch_execz .LBB34_68
; %bb.67:                               ;   in Loop: Header=BB34_4 Depth=1
	ds_load_b64 v[4:5], v182
	v_mov_b32_e32 v3, v108
	s_or_b32 s22, s22, exec_lo
	s_wait_dscnt 0x0
	v_xor_b32_e32 v2, 0x80000000, v5
	ds_store_b32 v108, v4
.LBB34_68:                              ;   in Loop: Header=BB34_4 Depth=1
	s_or_b32 exec_lo, exec_lo, s23
	s_wait_alu 0xfffe
	s_and_saveexec_b32 s23, s22
; %bb.69:                               ;   in Loop: Header=BB34_4 Depth=1
	ds_store_b32 v3, v2 offset:4
; %bb.70:                               ;   in Loop: Header=BB34_4 Depth=1
	s_wait_alu 0xfffe
	s_or_b32 exec_lo, exec_lo, s23
	s_mov_b32 s22, 0
                                        ; implicit-def: $vgpr2
	s_and_saveexec_b32 s23, s8
	s_wait_alu 0xfffe
	s_xor_b32 s23, exec_lo, s23
	s_cbranch_execnz .LBB34_168
; %bb.71:                               ;   in Loop: Header=BB34_4 Depth=1
	s_wait_alu 0xfffe
	s_or_saveexec_b32 s23, s23
	v_mov_b32_e32 v3, v109
	s_wait_alu 0xfffe
	s_xor_b32 exec_lo, exec_lo, s23
	s_cbranch_execnz .LBB34_169
.LBB34_72:                              ;   in Loop: Header=BB34_4 Depth=1
	s_or_b32 exec_lo, exec_lo, s23
	s_and_saveexec_b32 s23, s22
.LBB34_73:                              ;   in Loop: Header=BB34_4 Depth=1
	ds_store_b32 v3, v2 offset:4
.LBB34_74:                              ;   in Loop: Header=BB34_4 Depth=1
	s_wait_alu 0xfffe
	s_or_b32 exec_lo, exec_lo, s23
	s_mov_b32 s22, 0
	s_and_saveexec_b32 s23, s10
	s_wait_alu 0xfffe
	s_xor_b32 s23, exec_lo, s23
; %bb.75:                               ;   in Loop: Header=BB34_4 Depth=1
	s_and_b32 s22, s11, exec_lo
; %bb.76:                               ;   in Loop: Header=BB34_4 Depth=1
	s_wait_alu 0xfffe
	s_or_saveexec_b32 s23, s23
	v_dual_mov_b32 v2, 0 :: v_dual_mov_b32 v3, v107
	s_wait_alu 0xfffe
	s_xor_b32 exec_lo, exec_lo, s23
	s_cbranch_execz .LBB34_78
; %bb.77:                               ;   in Loop: Header=BB34_4 Depth=1
	ds_load_b64 v[4:5], v183 offset:264
	v_mov_b32_e32 v3, v110
	s_or_b32 s22, s22, exec_lo
	s_wait_dscnt 0x0
	v_xor_b32_e32 v2, 0x80000000, v5
	ds_store_b32 v110, v4
.LBB34_78:                              ;   in Loop: Header=BB34_4 Depth=1
	s_or_b32 exec_lo, exec_lo, s23
	s_wait_alu 0xfffe
	s_and_saveexec_b32 s23, s22
; %bb.79:                               ;   in Loop: Header=BB34_4 Depth=1
	ds_store_b32 v3, v2 offset:4
; %bb.80:                               ;   in Loop: Header=BB34_4 Depth=1
	s_wait_alu 0xfffe
	s_or_b32 exec_lo, exec_lo, s23
	s_mov_b32 s22, 0
	s_and_saveexec_b32 s23, s12
	s_wait_alu 0xfffe
	s_xor_b32 s23, exec_lo, s23
; %bb.81:                               ;   in Loop: Header=BB34_4 Depth=1
	s_and_b32 s22, s13, exec_lo
; %bb.82:                               ;   in Loop: Header=BB34_4 Depth=1
	s_wait_alu 0xfffe
	s_or_saveexec_b32 s23, s23
	v_dual_mov_b32 v2, 0 :: v_dual_mov_b32 v3, v107
	s_wait_alu 0xfffe
	s_xor_b32 exec_lo, exec_lo, s23
	s_cbranch_execz .LBB34_84
; %bb.83:                               ;   in Loop: Header=BB34_4 Depth=1
	ds_load_b64 v[4:5], v183 offset:528
	v_mov_b32_e32 v3, v112
	s_or_b32 s22, s22, exec_lo
	s_wait_dscnt 0x0
	v_xor_b32_e32 v2, 0x80000000, v5
	ds_store_b32 v112, v4
.LBB34_84:                              ;   in Loop: Header=BB34_4 Depth=1
	s_or_b32 exec_lo, exec_lo, s23
	s_wait_alu 0xfffe
	s_and_saveexec_b32 s23, s22
; %bb.85:                               ;   in Loop: Header=BB34_4 Depth=1
	ds_store_b32 v3, v2 offset:4
; %bb.86:                               ;   in Loop: Header=BB34_4 Depth=1
	s_wait_alu 0xfffe
	s_or_b32 exec_lo, exec_lo, s23
	s_wait_loadcnt_dscnt 0x0
	s_barrier_signal -1
	s_barrier_wait -1
	global_inv scope:SCOPE_SE
	ds_load_b64 v[10:11], v182
	ds_load_b128 v[2:5], v113 offset:256
	ds_load_2addr_b64 v[6:9], v183 offset1:33
	ds_load_b128 v[14:17], v113 offset:272
	ds_load_b64 v[18:19], v183 offset:528
	s_wait_loadcnt_dscnt 0x0
	s_barrier_signal -1
	s_barrier_wait -1
	global_inv scope:SCOPE_SE
	v_mul_f32_e32 v20, v3, v11
	v_dual_mul_f32 v11, v2, v11 :: v_dual_mul_f32 v22, v15, v9
	v_mul_f32_e32 v9, v14, v9
	s_delay_alu instid0(VALU_DEP_3) | instskip(SKIP_1) | instid1(VALU_DEP_4)
	v_fma_f32 v2, v2, v10, -v20
	v_mul_f32_e32 v21, v5, v7
	v_fmac_f32_e32 v11, v3, v10
	s_delay_alu instid0(VALU_DEP_4) | instskip(SKIP_3) | instid1(VALU_DEP_1)
	v_fmac_f32_e32 v9, v15, v8
	v_fma_f32 v10, v14, v8, -v22
	v_dual_add_f32 v2, 0, v2 :: v_dual_mul_f32 v7, v4, v7
	v_fma_f32 v4, v4, v6, -v21
	v_dual_add_f32 v2, v2, v4 :: v_dual_fmac_f32 v7, v5, v6
	v_mul_f32_e32 v6, v16, v19
	v_add_f32_e32 v5, 0, v11
	s_delay_alu instid0(VALU_DEP_3) | instskip(NEXT) | instid1(VALU_DEP_3)
	v_dual_mul_f32 v3, v17, v19 :: v_dual_add_f32 v2, v2, v10
	v_fmac_f32_e32 v6, v17, v18
	s_delay_alu instid0(VALU_DEP_3) | instskip(NEXT) | instid1(VALU_DEP_3)
	v_add_f32_e32 v4, v5, v7
	v_fma_f32 v3, v16, v18, -v3
	s_delay_alu instid0(VALU_DEP_2) | instskip(NEXT) | instid1(VALU_DEP_1)
	v_add_f32_e32 v4, v4, v9
	v_dual_add_f32 v2, v2, v3 :: v_dual_add_f32 v3, v4, v6
	ds_store_b64 v114, v[2:3]
	s_wait_loadcnt_dscnt 0x0
	s_barrier_signal -1
	s_barrier_wait -1
	global_inv scope:SCOPE_SE
	s_and_saveexec_b32 s22, s20
	s_cbranch_execz .LBB34_88
; %bb.87:                               ;   in Loop: Header=BB34_4 Depth=1
	ds_load_2addr_b64 v[2:5], v111 offset1:7
	ds_load_2addr_b64 v[6:9], v111 offset0:1 offset1:2
	ds_load_2addr_b64 v[14:17], v111 offset0:3 offset1:4
	;; [unrolled: 1-line block ×3, first 2 shown]
	s_wait_dscnt 0x2
	v_dual_add_f32 v2, v6, v2 :: v_dual_add_f32 v3, v7, v3
	s_delay_alu instid0(VALU_DEP_1) | instskip(SKIP_1) | instid1(VALU_DEP_1)
	v_dual_add_f32 v2, v8, v2 :: v_dual_add_f32 v3, v9, v3
	s_wait_dscnt 0x1
	v_dual_add_f32 v2, v2, v14 :: v_dual_add_f32 v3, v3, v15
	s_delay_alu instid0(VALU_DEP_1) | instskip(SKIP_1) | instid1(VALU_DEP_1)
	v_dual_add_f32 v2, v2, v16 :: v_dual_add_f32 v3, v3, v17
	s_wait_dscnt 0x0
	v_dual_add_f32 v2, v2, v18 :: v_dual_add_f32 v3, v3, v19
	s_delay_alu instid0(VALU_DEP_1) | instskip(NEXT) | instid1(VALU_DEP_1)
	v_dual_add_f32 v2, v2, v20 :: v_dual_add_f32 v3, v3, v21
	v_dual_add_f32 v69, v2, v4 :: v_dual_add_f32 v70, v3, v5
.LBB34_88:                              ;   in Loop: Header=BB34_4 Depth=1
	s_wait_alu 0xfffe
	s_or_b32 exec_lo, exec_lo, s22
	v_add_co_u32 v2, vcc_lo, 0xffffff00, v0
	s_wait_alu 0xfffd
	v_add_co_ci_u32_e64 v3, null, -1, v1, vcc_lo
	s_and_b32 vcc_lo, exec_lo, s77
	s_mov_b32 s22, -1
	s_wait_loadcnt 0x0
	s_barrier_signal -1
	s_barrier_wait -1
	global_inv scope:SCOPE_SE
                                        ; implicit-def: $vgpr14_vgpr15
	s_wait_alu 0xfffe
	s_cbranch_vccz .LBB34_100
; %bb.89:                               ;   in Loop: Header=BB34_4 Depth=1
	s_and_saveexec_b32 s22, s16
	s_wait_alu 0xfffe
	s_xor_b32 s22, exec_lo, s22
; %bb.90:                               ;   in Loop: Header=BB34_4 Depth=1
	v_mov_b32_e32 v68, v67
	ds_store_b64 v180, v[67:68]
; %bb.91:                               ;   in Loop: Header=BB34_4 Depth=1
	s_wait_alu 0xfffe
	s_or_saveexec_b32 s22, s22
	v_add_co_u32 v4, vcc_lo, v0, v63
	s_wait_alu 0xfffd
	v_add_co_ci_u32_e64 v5, null, v1, v64, vcc_lo
	s_lshl_b64 s[72:73], s[46:47], 3
	s_wait_alu 0xfffe
	v_add_co_u32 v4, vcc_lo, v4, s72
	s_wait_alu 0xfffd
	v_add_co_ci_u32_e64 v5, null, s73, v5, vcc_lo
	s_delay_alu instid0(VALU_DEP_2) | instskip(SKIP_1) | instid1(VALU_DEP_2)
	v_add_co_u32 v4, vcc_lo, 0xfffffef8, v4
	s_wait_alu 0xfffd
	v_add_co_ci_u32_e64 v5, null, -1, v5, vcc_lo
	s_delay_alu instid0(VALU_DEP_2) | instskip(NEXT) | instid1(VALU_DEP_2)
	v_cndmask_b32_e64 v4, v4, v2, s1
	v_cndmask_b32_e64 v5, v5, v3, s1
	s_xor_b32 exec_lo, exec_lo, s22
	s_cbranch_execnz .LBB34_182
; %bb.92:                               ;   in Loop: Header=BB34_4 Depth=1
	s_or_b32 exec_lo, exec_lo, s22
	s_and_saveexec_b32 s22, s17
	s_wait_alu 0xfffe
	s_xor_b32 s22, exec_lo, s22
	s_cbranch_execnz .LBB34_183
.LBB34_93:                              ;   in Loop: Header=BB34_4 Depth=1
	s_wait_alu 0xfffe
	s_and_not1_saveexec_b32 s22, s22
	s_cbranch_execnz .LBB34_184
.LBB34_94:                              ;   in Loop: Header=BB34_4 Depth=1
	s_wait_alu 0xfffe
	s_or_b32 exec_lo, exec_lo, s22
	s_and_saveexec_b32 s22, s18
	s_wait_alu 0xfffe
	s_xor_b32 s22, exec_lo, s22
	s_cbranch_execnz .LBB34_185
.LBB34_95:                              ;   in Loop: Header=BB34_4 Depth=1
	s_wait_alu 0xfffe
	s_and_not1_saveexec_b32 s22, s22
	s_cbranch_execnz .LBB34_186
.LBB34_96:                              ;   in Loop: Header=BB34_4 Depth=1
	s_wait_alu 0xfffe
	s_or_b32 exec_lo, exec_lo, s22
	s_and_saveexec_b32 s22, s19
	s_wait_alu 0xfffe
	s_xor_b32 s22, exec_lo, s22
	s_cbranch_execnz .LBB34_187
.LBB34_97:                              ;   in Loop: Header=BB34_4 Depth=1
	s_wait_alu 0xfffe
	s_and_not1_saveexec_b32 s22, s22
	s_cbranch_execz .LBB34_99
.LBB34_98:                              ;   in Loop: Header=BB34_4 Depth=1
	s_lshl_b64 s[72:73], s[54:55], 3
	s_wait_alu 0xfffe
	v_add_co_u32 v6, vcc_lo, v4, s72
	s_wait_alu 0xfffd
	v_add_co_ci_u32_e64 v7, null, s73, v5, vcc_lo
	flat_load_b64 v[6:7], v[6:7]
	s_wait_loadcnt_dscnt 0x0
	ds_store_b64 v180, v[6:7] offset:6336
.LBB34_99:                              ;   in Loop: Header=BB34_4 Depth=1
	s_wait_alu 0xfffe
	s_or_b32 exec_lo, exec_lo, s22
	v_add_co_u32 v4, vcc_lo, v4, v171
	s_wait_alu 0xfffd
	v_add_co_ci_u32_e64 v5, null, 0, v5, vcc_lo
	s_lshl_b64 s[22:23], s[56:57], 3
	s_wait_alu 0xfffe
	v_add_co_u32 v4, vcc_lo, v4, s22
	s_wait_alu 0xfffd
	v_add_co_ci_u32_e64 v5, null, s23, v5, vcc_lo
	s_mov_b32 s22, 0
	v_add_co_u32 v4, vcc_lo, v4, 8
	s_wait_alu 0xfffd
	v_add_co_ci_u32_e64 v5, null, 0, v5, vcc_lo
	s_delay_alu instid0(VALU_DEP_2) | instskip(NEXT) | instid1(VALU_DEP_2)
	v_cndmask_b32_e64 v14, v4, v2, s1
	v_cndmask_b32_e64 v15, v5, v3, s1
.LBB34_100:                             ;   in Loop: Header=BB34_4 Depth=1
	s_wait_alu 0xfffe
	s_and_b32 vcc_lo, exec_lo, s22
	s_wait_alu 0xfffe
	s_cbranch_vccz .LBB34_102
; %bb.101:                              ;   in Loop: Header=BB34_4 Depth=1
	s_lshl_b64 s[22:23], s[52:53], 3
	v_dual_mov_b32 v15, v3 :: v_dual_mov_b32 v14, v2
	s_wait_alu 0xfffe
	v_add_co_u32 v4, vcc_lo, v0, s22
	s_wait_alu 0xfffd
	v_add_co_ci_u32_e64 v5, null, s23, v1, vcc_lo
	s_delay_alu instid0(VALU_DEP_2) | instskip(SKIP_1) | instid1(VALU_DEP_2)
	v_add_co_u32 v6, vcc_lo, v4, s58
	s_wait_alu 0xfffd
	v_add_co_ci_u32_e64 v7, null, s59, v5, vcc_lo
	s_delay_alu instid0(VALU_DEP_2) | instskip(SKIP_1) | instid1(VALU_DEP_2)
	v_add_co_u32 v8, vcc_lo, v6, s58
	s_wait_alu 0xfffd
	v_add_co_ci_u32_e64 v9, null, s59, v7, vcc_lo
	s_clause 0x3
	flat_load_b64 v[0:1], v[0:1] offset:-256
	flat_load_b64 v[4:5], v[4:5] offset:-256
	;; [unrolled: 1-line block ×4, first 2 shown]
	s_wait_loadcnt_dscnt 0x303
	ds_store_b64 v180, v[0:1]
	s_wait_loadcnt_dscnt 0x203
	ds_store_b64 v180, v[4:5] offset:2112
	s_wait_loadcnt_dscnt 0x103
	ds_store_b64 v180, v[6:7] offset:4224
	;; [unrolled: 2-line block ×3, first 2 shown]
.LBB34_102:                             ;   in Loop: Header=BB34_4 Depth=1
	v_add_nc_u32_e32 v0, v108, v116
	v_add_nc_u32_e32 v1, v113, v116
	s_wait_loadcnt_dscnt 0x0
	s_barrier_signal -1
	s_barrier_wait -1
	global_inv scope:SCOPE_SE
	ds_load_2addr_b64 v[20:23], v114 offset0:8 offset1:16
	ds_load_2addr_b64 v[24:27], v139 offset0:8 offset1:16
	ds_load_b64 v[28:29], v0
	ds_load_b64 v[30:31], v1
	ds_load_b64 v[32:33], v114 offset:192
	ds_load_b64 v[34:35], v139 offset:192
	ds_load_b128 v[8:11], v113 offset:256
	ds_load_b128 v[0:3], v113 offset:272
	ds_load_2addr_b64 v[4:7], v183 offset1:33
	ds_load_b64 v[18:19], v182
	ds_load_b64 v[16:17], v183 offset:528
	s_wait_loadcnt_dscnt 0x0
	s_barrier_signal -1
	s_barrier_wait -1
	global_inv scope:SCOPE_SE
	v_mul_f32_e32 v36, v21, v25
	v_mul_f32_e32 v38, v23, v27
	;; [unrolled: 1-line block ×4, first 2 shown]
	s_delay_alu instid0(VALU_DEP_4) | instskip(NEXT) | instid1(VALU_DEP_4)
	v_dual_mul_f32 v29, v29, v30 :: v_dual_fmac_f32 v36, v20, v24
	v_dual_mul_f32 v21, v21, v24 :: v_dual_fmac_f32 v38, v22, v26
	s_delay_alu instid0(VALU_DEP_4) | instskip(NEXT) | instid1(VALU_DEP_3)
	v_fmac_f32_e32 v37, v28, v30
	v_fma_f32 v28, v28, v31, -v29
	v_mul_f32_e32 v26, v33, v34
	s_delay_alu instid0(VALU_DEP_4) | instskip(SKIP_1) | instid1(VALU_DEP_4)
	v_fma_f32 v20, v20, v25, -v21
	v_fma_f32 v22, v22, v27, -v23
	v_dual_add_f32 v24, 0, v28 :: v_dual_add_f32 v21, 0, v37
	v_mul_f32_e32 v25, v33, v35
	v_fma_f32 v23, v32, v35, -v26
	s_delay_alu instid0(VALU_DEP_3) | instskip(NEXT) | instid1(VALU_DEP_4)
	v_add_f32_e32 v20, v24, v20
	v_add_f32_e32 v21, v21, v36
	s_delay_alu instid0(VALU_DEP_4) | instskip(NEXT) | instid1(VALU_DEP_3)
	v_fmac_f32_e32 v25, v32, v34
	v_add_f32_e32 v22, v20, v22
	s_delay_alu instid0(VALU_DEP_3) | instskip(NEXT) | instid1(VALU_DEP_1)
	v_add_f32_e32 v21, v21, v38
	v_dual_add_f32 v20, v21, v25 :: v_dual_add_f32 v21, v22, v23
	ds_store_b64 v114, v[20:21]
	s_wait_loadcnt_dscnt 0x0
	s_barrier_signal -1
	s_barrier_wait -1
	global_inv scope:SCOPE_SE
	s_and_saveexec_b32 s22, s20
	s_cbranch_execz .LBB34_104
; %bb.103:                              ;   in Loop: Header=BB34_4 Depth=1
	ds_load_2addr_b64 v[20:23], v111 offset1:1
	ds_load_2addr_b64 v[24:27], v111 offset0:2 offset1:3
	ds_load_2addr_b64 v[28:31], v111 offset0:4 offset1:5
	s_wait_dscnt 0x2
	v_dual_add_f32 v20, v69, v20 :: v_dual_add_f32 v21, v70, v21
	s_delay_alu instid0(VALU_DEP_1) | instskip(SKIP_3) | instid1(VALU_DEP_1)
	v_dual_add_f32 v32, v20, v22 :: v_dual_add_f32 v33, v21, v23
	ds_load_2addr_b64 v[20:23], v111 offset0:6 offset1:7
	s_wait_dscnt 0x2
	v_dual_add_f32 v24, v32, v24 :: v_dual_add_f32 v25, v33, v25
	v_dual_add_f32 v24, v24, v26 :: v_dual_add_f32 v25, v25, v27
	s_wait_dscnt 0x1
	s_delay_alu instid0(VALU_DEP_1) | instskip(NEXT) | instid1(VALU_DEP_1)
	v_dual_add_f32 v24, v24, v28 :: v_dual_add_f32 v25, v25, v29
	v_dual_add_f32 v24, v24, v30 :: v_dual_add_f32 v25, v25, v31
	s_wait_dscnt 0x0
	s_delay_alu instid0(VALU_DEP_1) | instskip(NEXT) | instid1(VALU_DEP_1)
	v_dual_add_f32 v20, v24, v20 :: v_dual_add_f32 v21, v25, v21
	v_dual_add_f32 v69, v20, v22 :: v_dual_add_f32 v70, v21, v23
.LBB34_104:                             ;   in Loop: Header=BB34_4 Depth=1
	s_wait_alu 0xfffe
	s_or_b32 exec_lo, exec_lo, s22
	v_dual_mul_f32 v20, v9, v19 :: v_dual_mul_f32 v21, v11, v5
	v_mul_f32_e32 v19, v8, v19
	v_dual_mul_f32 v5, v10, v5 :: v_dual_mul_f32 v22, v1, v7
	s_delay_alu instid0(VALU_DEP_3) | instskip(NEXT) | instid1(VALU_DEP_4)
	v_fma_f32 v8, v8, v18, -v20
	v_fma_f32 v10, v10, v4, -v21
	v_mul_f32_e32 v7, v0, v7
	s_wait_loadcnt 0x0
	v_fma_f32 v0, v0, v6, -v22
	v_add_f32_e32 v8, 0, v8
	v_fmac_f32_e32 v5, v11, v4
	v_fmac_f32_e32 v7, v1, v6
	s_barrier_signal -1
	s_barrier_wait -1
	v_add_f32_e32 v8, v8, v10
	v_fmac_f32_e32 v19, v9, v18
	global_inv scope:SCOPE_SE
	v_dual_add_f32 v0, v8, v0 :: v_dual_mul_f32 v9, v3, v17
	v_dual_add_f32 v4, 0, v19 :: v_dual_mul_f32 v11, v2, v17
	s_delay_alu instid0(VALU_DEP_2) | instskip(NEXT) | instid1(VALU_DEP_2)
	v_fma_f32 v2, v2, v16, -v9
	v_add_f32_e32 v1, v4, v5
	s_delay_alu instid0(VALU_DEP_2) | instskip(NEXT) | instid1(VALU_DEP_2)
	v_dual_add_f32 v0, v0, v2 :: v_dual_fmac_f32 v11, v3, v16
	v_add_f32_e32 v1, v1, v7
	s_delay_alu instid0(VALU_DEP_1)
	v_add_f32_e32 v1, v1, v11
	ds_store_b64 v114, v[0:1]
	s_wait_loadcnt_dscnt 0x0
	s_barrier_signal -1
	s_barrier_wait -1
	global_inv scope:SCOPE_SE
	s_and_saveexec_b32 s22, s14
	s_cbranch_execz .LBB34_106
; %bb.105:                              ;   in Loop: Header=BB34_4 Depth=1
	ds_load_2addr_b64 v[0:3], v111 offset1:1
	ds_load_2addr_b64 v[4:7], v111 offset0:2 offset1:3
	ds_load_2addr_b64 v[8:11], v111 offset0:4 offset1:5
	s_wait_dscnt 0x2
	v_dual_add_f32 v0, v69, v0 :: v_dual_add_f32 v1, v70, v1
	s_delay_alu instid0(VALU_DEP_1) | instskip(SKIP_3) | instid1(VALU_DEP_1)
	v_dual_add_f32 v16, v0, v2 :: v_dual_add_f32 v17, v1, v3
	ds_load_2addr_b64 v[0:3], v111 offset0:6 offset1:7
	s_wait_dscnt 0x2
	v_dual_add_f32 v4, v16, v4 :: v_dual_add_f32 v5, v17, v5
	v_dual_add_f32 v4, v4, v6 :: v_dual_add_f32 v5, v5, v7
	s_wait_dscnt 0x1
	s_delay_alu instid0(VALU_DEP_1) | instskip(NEXT) | instid1(VALU_DEP_1)
	v_dual_add_f32 v4, v4, v8 :: v_dual_add_f32 v5, v5, v9
	v_dual_add_f32 v4, v4, v10 :: v_dual_add_f32 v5, v5, v11
	s_wait_dscnt 0x0
	s_delay_alu instid0(VALU_DEP_1) | instskip(NEXT) | instid1(VALU_DEP_1)
	v_dual_add_f32 v0, v4, v0 :: v_dual_add_f32 v1, v5, v1
	v_dual_add_f32 v69, v0, v2 :: v_dual_add_f32 v70, v1, v3
.LBB34_106:                             ;   in Loop: Header=BB34_4 Depth=1
	s_wait_alu 0xfffe
	s_or_b32 exec_lo, exec_lo, s22
	s_mul_u64 s[22:23], s[48:49], s[34:35]
	s_and_not1_b32 vcc_lo, exec_lo, s78
	s_wait_alu 0xfffe
	s_lshl_b64 s[22:23], s[22:23], 3
	s_wait_loadcnt 0x0
	s_wait_alu 0xfffe
	s_add_nc_u64 s[72:73], s[50:51], s[22:23]
	s_barrier_signal -1
	s_barrier_wait -1
	global_inv scope:SCOPE_SE
	s_cbranch_vccnz .LBB34_164
; %bb.107:                              ;   in Loop: Header=BB34_4 Depth=1
	v_add_co_u32 v186, vcc_lo, v12, s70
	s_wait_alu 0xfffd
	v_add_co_ci_u32_e64 v187, null, s71, v13, vcc_lo
	v_add_co_u32 v188, vcc_lo, v14, v144
	s_wait_alu 0xfffd
	v_add_co_ci_u32_e64 v189, null, v15, v143, vcc_lo
	;; [unrolled: 3-line block ×21, first 2 shown]
	v_mov_b32_e32 v71, v140
	s_mov_b32 s23, ttmp9
	s_mov_b32 s74, s82
	s_wait_alu 0xfffe
	s_cmp_eq_u32 s79, s23
	s_cselect_b32 s83, s76, 0
	s_and_saveexec_b32 s22, s0
	s_cbranch_execz .LBB34_112
.LBB34_108:                             ;   in Loop: Header=BB34_4 Depth=1
	s_wait_alu 0xfffe
	v_cmp_le_i32_e32 vcc_lo, s83, v56
	s_cmp_lg_u32 s83, 0
	s_cselect_b32 s75, -1, 0
	s_wait_alu 0xfffe
	s_and_b32 s75, s75, vcc_lo
	s_wait_alu 0xfffe
	s_and_saveexec_b32 s84, s75
	s_wait_alu 0xfffe
	s_xor_b32 s75, exec_lo, s84
; %bb.109:                              ;   in Loop: Header=BB34_4 Depth=1
	v_mov_b32_e32 v68, v67
	ds_store_b64 v117, v[67:68]
; %bb.110:                              ;   in Loop: Header=BB34_4 Depth=1
	s_wait_alu 0xfffe
	s_and_not1_saveexec_b32 s75, s75
	s_cbranch_execz .LBB34_112
; %bb.111:                              ;   in Loop: Header=BB34_4 Depth=1
	s_ashr_i32 s75, s74, 31
	s_wait_alu 0xfffe
	s_lshl_b64 s[84:85], s[74:75], 3
	s_wait_alu 0xfffe
	v_add_co_u32 v0, vcc_lo, v186, s84
	s_wait_alu 0xfffd
	v_add_co_ci_u32_e64 v1, null, s85, v187, vcc_lo
	flat_load_b64 v[0:1], v[0:1]
	s_wait_loadcnt_dscnt 0x0
	ds_store_b64 v117, v[0:1]
.LBB34_112:                             ;   Parent Loop BB34_4 Depth=1
                                        ; =>  This Inner Loop Header: Depth=2
	s_wait_alu 0xfffe
	s_or_b32 exec_lo, exec_lo, s22
	s_cmp_eq_u32 s83, 0
	v_add_co_u32 v0, vcc_lo, v196, v141
	s_cselect_b32 s75, -1, 0
	s_cmp_lg_u32 s83, 0
	s_wait_alu 0xfffd
	v_add_co_ci_u32_e64 v1, null, v197, v142, vcc_lo
	s_cselect_b32 s22, -1, 0
	s_wait_loadcnt_dscnt 0x0
	s_wait_alu 0xfffe
	s_and_b32 vcc_lo, exec_lo, s22
	s_barrier_signal -1
	s_barrier_wait -1
	global_inv scope:SCOPE_SE
	s_wait_alu 0xfffe
	s_cbranch_vccz .LBB34_120
; %bb.113:                              ;   in Loop: Header=BB34_112 Depth=2
	v_dual_mov_b32 v75, 0 :: v_dual_mov_b32 v74, 0
	v_mov_b32_e32 v73, 0
	s_mov_b32 s84, exec_lo
	v_cmpx_gt_i32_e64 s83, v115
	s_cbranch_execz .LBB34_115
; %bb.114:                              ;   in Loop: Header=BB34_112 Depth=2
	flat_load_b64 v[73:74], v[0:1]
.LBB34_115:                             ;   in Loop: Header=BB34_112 Depth=2
	s_wait_alu 0xfffe
	s_or_b32 exec_lo, exec_lo, s84
	v_mov_b32_e32 v76, 0
	s_mov_b32 s84, exec_lo
	v_cmpx_gt_i32_e64 s83, v123
	s_cbranch_execz .LBB34_117
; %bb.116:                              ;   in Loop: Header=BB34_112 Depth=2
	v_add_co_u32 v2, vcc_lo, v192, v141
	s_wait_alu 0xfffd
	v_add_co_ci_u32_e64 v3, null, v193, v142, vcc_lo
	flat_load_b64 v[75:76], v[2:3]
.LBB34_117:                             ;   in Loop: Header=BB34_112 Depth=2
	s_wait_alu 0xfffe
	s_or_b32 exec_lo, exec_lo, s84
	v_dual_mov_b32 v77, 0 :: v_dual_mov_b32 v78, 0
	s_mov_b32 s84, exec_lo
	v_cmpx_gt_i32_e64 s83, v124
	s_cbranch_execz .LBB34_119
; %bb.118:                              ;   in Loop: Header=BB34_112 Depth=2
	v_add_co_u32 v2, vcc_lo, v200, v141
	s_wait_alu 0xfffd
	v_add_co_ci_u32_e64 v3, null, v201, v142, vcc_lo
	flat_load_b64 v[77:78], v[2:3]
.LBB34_119:                             ;   in Loop: Header=BB34_112 Depth=2
	s_wait_alu 0xfffe
	s_or_b32 exec_lo, exec_lo, s84
	v_cmp_gt_i32_e64 s84, s83, v125
	s_branch .LBB34_122
.LBB34_120:                             ;   in Loop: Header=BB34_112 Depth=2
	s_mov_b32 s84, 0
                                        ; implicit-def: $vgpr74
                                        ; implicit-def: $vgpr76
                                        ; implicit-def: $vgpr78
	s_cbranch_execz .LBB34_122
; %bb.121:                              ;   in Loop: Header=BB34_112 Depth=2
	v_add_co_u32 v2, vcc_lo, v192, v141
	s_wait_alu 0xfffd
	v_add_co_ci_u32_e64 v3, null, v193, v142, vcc_lo
	v_add_co_u32 v4, vcc_lo, v188, v141
	s_wait_alu 0xfffd
	v_add_co_ci_u32_e64 v5, null, v189, v142, vcc_lo
	s_wait_loadcnt_dscnt 0x0
	flat_load_b64 v[73:74], v[0:1]
	flat_load_b64 v[75:76], v[2:3]
	flat_load_b64 v[77:78], v[4:5] offset:-4
	s_wait_alu 0xfffe
	s_or_b32 s84, s84, exec_lo
.LBB34_122:                             ;   in Loop: Header=BB34_112 Depth=2
	v_dual_mov_b32 v79, 0 :: v_dual_mov_b32 v80, 0
	s_wait_alu 0xfffe
	s_delay_alu instid0(VALU_DEP_2)
	s_and_saveexec_b32 s85, s84
	s_cbranch_execz .LBB34_124
; %bb.123:                              ;   in Loop: Header=BB34_112 Depth=2
	v_add_co_u32 v0, vcc_lo, v204, v141
	s_wait_alu 0xfffd
	v_add_co_ci_u32_e64 v1, null, v205, v142, vcc_lo
	flat_load_b64 v[79:80], v[0:1]
.LBB34_124:                             ;   in Loop: Header=BB34_112 Depth=2
	s_wait_alu 0xfffe
	s_or_b32 exec_lo, exec_lo, s85
	ds_load_b64 v[4:5], v106
	ds_load_b128 v[0:3], v118
	v_cndmask_b32_e64 v40, 0, 1, s22
	s_wait_loadcnt_dscnt 0x1
	v_dual_mul_f32 v8, v74, v5 :: v_dual_mul_f32 v7, v76, v4
	v_mul_f32_e32 v6, v74, v4
	v_dual_mul_f32 v10, v76, v5 :: v_dual_mul_f32 v13, v78, v4
	v_dual_mul_f32 v12, v78, v5 :: v_dual_mul_f32 v15, v80, v4
	v_mul_f32_e32 v14, v80, v5
	v_fmac_f32_e32 v8, v73, v4
	v_fma_f32 v9, v73, v5, -v6
	v_fmac_f32_e32 v10, v75, v4
	v_fma_f32 v11, v75, v5, -v7
	;; [unrolled: 2-line block ×4, first 2 shown]
	ds_load_b128 v[4:7], v118 offset:16
	ds_store_2addr_b64 v119, v[8:9], v[10:11] offset1:67
	ds_store_2addr_b64 v119, v[12:13], v[14:15] offset0:134 offset1:201
	s_wait_dscnt 0x0
	s_barrier_signal -1
	s_barrier_wait -1
	global_inv scope:SCOPE_SE
	ds_load_2addr_b64 v[16:19], v120 offset1:1
	ds_load_2addr_b64 v[8:11], v120 offset0:2 offset1:3
	v_add_co_u32 v12, vcc_lo, v216, v141
	s_wait_alu 0xfffd
	v_add_co_ci_u32_e64 v13, null, v217, v142, vcc_lo
	s_and_not1_b32 vcc_lo, exec_lo, s22
	s_wait_loadcnt_dscnt 0x0
	s_barrier_signal -1
	s_barrier_wait -1
	global_inv scope:SCOPE_SE
	s_wait_alu 0xfffe
	s_cbranch_vccnz .LBB34_132
; %bb.125:                              ;   in Loop: Header=BB34_112 Depth=2
	v_dual_mov_b32 v81, 0 :: v_dual_mov_b32 v84, 0
	v_mov_b32_e32 v83, 0
	s_mov_b32 s22, exec_lo
	v_cmpx_gt_i32_e64 s83, v126
	s_cbranch_execz .LBB34_127
; %bb.126:                              ;   in Loop: Header=BB34_112 Depth=2
	flat_load_b64 v[83:84], v[12:13]
.LBB34_127:                             ;   in Loop: Header=BB34_112 Depth=2
	s_wait_alu 0xfffe
	s_or_b32 exec_lo, exec_lo, s22
	v_mov_b32_e32 v82, 0
	s_mov_b32 s22, exec_lo
	v_cmpx_gt_i32_e64 s83, v127
	s_cbranch_execz .LBB34_129
; %bb.128:                              ;   in Loop: Header=BB34_112 Depth=2
	v_add_co_u32 v14, vcc_lo, v212, v141
	s_wait_alu 0xfffd
	v_add_co_ci_u32_e64 v15, null, v213, v142, vcc_lo
	flat_load_b64 v[81:82], v[14:15]
.LBB34_129:                             ;   in Loop: Header=BB34_112 Depth=2
	s_wait_alu 0xfffe
	s_or_b32 exec_lo, exec_lo, s22
	v_dual_mov_b32 v85, 0 :: v_dual_mov_b32 v86, 0
	s_mov_b32 s22, exec_lo
	v_cmpx_gt_i32_e64 s83, v128
	s_cbranch_execz .LBB34_131
; %bb.130:                              ;   in Loop: Header=BB34_112 Depth=2
	v_add_co_u32 v14, vcc_lo, v220, v141
	s_wait_alu 0xfffd
	v_add_co_ci_u32_e64 v15, null, v221, v142, vcc_lo
	flat_load_b64 v[85:86], v[14:15]
.LBB34_131:                             ;   in Loop: Header=BB34_112 Depth=2
	s_wait_alu 0xfffe
	s_or_b32 exec_lo, exec_lo, s22
	v_cmp_gt_i32_e64 s22, s83, v129
	s_branch .LBB34_134
.LBB34_132:                             ;   in Loop: Header=BB34_112 Depth=2
	s_mov_b32 s22, 0
                                        ; implicit-def: $vgpr84
                                        ; implicit-def: $vgpr82
                                        ; implicit-def: $vgpr86
	s_cbranch_execz .LBB34_134
; %bb.133:                              ;   in Loop: Header=BB34_112 Depth=2
	v_add_co_u32 v14, vcc_lo, v212, v141
	s_wait_alu 0xfffd
	v_add_co_ci_u32_e64 v15, null, v213, v142, vcc_lo
	v_add_co_u32 v20, vcc_lo, v208, v141
	s_wait_alu 0xfffd
	v_add_co_ci_u32_e64 v21, null, v209, v142, vcc_lo
	s_wait_loadcnt_dscnt 0x0
	flat_load_b64 v[83:84], v[12:13]
	flat_load_b64 v[81:82], v[14:15]
	flat_load_b64 v[85:86], v[20:21] offset:-4
	s_wait_alu 0xfffe
	s_or_b32 s22, s22, exec_lo
.LBB34_134:                             ;   in Loop: Header=BB34_112 Depth=2
	v_dual_mov_b32 v87, 0 :: v_dual_mov_b32 v88, 0
	s_wait_alu 0xfffe
	s_delay_alu instid0(VALU_DEP_2)
	s_and_saveexec_b32 s84, s22
	s_cbranch_execz .LBB34_136
; %bb.135:                              ;   in Loop: Header=BB34_112 Depth=2
	v_add_co_u32 v12, vcc_lo, v224, v141
	s_wait_alu 0xfffd
	v_add_co_ci_u32_e64 v13, null, v225, v142, vcc_lo
	flat_load_b64 v[87:88], v[12:13]
.LBB34_136:                             ;   in Loop: Header=BB34_112 Depth=2
	s_wait_alu 0xfffe
	s_or_b32 exec_lo, exec_lo, s84
	ds_load_b64 v[20:21], v106
	ds_load_b128 v[12:15], v118 offset:128
	v_cmp_ne_u32_e32 vcc_lo, 1, v40
	s_and_b32 vcc_lo, exec_lo, vcc_lo
	s_wait_loadcnt_dscnt 0x1
	v_dual_mul_f32 v24, v84, v21 :: v_dual_mul_f32 v23, v82, v20
	v_mul_f32_e32 v22, v84, v20
	v_dual_mul_f32 v26, v82, v21 :: v_dual_mul_f32 v31, v88, v20
	v_mul_f32_e32 v28, v86, v21
	v_dual_mul_f32 v29, v86, v20 :: v_dual_mul_f32 v30, v88, v21
	v_fmac_f32_e32 v24, v83, v20
	v_fma_f32 v25, v83, v21, -v22
	v_fmac_f32_e32 v26, v81, v20
	v_fma_f32 v27, v81, v21, -v23
	v_fmac_f32_e32 v28, v85, v20
	v_fma_f32 v29, v85, v21, -v29
	v_fmac_f32_e32 v30, v87, v20
	v_fma_f32 v31, v87, v21, -v31
	ds_load_b128 v[20:23], v118 offset:144
	ds_store_2addr_b64 v119, v[24:25], v[26:27] offset1:67
	ds_store_2addr_b64 v119, v[28:29], v[30:31] offset0:134 offset1:201
	s_wait_dscnt 0x0
	s_barrier_signal -1
	s_barrier_wait -1
	global_inv scope:SCOPE_SE
	ds_load_2addr_b64 v[36:39], v120 offset1:1
	ds_load_2addr_b64 v[32:35], v120 offset0:2 offset1:3
	v_add_co_u32 v24, s22, v218, v141
	s_wait_alu 0xf1ff
	v_add_co_ci_u32_e64 v25, null, v219, v142, s22
	s_wait_loadcnt_dscnt 0x0
	s_barrier_signal -1
	s_barrier_wait -1
	global_inv scope:SCOPE_SE
	s_wait_alu 0xfffe
	s_cbranch_vccnz .LBB34_144
; %bb.137:                              ;   in Loop: Header=BB34_112 Depth=2
	v_dual_mov_b32 v89, 0 :: v_dual_mov_b32 v92, 0
	v_mov_b32_e32 v91, 0
	s_mov_b32 s22, exec_lo
	v_cmpx_gt_i32_e64 s83, v130
	s_cbranch_execz .LBB34_139
; %bb.138:                              ;   in Loop: Header=BB34_112 Depth=2
	flat_load_b64 v[91:92], v[24:25] offset:-4
.LBB34_139:                             ;   in Loop: Header=BB34_112 Depth=2
	s_wait_alu 0xfffe
	s_or_b32 exec_lo, exec_lo, s22
	v_mov_b32_e32 v90, 0
	s_mov_b32 s22, exec_lo
	v_cmpx_gt_i32_e64 s83, v131
	s_cbranch_execz .LBB34_141
; %bb.140:                              ;   in Loop: Header=BB34_112 Depth=2
	v_add_co_u32 v26, vcc_lo, v222, v141
	s_wait_alu 0xfffd
	v_add_co_ci_u32_e64 v27, null, v223, v142, vcc_lo
	flat_load_b64 v[89:90], v[26:27] offset:-4
.LBB34_141:                             ;   in Loop: Header=BB34_112 Depth=2
	s_wait_alu 0xfffe
	s_or_b32 exec_lo, exec_lo, s22
	v_dual_mov_b32 v93, 0 :: v_dual_mov_b32 v94, 0
	s_mov_b32 s22, exec_lo
	v_cmpx_gt_i32_e64 s83, v132
	s_cbranch_execz .LBB34_143
; %bb.142:                              ;   in Loop: Header=BB34_112 Depth=2
	v_add_co_u32 v26, vcc_lo, v214, v141
	s_wait_alu 0xfffd
	v_add_co_ci_u32_e64 v27, null, v215, v142, vcc_lo
	flat_load_b64 v[93:94], v[26:27] offset:-4
.LBB34_143:                             ;   in Loop: Header=BB34_112 Depth=2
	s_wait_alu 0xfffe
	s_or_b32 exec_lo, exec_lo, s22
	v_cmp_gt_i32_e64 s22, s83, v133
	s_branch .LBB34_146
.LBB34_144:                             ;   in Loop: Header=BB34_112 Depth=2
	s_mov_b32 s22, 0
                                        ; implicit-def: $vgpr92
                                        ; implicit-def: $vgpr90
                                        ; implicit-def: $vgpr94
	s_cbranch_execz .LBB34_146
; %bb.145:                              ;   in Loop: Header=BB34_112 Depth=2
	v_add_co_u32 v26, vcc_lo, v222, v141
	s_wait_alu 0xfffd
	v_add_co_ci_u32_e64 v27, null, v223, v142, vcc_lo
	v_add_co_u32 v28, vcc_lo, v226, v141
	s_wait_alu 0xfffd
	v_add_co_ci_u32_e64 v29, null, v227, v142, vcc_lo
	s_wait_loadcnt_dscnt 0x0
	flat_load_b64 v[91:92], v[24:25] offset:-4
	flat_load_b64 v[89:90], v[26:27] offset:-4
	;; [unrolled: 1-line block ×3, first 2 shown]
	s_wait_alu 0xfffe
	s_or_b32 s22, s22, exec_lo
.LBB34_146:                             ;   in Loop: Header=BB34_112 Depth=2
	v_dual_mov_b32 v95, 0 :: v_dual_mov_b32 v96, 0
	s_wait_alu 0xfffe
	s_delay_alu instid0(VALU_DEP_2)
	s_and_saveexec_b32 s84, s22
	s_cbranch_execz .LBB34_148
; %bb.147:                              ;   in Loop: Header=BB34_112 Depth=2
	v_add_co_u32 v24, vcc_lo, v210, v141
	s_wait_alu 0xfffd
	v_add_co_ci_u32_e64 v25, null, v211, v142, vcc_lo
	flat_load_b64 v[95:96], v[24:25] offset:-4
.LBB34_148:                             ;   in Loop: Header=BB34_112 Depth=2
	s_wait_alu 0xfffe
	s_or_b32 exec_lo, exec_lo, s84
	ds_load_b64 v[28:29], v106
	ds_load_b128 v[24:27], v118 offset:256
	v_cmp_ne_u32_e32 vcc_lo, 1, v40
	v_add_co_u32 v40, s22, v198, v141
	s_and_b32 vcc_lo, exec_lo, vcc_lo
	s_wait_loadcnt_dscnt 0x1
	v_dual_mul_f32 v41, v92, v29 :: v_dual_mul_f32 v46, v94, v28
	v_dual_mul_f32 v30, v92, v28 :: v_dual_mul_f32 v43, v90, v29
	v_mul_f32_e32 v31, v90, v28
	v_dual_mul_f32 v45, v94, v29 :: v_dual_mul_f32 v48, v96, v28
	v_mul_f32_e32 v47, v96, v29
	v_fmac_f32_e32 v41, v91, v28
	v_fma_f32 v42, v91, v29, -v30
	v_fmac_f32_e32 v43, v89, v28
	v_fma_f32 v44, v89, v29, -v31
	;; [unrolled: 2-line block ×4, first 2 shown]
	ds_load_b128 v[28:31], v118 offset:272
	ds_store_2addr_b64 v119, v[41:42], v[43:44] offset1:67
	ds_store_2addr_b64 v119, v[45:46], v[47:48] offset0:134 offset1:201
	s_wait_dscnt 0x0
	s_barrier_signal -1
	s_barrier_wait -1
	global_inv scope:SCOPE_SE
	ds_load_2addr_b64 v[52:55], v120 offset1:1
	ds_load_2addr_b64 v[48:51], v120 offset0:2 offset1:3
	s_wait_alu 0xf1ff
	v_add_co_ci_u32_e64 v41, null, v199, v142, s22
	s_wait_loadcnt_dscnt 0x0
	s_barrier_signal -1
	s_barrier_wait -1
	global_inv scope:SCOPE_SE
	s_wait_alu 0xfffe
	s_cbranch_vccnz .LBB34_156
; %bb.149:                              ;   in Loop: Header=BB34_112 Depth=2
	v_dual_mov_b32 v99, 0 :: v_dual_mov_b32 v98, 0
	v_mov_b32_e32 v97, 0
	s_mov_b32 s22, exec_lo
	v_cmpx_gt_i32_e64 s83, v134
	s_cbranch_execz .LBB34_151
; %bb.150:                              ;   in Loop: Header=BB34_112 Depth=2
	flat_load_b64 v[97:98], v[40:41] offset:-4
.LBB34_151:                             ;   in Loop: Header=BB34_112 Depth=2
	s_wait_alu 0xfffe
	s_or_b32 exec_lo, exec_lo, s22
	v_mov_b32_e32 v100, 0
	s_mov_b32 s22, exec_lo
	v_cmpx_gt_i32_e64 s83, v135
	s_cbranch_execz .LBB34_153
; %bb.152:                              ;   in Loop: Header=BB34_112 Depth=2
	v_add_co_u32 v42, vcc_lo, v202, v141
	s_wait_alu 0xfffd
	v_add_co_ci_u32_e64 v43, null, v203, v142, vcc_lo
	flat_load_b64 v[99:100], v[42:43] offset:-4
.LBB34_153:                             ;   in Loop: Header=BB34_112 Depth=2
	s_wait_alu 0xfffe
	s_or_b32 exec_lo, exec_lo, s22
	v_dual_mov_b32 v101, 0 :: v_dual_mov_b32 v102, 0
	s_mov_b32 s22, exec_lo
	v_cmpx_gt_i32_e64 s83, v136
	s_cbranch_execz .LBB34_155
; %bb.154:                              ;   in Loop: Header=BB34_112 Depth=2
	v_add_co_u32 v42, vcc_lo, v194, v141
	s_wait_alu 0xfffd
	v_add_co_ci_u32_e64 v43, null, v195, v142, vcc_lo
	flat_load_b64 v[101:102], v[42:43] offset:-4
.LBB34_155:                             ;   in Loop: Header=BB34_112 Depth=2
	s_wait_alu 0xfffe
	s_or_b32 exec_lo, exec_lo, s22
	v_cmp_gt_i32_e64 s22, s83, v137
	s_branch .LBB34_158
.LBB34_156:                             ;   in Loop: Header=BB34_112 Depth=2
	s_mov_b32 s22, 0
                                        ; implicit-def: $vgpr98
                                        ; implicit-def: $vgpr100
                                        ; implicit-def: $vgpr102
	s_cbranch_execz .LBB34_158
; %bb.157:                              ;   in Loop: Header=BB34_112 Depth=2
	v_add_co_u32 v42, vcc_lo, v202, v141
	s_wait_alu 0xfffd
	v_add_co_ci_u32_e64 v43, null, v203, v142, vcc_lo
	v_add_co_u32 v44, vcc_lo, v206, v141
	s_wait_alu 0xfffd
	v_add_co_ci_u32_e64 v45, null, v207, v142, vcc_lo
	s_wait_loadcnt_dscnt 0x0
	flat_load_b64 v[97:98], v[40:41] offset:-4
	flat_load_b64 v[99:100], v[42:43] offset:-4
	flat_load_b64 v[101:102], v[44:45]
	s_wait_alu 0xfffe
	s_or_b32 s22, s22, exec_lo
.LBB34_158:                             ;   in Loop: Header=BB34_112 Depth=2
	v_dual_mov_b32 v103, 0 :: v_dual_mov_b32 v104, 0
	s_wait_alu 0xfffe
	s_delay_alu instid0(VALU_DEP_2)
	s_and_saveexec_b32 s84, s22
	s_cbranch_execz .LBB34_160
; %bb.159:                              ;   in Loop: Header=BB34_112 Depth=2
	v_add_co_u32 v40, vcc_lo, v190, v141
	s_wait_alu 0xfffd
	v_add_co_ci_u32_e64 v41, null, v191, v142, vcc_lo
	flat_load_b64 v[103:104], v[40:41] offset:-4
.LBB34_160:                             ;   in Loop: Header=BB34_112 Depth=2
	s_wait_alu 0xfffe
	s_or_b32 exec_lo, exec_lo, s84
	ds_load_b64 v[44:45], v106
	ds_load_b128 v[40:43], v118 offset:384
	v_cmp_gt_i32_e32 vcc_lo, s83, v56
	v_add_f32_e32 v53, 0, v53
	v_add_f32_e32 v37, 0, v37
	;; [unrolled: 1-line block ×3, first 2 shown]
	s_or_b32 s22, s75, vcc_lo
	s_wait_alu 0xfffe
	s_and_b32 s75, s21, s22
	v_add_f32_e32 v37, v37, v39
	v_dual_add_f32 v17, v17, v19 :: v_dual_add_f32 v52, 0, v52
	s_delay_alu instid0(VALU_DEP_2) | instskip(NEXT) | instid1(VALU_DEP_2)
	v_add_f32_e32 v33, v37, v33
	v_dual_add_f32 v39, v17, v9 :: v_dual_add_f32 v36, 0, v36
	s_wait_loadcnt_dscnt 0x1
	v_mul_f32_e32 v46, v98, v44
	v_mul_f32_e32 v72, v104, v44
	;; [unrolled: 1-line block ×3, first 2 shown]
	v_dual_mul_f32 v228, v98, v45 :: v_dual_mul_f32 v47, v100, v44
	v_mul_f32_e32 v230, v100, v45
	s_delay_alu instid0(VALU_DEP_4) | instskip(SKIP_4) | instid1(VALU_DEP_4)
	v_fma_f32 v235, v103, v45, -v72
	v_add_f32_e32 v72, v53, v55
	v_mul_f32_e32 v232, v102, v45
	v_fmac_f32_e32 v228, v97, v44
	v_fma_f32 v229, v97, v45, -v46
	v_dual_fmac_f32 v230, v99, v44 :: v_dual_add_f32 v19, v72, v49
	v_mul_f32_e32 v234, v104, v45
	v_fma_f32 v231, v99, v45, -v47
	v_fmac_f32_e32 v232, v101, v44
	v_fma_f32 v233, v101, v45, -v68
	v_add_f32_e32 v9, v19, v51
	v_dual_fmac_f32 v234, v103, v44 :: v_dual_add_f32 v17, v33, v35
	ds_load_b128 v[44:47], v118 offset:400
	ds_store_2addr_b64 v119, v[228:229], v[230:231] offset1:67
	ds_store_2addr_b64 v119, v[232:233], v[234:235] offset0:134 offset1:201
	s_wait_dscnt 0x0
	s_barrier_signal -1
	s_barrier_wait -1
	global_inv scope:SCOPE_SE
	ds_load_2addr_b64 v[228:231], v120 offset1:1
	v_add_f32_e32 v68, v52, v54
	ds_load_2addr_b64 v[52:55], v120 offset0:2 offset1:3
	v_dual_add_f32 v16, 0, v16 :: v_dual_add_f32 v11, v39, v11
	v_add_f32_e32 v36, v36, v38
	s_wait_loadcnt_dscnt 0x0
	s_barrier_signal -1
	s_delay_alu instid0(VALU_DEP_2)
	v_add_f32_e32 v16, v16, v18
	v_add_f32_e32 v18, v68, v48
	;; [unrolled: 1-line block ×3, first 2 shown]
	s_barrier_wait -1
	global_inv scope:SCOPE_SE
	v_add_f32_e32 v38, v16, v8
	v_add_f32_e32 v8, v18, v50
	;; [unrolled: 1-line block ×3, first 2 shown]
	s_delay_alu instid0(VALU_DEP_3) | instskip(SKIP_1) | instid1(VALU_DEP_1)
	v_add_f32_e32 v10, v38, v10
	v_dual_add_f32 v36, 0, v228 :: v_dual_add_f32 v37, 0, v229
	v_add_f32_e32 v18, v36, v230
	s_delay_alu instid0(VALU_DEP_2) | instskip(NEXT) | instid1(VALU_DEP_1)
	v_add_f32_e32 v36, v37, v231
	v_dual_add_f32 v18, v18, v52 :: v_dual_add_f32 v19, v36, v53
	s_delay_alu instid0(VALU_DEP_1)
	v_dual_add_f32 v18, v18, v54 :: v_dual_add_f32 v19, v19, v55
	ds_store_2addr_b64 v181, v[10:11], v[16:17] offset1:16
	ds_store_2addr_b64 v181, v[8:9], v[18:19] offset0:32 offset1:48
	s_wait_loadcnt_dscnt 0x0
	s_barrier_signal -1
	s_barrier_wait -1
	global_inv scope:SCOPE_SE
	s_wait_alu 0xfffe
	s_and_saveexec_b32 s22, s75
	s_cbranch_execz .LBB34_162
; %bb.161:                              ;   in Loop: Header=BB34_112 Depth=2
	ds_load_b64 v[36:37], v121
	ds_load_2addr_b64 v[8:11], v121 offset0:1 offset1:2
	ds_load_2addr_b64 v[16:19], v121 offset0:3 offset1:4
	;; [unrolled: 1-line block ×3, first 2 shown]
	v_ashrrev_i32_e32 v72, 31, v71
	s_wait_dscnt 0x2
	v_dual_add_f32 v8, v8, v36 :: v_dual_add_f32 v9, v9, v37
	s_delay_alu instid0(VALU_DEP_1) | instskip(SKIP_3) | instid1(VALU_DEP_1)
	v_dual_add_f32 v36, v10, v8 :: v_dual_add_f32 v37, v11, v9
	ds_load_2addr_b64 v[8:11], v121 offset0:7 offset1:8
	s_wait_dscnt 0x2
	v_dual_add_f32 v16, v36, v16 :: v_dual_add_f32 v17, v37, v17
	v_dual_add_f32 v36, v16, v18 :: v_dual_add_f32 v37, v17, v19
	ds_load_2addr_b64 v[16:19], v121 offset0:9 offset1:10
	s_wait_dscnt 0x2
	v_dual_add_f32 v32, v36, v32 :: v_dual_add_f32 v33, v37, v33
	s_delay_alu instid0(VALU_DEP_1) | instskip(SKIP_3) | instid1(VALU_DEP_1)
	v_dual_add_f32 v36, v32, v34 :: v_dual_add_f32 v37, v33, v35
	ds_load_2addr_b64 v[32:35], v121 offset0:11 offset1:12
	s_wait_dscnt 0x2
	v_dual_add_f32 v8, v36, v8 :: v_dual_add_f32 v9, v37, v9
	v_dual_add_f32 v36, v8, v10 :: v_dual_add_f32 v37, v9, v11
	ds_load_2addr_b64 v[8:11], v121 offset0:13 offset1:14
	s_wait_dscnt 0x2
	v_dual_add_f32 v16, v36, v16 :: v_dual_add_f32 v17, v37, v17
	s_delay_alu instid0(VALU_DEP_1) | instskip(SKIP_3) | instid1(VALU_DEP_1)
	v_dual_add_f32 v18, v16, v18 :: v_dual_add_f32 v19, v17, v19
	ds_load_b64 v[16:17], v122
	s_wait_dscnt 0x2
	v_dual_add_f32 v18, v18, v32 :: v_dual_add_f32 v19, v19, v33
	v_dual_add_f32 v18, v18, v34 :: v_dual_add_f32 v19, v19, v35
	s_wait_dscnt 0x1
	s_delay_alu instid0(VALU_DEP_1) | instskip(NEXT) | instid1(VALU_DEP_1)
	v_dual_add_f32 v8, v18, v8 :: v_dual_add_f32 v9, v19, v9
	v_dual_add_f32 v10, v8, v10 :: v_dual_add_f32 v11, v9, v11
	v_lshlrev_b64_e32 v[8:9], 3, v[71:72]
	s_wait_dscnt 0x0
	s_delay_alu instid0(VALU_DEP_2) | instskip(NEXT) | instid1(VALU_DEP_2)
	v_dual_add_f32 v10, v10, v16 :: v_dual_add_f32 v11, v11, v17
	v_add_co_u32 v8, vcc_lo, s72, v8
	s_wait_alu 0xfffd
	s_delay_alu instid0(VALU_DEP_3)
	v_add_co_ci_u32_e64 v9, null, s73, v9, vcc_lo
	global_store_b64 v[8:9], v[10:11], off
.LBB34_162:                             ;   in Loop: Header=BB34_112 Depth=2
	s_wait_alu 0xfffe
	s_or_b32 exec_lo, exec_lo, s22
	v_dual_mul_f32 v8, v74, v1 :: v_dual_mul_f32 v9, v76, v3
	v_dual_mul_f32 v3, v75, v3 :: v_dual_mul_f32 v10, v78, v5
	v_add_co_u32 v188, vcc_lo, v188, s62
	s_delay_alu instid0(VALU_DEP_3)
	v_fma_f32 v8, v73, v0, -v8
	v_mul_f32_e32 v11, v80, v7
	v_fma_f32 v9, v75, v2, -v9
	v_fmac_f32_e32 v3, v76, v2
	v_dual_mul_f32 v7, v79, v7 :: v_dual_mul_f32 v16, v84, v13
	v_add_f32_e32 v8, v69, v8
	v_fma_f32 v2, v79, v6, -v11
	v_mul_f32_e32 v13, v83, v13
	s_wait_alu 0xfffd
	v_add_co_ci_u32_e64 v189, null, s63, v189, vcc_lo
	v_dual_add_f32 v8, v8, v9 :: v_dual_mul_f32 v9, v82, v15
	v_mul_f32_e32 v1, v73, v1
	v_add_co_u32 v190, vcc_lo, v190, s62
	s_wait_alu 0xfffd
	v_add_co_ci_u32_e64 v191, null, s63, v191, vcc_lo
	s_delay_alu instid0(VALU_DEP_3) | instskip(SKIP_4) | instid1(VALU_DEP_3)
	v_fmac_f32_e32 v1, v74, v0
	v_fma_f32 v0, v77, v4, -v10
	v_add_co_u32 v192, vcc_lo, v192, s62
	s_wait_alu 0xfffd
	v_add_co_ci_u32_e64 v193, null, s63, v193, vcc_lo
	v_dual_add_f32 v0, v8, v0 :: v_dual_mul_f32 v5, v77, v5
	v_dual_mul_f32 v8, v81, v15 :: v_dual_fmac_f32 v13, v84, v12
	v_add_co_u32 v194, vcc_lo, v194, s62
	s_delay_alu instid0(VALU_DEP_3)
	v_dual_add_f32 v0, v0, v2 :: v_dual_fmac_f32 v5, v78, v4
	v_fma_f32 v4, v81, v14, -v9
	v_add_f32_e32 v1, v70, v1
	v_mul_f32_e32 v2, v86, v21
	v_fmac_f32_e32 v8, v82, v14
	s_wait_alu 0xfffd
	v_add_co_ci_u32_e64 v195, null, s63, v195, vcc_lo
	v_add_f32_e32 v1, v1, v3
	v_fma_f32 v3, v83, v12, -v16
	v_fma_f32 v2, v85, v20, -v2
	v_add_co_u32 v196, vcc_lo, v196, s62
	s_wait_alu 0xfffd
	v_add_co_ci_u32_e64 v197, null, s63, v197, vcc_lo
	v_add_f32_e32 v0, v0, v3
	v_mul_f32_e32 v3, v88, v23
	v_add_co_u32 v198, vcc_lo, v198, s62
	s_wait_alu 0xfffd
	v_add_co_ci_u32_e64 v199, null, s63, v199, vcc_lo
	v_add_f32_e32 v0, v0, v4
	v_dual_mul_f32 v4, v85, v21 :: v_dual_fmac_f32 v7, v80, v6
	v_add_f32_e32 v1, v1, v5
	v_add_co_u32 v200, vcc_lo, v200, s62
	s_delay_alu instid0(VALU_DEP_4) | instskip(NEXT) | instid1(VALU_DEP_3)
	v_add_f32_e32 v0, v0, v2
	v_dual_fmac_f32 v4, v86, v20 :: v_dual_add_f32 v1, v1, v7
	v_mul_f32_e32 v2, v92, v25
	s_wait_alu 0xfffd
	v_add_co_ci_u32_e64 v201, null, s63, v201, vcc_lo
	v_add_co_u32 v202, vcc_lo, v202, s62
	v_add_f32_e32 v1, v1, v13
	v_fma_f32 v2, v91, v24, -v2
	s_wait_alu 0xfffd
	v_add_co_ci_u32_e64 v203, null, s63, v203, vcc_lo
	v_add_co_u32 v204, vcc_lo, v204, s62
	v_add_f32_e32 v1, v1, v8
	s_wait_alu 0xfffd
	v_add_co_ci_u32_e64 v205, null, s63, v205, vcc_lo
	v_add_co_u32 v206, vcc_lo, v206, s62
	s_delay_alu instid0(VALU_DEP_3)
	v_dual_add_f32 v1, v1, v4 :: v_dual_mul_f32 v4, v91, v25
	v_fma_f32 v3, v87, v22, -v3
	v_mul_f32_e32 v5, v87, v23
	s_wait_alu 0xfffd
	v_add_co_ci_u32_e64 v207, null, s63, v207, vcc_lo
	v_fmac_f32_e32 v4, v92, v24
	v_add_f32_e32 v0, v0, v3
	v_fmac_f32_e32 v5, v88, v22
	v_add_co_u32 v208, vcc_lo, v208, s62
	s_wait_alu 0xfffd
	v_add_co_ci_u32_e64 v209, null, s63, v209, vcc_lo
	v_dual_add_f32 v0, v0, v2 :: v_dual_mul_f32 v3, v90, v27
	v_add_co_u32 v210, vcc_lo, v210, s62
	s_wait_alu 0xfffd
	v_add_co_ci_u32_e64 v211, null, s63, v211, vcc_lo
	s_delay_alu instid0(VALU_DEP_3) | instskip(SKIP_3) | instid1(VALU_DEP_4)
	v_fma_f32 v2, v89, v26, -v3
	v_mul_f32_e32 v3, v94, v29
	v_add_co_u32 v212, vcc_lo, v212, s62
	v_mul_f32_e32 v6, v103, v47
	v_add_f32_e32 v0, v0, v2
	s_delay_alu instid0(VALU_DEP_4)
	v_fma_f32 v2, v93, v28, -v3
	v_mul_f32_e32 v3, v96, v31
	s_wait_alu 0xfffd
	v_add_co_ci_u32_e64 v213, null, s63, v213, vcc_lo
	v_fmac_f32_e32 v6, v104, v46
	v_add_f32_e32 v0, v0, v2
	v_fma_f32 v2, v95, v30, -v3
	v_mul_f32_e32 v3, v98, v41
	v_add_co_u32 v214, vcc_lo, v214, s62
	s_wait_alu 0xfffd
	v_add_co_ci_u32_e64 v215, null, s63, v215, vcc_lo
	v_add_f32_e32 v0, v0, v2
	v_fma_f32 v2, v97, v40, -v3
	v_add_f32_e32 v1, v1, v5
	v_mul_f32_e32 v5, v89, v27
	v_mul_f32_e32 v3, v100, v43
	v_add_co_u32 v216, vcc_lo, v216, s62
	v_add_f32_e32 v0, v0, v2
	s_delay_alu instid0(VALU_DEP_4) | instskip(NEXT) | instid1(VALU_DEP_4)
	v_fmac_f32_e32 v5, v90, v26
	v_fma_f32 v2, v99, v42, -v3
	v_add_f32_e32 v1, v1, v4
	v_dual_mul_f32 v4, v93, v29 :: v_dual_mul_f32 v3, v99, v43
	s_wait_alu 0xfffd
	v_add_co_ci_u32_e64 v217, null, s63, v217, vcc_lo
	v_add_f32_e32 v0, v0, v2
	s_delay_alu instid0(VALU_DEP_3)
	v_fmac_f32_e32 v4, v94, v28
	v_mul_f32_e32 v2, v101, v45
	v_add_f32_e32 v1, v1, v5
	v_mul_f32_e32 v5, v95, v31
	v_fmac_f32_e32 v3, v100, v42
	v_add_co_u32 v218, vcc_lo, v218, s62
	s_delay_alu instid0(VALU_DEP_4) | instskip(SKIP_4) | instid1(VALU_DEP_3)
	v_add_f32_e32 v1, v1, v4
	v_mul_f32_e32 v4, v97, v41
	v_dual_fmac_f32 v2, v102, v44 :: v_dual_fmac_f32 v5, v96, v30
	s_wait_alu 0xfffd
	v_add_co_ci_u32_e64 v219, null, s63, v219, vcc_lo
	v_fmac_f32_e32 v4, v98, v40
	v_add_co_u32 v220, vcc_lo, v220, s62
	v_add_f32_e32 v1, v1, v5
	v_mul_f32_e32 v5, v102, v45
	s_wait_alu 0xfffd
	v_add_co_ci_u32_e64 v221, null, s63, v221, vcc_lo
	v_add_co_u32 v222, vcc_lo, v222, s62
	v_add_f32_e32 v1, v1, v4
	v_fma_f32 v4, v101, v44, -v5
	v_mul_f32_e32 v5, v104, v47
	s_wait_alu 0xfffd
	v_add_co_ci_u32_e64 v223, null, s63, v223, vcc_lo
	s_delay_alu instid0(VALU_DEP_3) | instskip(NEXT) | instid1(VALU_DEP_3)
	v_dual_add_f32 v1, v1, v3 :: v_dual_add_f32 v0, v0, v4
	v_fma_f32 v3, v103, v46, -v5
	v_add_co_u32 v224, vcc_lo, v224, s62
	s_delay_alu instid0(VALU_DEP_3) | instskip(SKIP_3) | instid1(VALU_DEP_3)
	v_add_f32_e32 v1, v1, v2
	s_wait_alu 0xfffd
	v_add_co_ci_u32_e64 v225, null, s63, v225, vcc_lo
	v_add_co_u32 v226, vcc_lo, v226, s62
	v_dual_add_f32 v69, v0, v3 :: v_dual_add_f32 v70, v1, v6
	v_add_nc_u32_e32 v71, 64, v71
	s_wait_alu 0xfffd
	v_add_co_ci_u32_e64 v227, null, s63, v227, vcc_lo
	s_add_co_i32 s22, s23, 1
	s_add_co_i32 s23, s23, 2
	;; [unrolled: 1-line block ×3, first 2 shown]
	s_wait_alu 0xfffe
	s_cmp_ge_u32 s23, s44
	s_wait_loadcnt 0x0
	s_wait_storecnt 0x0
	s_barrier_signal -1
	s_barrier_wait -1
	global_inv scope:SCOPE_SE
	s_cbranch_scc1 .LBB34_164
; %bb.163:                              ;   in Loop: Header=BB34_112 Depth=2
	s_mov_b32 s23, s22
	s_wait_alu 0xfffe
	s_cmp_eq_u32 s79, s23
	s_cselect_b32 s83, s76, 0
	s_and_saveexec_b32 s22, s0
	s_cbranch_execnz .LBB34_108
	s_branch .LBB34_112
.LBB34_164:                             ;   in Loop: Header=BB34_4 Depth=1
	ds_store_b64 v138, v[69:70]
	s_wait_loadcnt_dscnt 0x0
	s_barrier_signal -1
	s_barrier_wait -1
	global_inv scope:SCOPE_SE
	s_and_saveexec_b32 s22, s81
	s_cbranch_execz .LBB34_2
; %bb.165:                              ;   in Loop: Header=BB34_4 Depth=1
	ds_load_2addr_b64 v[0:3], v105 offset1:67
	ds_load_2addr_b64 v[4:7], v105 offset0:134 offset1:201
	s_wait_dscnt 0x1
	v_dual_add_f32 v0, v2, v0 :: v_dual_add_f32 v1, v3, v1
	s_wait_alu 0xfffe
	v_add_co_u32 v2, vcc_lo, s72, v65
	s_wait_alu 0xfffd
	v_add_co_ci_u32_e64 v3, null, s73, v66, vcc_lo
	s_wait_dscnt 0x0
	v_dual_add_f32 v0, v4, v0 :: v_dual_add_f32 v1, v5, v1
	s_delay_alu instid0(VALU_DEP_1)
	v_dual_add_f32 v0, v0, v6 :: v_dual_add_f32 v1, v1, v7
	global_store_b64 v[2:3], v[0:1], off
	s_branch .LBB34_2
.LBB34_166:                             ;   in Loop: Header=BB34_4 Depth=1
	ds_load_b64 v[3:4], v183
	s_mov_b32 s22, exec_lo
	s_wait_dscnt 0x0
	v_xor_b32_e32 v2, 0x80000000, v4
	ds_store_b32 v109, v3
	s_wait_alu 0xfffe
	s_or_saveexec_b32 s23, s23
	v_mov_b32_e32 v3, v109
	s_wait_alu 0xfffe
	s_xor_b32 exec_lo, exec_lo, s23
	s_cbranch_execz .LBB34_34
.LBB34_167:                             ;   in Loop: Header=BB34_4 Depth=1
	v_dual_mov_b32 v2, 0 :: v_dual_mov_b32 v3, v107
	s_and_not1_b32 s22, s22, exec_lo
	s_and_b32 s72, s9, exec_lo
	s_wait_alu 0xfffe
	s_or_b32 s22, s22, s72
	s_or_b32 exec_lo, exec_lo, s23
	s_wait_alu 0xfffe
	s_and_saveexec_b32 s23, s22
	s_cbranch_execnz .LBB34_35
	s_branch .LBB34_36
.LBB34_168:                             ;   in Loop: Header=BB34_4 Depth=1
	ds_load_b64 v[3:4], v183
	s_mov_b32 s22, exec_lo
	s_wait_dscnt 0x0
	v_xor_b32_e32 v2, 0x80000000, v4
	ds_store_b32 v109, v3
	s_wait_alu 0xfffe
	s_or_saveexec_b32 s23, s23
	v_mov_b32_e32 v3, v109
	s_wait_alu 0xfffe
	s_xor_b32 exec_lo, exec_lo, s23
	s_cbranch_execz .LBB34_72
.LBB34_169:                             ;   in Loop: Header=BB34_4 Depth=1
	v_dual_mov_b32 v2, 0 :: v_dual_mov_b32 v3, v107
	s_and_not1_b32 s22, s22, exec_lo
	s_and_b32 s72, s9, exec_lo
	s_wait_alu 0xfffe
	s_or_b32 s22, s22, s72
	s_or_b32 exec_lo, exec_lo, s23
	s_wait_alu 0xfffe
	s_and_saveexec_b32 s23, s22
	s_cbranch_execnz .LBB34_73
	s_branch .LBB34_74
.LBB34_170:                             ;   in Loop: Header=BB34_4 Depth=1
	flat_load_b64 v[4:5], v[0:1]
	s_wait_loadcnt_dscnt 0x0
	ds_store_b64 v180, v[4:5]
	s_or_b32 exec_lo, exec_lo, s22
	s_and_saveexec_b32 s22, s3
	s_wait_alu 0xfffe
	s_xor_b32 s22, exec_lo, s22
	s_cbranch_execz .LBB34_17
.LBB34_171:                             ;   in Loop: Header=BB34_4 Depth=1
	v_mov_b32_e32 v68, v67
	ds_store_b64 v180, v[67:68] offset:2112
	s_wait_alu 0xfffe
	s_and_not1_saveexec_b32 s22, s22
	s_cbranch_execz .LBB34_18
.LBB34_172:                             ;   in Loop: Header=BB34_4 Depth=1
	s_lshl_b64 s[72:73], s[52:53], 3
	s_wait_alu 0xfffe
	v_add_co_u32 v4, vcc_lo, v0, s72
	s_wait_alu 0xfffd
	v_add_co_ci_u32_e64 v5, null, s73, v1, vcc_lo
	flat_load_b64 v[4:5], v[4:5]
	s_wait_loadcnt_dscnt 0x0
	ds_store_b64 v180, v[4:5] offset:2112
	s_or_b32 exec_lo, exec_lo, s22
	s_and_saveexec_b32 s22, s4
	s_wait_alu 0xfffe
	s_xor_b32 s22, exec_lo, s22
	s_cbranch_execz .LBB34_19
.LBB34_173:                             ;   in Loop: Header=BB34_4 Depth=1
	v_mov_b32_e32 v68, v67
	ds_store_b64 v180, v[67:68] offset:4224
	s_wait_alu 0xfffe
	s_and_not1_saveexec_b32 s22, s22
	s_cbranch_execz .LBB34_20
.LBB34_174:                             ;   in Loop: Header=BB34_4 Depth=1
	v_add_co_u32 v4, vcc_lo, v0, s64
	s_wait_alu 0xfffd
	v_add_co_ci_u32_e64 v5, null, s65, v1, vcc_lo
	flat_load_b64 v[4:5], v[4:5]
	s_wait_loadcnt_dscnt 0x0
	ds_store_b64 v180, v[4:5] offset:4224
	s_wait_alu 0xfffe
	s_or_b32 exec_lo, exec_lo, s22
	s_and_saveexec_b32 s22, s5
	s_wait_alu 0xfffe
	s_xor_b32 s22, exec_lo, s22
	s_cbranch_execz .LBB34_21
.LBB34_175:                             ;   in Loop: Header=BB34_4 Depth=1
	v_mov_b32_e32 v68, v67
	ds_store_b64 v180, v[67:68] offset:6336
	s_wait_alu 0xfffe
	s_and_not1_saveexec_b32 s22, s22
	s_cbranch_execnz .LBB34_22
	s_branch .LBB34_23
.LBB34_176:                             ;   in Loop: Header=BB34_4 Depth=1
	flat_load_b64 v[6:7], v[0:1]
	s_wait_loadcnt_dscnt 0x0
	ds_store_b64 v180, v[6:7]
	s_or_b32 exec_lo, exec_lo, s22
	s_and_saveexec_b32 s22, s17
	s_wait_alu 0xfffe
	s_xor_b32 s22, exec_lo, s22
	s_cbranch_execz .LBB34_55
.LBB34_177:                             ;   in Loop: Header=BB34_4 Depth=1
	v_mov_b32_e32 v68, v67
	ds_store_b64 v180, v[67:68] offset:2112
	s_wait_alu 0xfffe
	s_and_not1_saveexec_b32 s22, s22
	s_cbranch_execz .LBB34_56
.LBB34_178:                             ;   in Loop: Header=BB34_4 Depth=1
	s_lshl_b64 s[72:73], s[52:53], 3
	s_wait_alu 0xfffe
	v_add_co_u32 v6, vcc_lo, v0, s72
	s_wait_alu 0xfffd
	v_add_co_ci_u32_e64 v7, null, s73, v1, vcc_lo
	flat_load_b64 v[6:7], v[6:7]
	s_wait_loadcnt_dscnt 0x0
	ds_store_b64 v180, v[6:7] offset:2112
	s_or_b32 exec_lo, exec_lo, s22
	s_and_saveexec_b32 s22, s18
	s_wait_alu 0xfffe
	s_xor_b32 s22, exec_lo, s22
	s_cbranch_execz .LBB34_57
.LBB34_179:                             ;   in Loop: Header=BB34_4 Depth=1
	v_mov_b32_e32 v68, v67
	ds_store_b64 v180, v[67:68] offset:4224
	s_wait_alu 0xfffe
	s_and_not1_saveexec_b32 s22, s22
	s_cbranch_execz .LBB34_58
.LBB34_180:                             ;   in Loop: Header=BB34_4 Depth=1
	v_add_co_u32 v6, vcc_lo, v0, s64
	s_wait_alu 0xfffd
	v_add_co_ci_u32_e64 v7, null, s65, v1, vcc_lo
	flat_load_b64 v[6:7], v[6:7]
	s_wait_loadcnt_dscnt 0x0
	ds_store_b64 v180, v[6:7] offset:4224
	s_wait_alu 0xfffe
	s_or_b32 exec_lo, exec_lo, s22
	s_and_saveexec_b32 s22, s19
	s_wait_alu 0xfffe
	s_xor_b32 s22, exec_lo, s22
	s_cbranch_execz .LBB34_59
.LBB34_181:                             ;   in Loop: Header=BB34_4 Depth=1
	v_mov_b32_e32 v68, v67
	ds_store_b64 v180, v[67:68] offset:6336
	s_wait_alu 0xfffe
	s_and_not1_saveexec_b32 s22, s22
	s_cbranch_execnz .LBB34_60
	s_branch .LBB34_61
.LBB34_182:                             ;   in Loop: Header=BB34_4 Depth=1
	flat_load_b64 v[6:7], v[4:5]
	s_wait_loadcnt_dscnt 0x0
	ds_store_b64 v180, v[6:7]
	s_or_b32 exec_lo, exec_lo, s22
	s_and_saveexec_b32 s22, s17
	s_wait_alu 0xfffe
	s_xor_b32 s22, exec_lo, s22
	s_cbranch_execz .LBB34_93
.LBB34_183:                             ;   in Loop: Header=BB34_4 Depth=1
	v_mov_b32_e32 v68, v67
	ds_store_b64 v180, v[67:68] offset:2112
	s_wait_alu 0xfffe
	s_and_not1_saveexec_b32 s22, s22
	s_cbranch_execz .LBB34_94
.LBB34_184:                             ;   in Loop: Header=BB34_4 Depth=1
	s_lshl_b64 s[72:73], s[52:53], 3
	s_wait_alu 0xfffe
	v_add_co_u32 v6, vcc_lo, v4, s72
	s_wait_alu 0xfffd
	v_add_co_ci_u32_e64 v7, null, s73, v5, vcc_lo
	flat_load_b64 v[6:7], v[6:7]
	s_wait_loadcnt_dscnt 0x0
	ds_store_b64 v180, v[6:7] offset:2112
	s_or_b32 exec_lo, exec_lo, s22
	s_and_saveexec_b32 s22, s18
	s_wait_alu 0xfffe
	s_xor_b32 s22, exec_lo, s22
	s_cbranch_execz .LBB34_95
.LBB34_185:                             ;   in Loop: Header=BB34_4 Depth=1
	v_mov_b32_e32 v68, v67
	ds_store_b64 v180, v[67:68] offset:4224
	s_wait_alu 0xfffe
	s_and_not1_saveexec_b32 s22, s22
	s_cbranch_execz .LBB34_96
.LBB34_186:                             ;   in Loop: Header=BB34_4 Depth=1
	v_add_co_u32 v6, vcc_lo, v4, s64
	s_wait_alu 0xfffd
	v_add_co_ci_u32_e64 v7, null, s65, v5, vcc_lo
	flat_load_b64 v[6:7], v[6:7]
	s_wait_loadcnt_dscnt 0x0
	ds_store_b64 v180, v[6:7] offset:4224
	s_wait_alu 0xfffe
	s_or_b32 exec_lo, exec_lo, s22
	s_and_saveexec_b32 s22, s19
	s_wait_alu 0xfffe
	s_xor_b32 s22, exec_lo, s22
	s_cbranch_execz .LBB34_97
.LBB34_187:                             ;   in Loop: Header=BB34_4 Depth=1
	v_mov_b32_e32 v68, v67
	ds_store_b64 v180, v[67:68] offset:6336
	s_wait_alu 0xfffe
	s_and_not1_saveexec_b32 s22, s22
	s_cbranch_execnz .LBB34_98
	s_branch .LBB34_99
.LBB34_188:
	s_nop 0
	s_sendmsg sendmsg(MSG_DEALLOC_VGPRS)
	s_endpgm
	.section	.rodata,"a",@progbits
	.p2align	6, 0x0
	.amdhsa_kernel _ZL26rocblas_hemvn_kernel_upperILb1ELi64ELi4ELi33ELi32ELi16EiPK19rocblas_complex_numIfEPKS3_PS1_EviT6_lT7_lT5_lS8_lS9_lS7_lT8_i
		.amdhsa_group_segment_fixed_size 9600
		.amdhsa_private_segment_fixed_size 0
		.amdhsa_kernarg_size 376
		.amdhsa_user_sgpr_count 2
		.amdhsa_user_sgpr_dispatch_ptr 0
		.amdhsa_user_sgpr_queue_ptr 0
		.amdhsa_user_sgpr_kernarg_segment_ptr 1
		.amdhsa_user_sgpr_dispatch_id 0
		.amdhsa_user_sgpr_private_segment_size 0
		.amdhsa_wavefront_size32 1
		.amdhsa_uses_dynamic_stack 0
		.amdhsa_enable_private_segment 0
		.amdhsa_system_sgpr_workgroup_id_x 1
		.amdhsa_system_sgpr_workgroup_id_y 0
		.amdhsa_system_sgpr_workgroup_id_z 1
		.amdhsa_system_sgpr_workgroup_info 0
		.amdhsa_system_vgpr_workitem_id 1
		.amdhsa_next_free_vgpr 236
		.amdhsa_next_free_sgpr 94
		.amdhsa_reserve_vcc 1
		.amdhsa_float_round_mode_32 0
		.amdhsa_float_round_mode_16_64 0
		.amdhsa_float_denorm_mode_32 3
		.amdhsa_float_denorm_mode_16_64 3
		.amdhsa_fp16_overflow 0
		.amdhsa_workgroup_processor_mode 1
		.amdhsa_memory_ordered 1
		.amdhsa_forward_progress 1
		.amdhsa_inst_pref_size 94
		.amdhsa_round_robin_scheduling 0
		.amdhsa_exception_fp_ieee_invalid_op 0
		.amdhsa_exception_fp_denorm_src 0
		.amdhsa_exception_fp_ieee_div_zero 0
		.amdhsa_exception_fp_ieee_overflow 0
		.amdhsa_exception_fp_ieee_underflow 0
		.amdhsa_exception_fp_ieee_inexact 0
		.amdhsa_exception_int_div_zero 0
	.end_amdhsa_kernel
	.section	.text._ZL26rocblas_hemvn_kernel_upperILb1ELi64ELi4ELi33ELi32ELi16EiPK19rocblas_complex_numIfEPKS3_PS1_EviT6_lT7_lT5_lS8_lS9_lS7_lT8_i,"axG",@progbits,_ZL26rocblas_hemvn_kernel_upperILb1ELi64ELi4ELi33ELi32ELi16EiPK19rocblas_complex_numIfEPKS3_PS1_EviT6_lT7_lT5_lS8_lS9_lS7_lT8_i,comdat
.Lfunc_end34:
	.size	_ZL26rocblas_hemvn_kernel_upperILb1ELi64ELi4ELi33ELi32ELi16EiPK19rocblas_complex_numIfEPKS3_PS1_EviT6_lT7_lT5_lS8_lS9_lS7_lT8_i, .Lfunc_end34-_ZL26rocblas_hemvn_kernel_upperILb1ELi64ELi4ELi33ELi32ELi16EiPK19rocblas_complex_numIfEPKS3_PS1_EviT6_lT7_lT5_lS8_lS9_lS7_lT8_i
                                        ; -- End function
	.set _ZL26rocblas_hemvn_kernel_upperILb1ELi64ELi4ELi33ELi32ELi16EiPK19rocblas_complex_numIfEPKS3_PS1_EviT6_lT7_lT5_lS8_lS9_lS7_lT8_i.num_vgpr, 236
	.set _ZL26rocblas_hemvn_kernel_upperILb1ELi64ELi4ELi33ELi32ELi16EiPK19rocblas_complex_numIfEPKS3_PS1_EviT6_lT7_lT5_lS8_lS9_lS7_lT8_i.num_agpr, 0
	.set _ZL26rocblas_hemvn_kernel_upperILb1ELi64ELi4ELi33ELi32ELi16EiPK19rocblas_complex_numIfEPKS3_PS1_EviT6_lT7_lT5_lS8_lS9_lS7_lT8_i.numbered_sgpr, 94
	.set _ZL26rocblas_hemvn_kernel_upperILb1ELi64ELi4ELi33ELi32ELi16EiPK19rocblas_complex_numIfEPKS3_PS1_EviT6_lT7_lT5_lS8_lS9_lS7_lT8_i.num_named_barrier, 0
	.set _ZL26rocblas_hemvn_kernel_upperILb1ELi64ELi4ELi33ELi32ELi16EiPK19rocblas_complex_numIfEPKS3_PS1_EviT6_lT7_lT5_lS8_lS9_lS7_lT8_i.private_seg_size, 0
	.set _ZL26rocblas_hemvn_kernel_upperILb1ELi64ELi4ELi33ELi32ELi16EiPK19rocblas_complex_numIfEPKS3_PS1_EviT6_lT7_lT5_lS8_lS9_lS7_lT8_i.uses_vcc, 1
	.set _ZL26rocblas_hemvn_kernel_upperILb1ELi64ELi4ELi33ELi32ELi16EiPK19rocblas_complex_numIfEPKS3_PS1_EviT6_lT7_lT5_lS8_lS9_lS7_lT8_i.uses_flat_scratch, 1
	.set _ZL26rocblas_hemvn_kernel_upperILb1ELi64ELi4ELi33ELi32ELi16EiPK19rocblas_complex_numIfEPKS3_PS1_EviT6_lT7_lT5_lS8_lS9_lS7_lT8_i.has_dyn_sized_stack, 0
	.set _ZL26rocblas_hemvn_kernel_upperILb1ELi64ELi4ELi33ELi32ELi16EiPK19rocblas_complex_numIfEPKS3_PS1_EviT6_lT7_lT5_lS8_lS9_lS7_lT8_i.has_recursion, 0
	.set _ZL26rocblas_hemvn_kernel_upperILb1ELi64ELi4ELi33ELi32ELi16EiPK19rocblas_complex_numIfEPKS3_PS1_EviT6_lT7_lT5_lS8_lS9_lS7_lT8_i.has_indirect_call, 0
	.section	.AMDGPU.csdata,"",@progbits
; Kernel info:
; codeLenInByte = 12032
; TotalNumSgprs: 96
; NumVgprs: 236
; ScratchSize: 0
; MemoryBound: 1
; FloatMode: 240
; IeeeMode: 1
; LDSByteSize: 9600 bytes/workgroup (compile time only)
; SGPRBlocks: 0
; VGPRBlocks: 29
; NumSGPRsForWavesPerEU: 96
; NumVGPRsForWavesPerEU: 236
; Occupancy: 6
; WaveLimiterHint : 1
; COMPUTE_PGM_RSRC2:SCRATCH_EN: 0
; COMPUTE_PGM_RSRC2:USER_SGPR: 2
; COMPUTE_PGM_RSRC2:TRAP_HANDLER: 0
; COMPUTE_PGM_RSRC2:TGID_X_EN: 1
; COMPUTE_PGM_RSRC2:TGID_Y_EN: 0
; COMPUTE_PGM_RSRC2:TGID_Z_EN: 1
; COMPUTE_PGM_RSRC2:TIDIG_COMP_CNT: 1
	.section	.text._ZL36rocblas_hemvn_kernel_upper_block_sumILi64EiPK19rocblas_complex_numIfEPKPS1_S1_EviT1_lS7_lT2_lT0_lPT3_i,"axG",@progbits,_ZL36rocblas_hemvn_kernel_upper_block_sumILi64EiPK19rocblas_complex_numIfEPKPS1_S1_EviT1_lS7_lT2_lT0_lPT3_i,comdat
	.globl	_ZL36rocblas_hemvn_kernel_upper_block_sumILi64EiPK19rocblas_complex_numIfEPKPS1_S1_EviT1_lS7_lT2_lT0_lPT3_i ; -- Begin function _ZL36rocblas_hemvn_kernel_upper_block_sumILi64EiPK19rocblas_complex_numIfEPKPS1_S1_EviT1_lS7_lT2_lT0_lPT3_i
	.p2align	8
	.type	_ZL36rocblas_hemvn_kernel_upper_block_sumILi64EiPK19rocblas_complex_numIfEPKPS1_S1_EviT1_lS7_lT2_lT0_lPT3_i,@function
_ZL36rocblas_hemvn_kernel_upper_block_sumILi64EiPK19rocblas_complex_numIfEPKPS1_S1_EviT1_lS7_lT2_lT0_lPT3_i: ; @_ZL36rocblas_hemvn_kernel_upper_block_sumILi64EiPK19rocblas_complex_numIfEPKPS1_S1_EviT1_lS7_lT2_lT0_lPT3_i
; %bb.0:
	s_load_b32 s22, s[0:1], 0x50
	s_lshr_b32 s2, ttmp7, 16
	s_wait_kmcnt 0x0
	s_cmp_ge_u32 s2, s22
	s_cbranch_scc1 .LBB35_23
; %bb.1:
	s_clause 0x2
	s_load_b32 s18, s[0:1], 0x0
	s_load_b32 s3, s[0:1], 0x38
	s_load_b64 s[20:21], s[0:1], 0x48
	v_lshl_or_b32 v0, ttmp9, 6, v0
	s_clause 0x1
	s_load_b128 s[12:15], s[0:1], 0x28
	s_load_b256 s[4:11], s[0:1], 0x8
	s_add_nc_u64 s[16:17], s[0:1], 0x58
	v_mov_b32_e32 v6, 0
	v_ashrrev_i32_e32 v1, 31, v0
	s_delay_alu instid0(VALU_DEP_1) | instskip(SKIP_3) | instid1(VALU_DEP_3)
	v_lshlrev_b64_e32 v[1:2], 3, v[0:1]
	s_wait_kmcnt 0x0
	v_cmp_gt_i32_e64 s0, s18, v0
	v_mul_lo_u32 v3, s3, v0
	v_add_co_u32 v0, vcc_lo, s20, v1
	s_delay_alu instid0(VALU_DEP_1)
	v_add_co_ci_u32_e64 v1, null, s21, v2, vcc_lo
	s_ashr_i32 s19, s18, 31
	v_add_co_u32 v0, vcc_lo, v0, 4
	v_ashrrev_i32_e32 v4, 31, v3
	s_wait_alu 0xfffd
	v_add_co_ci_u32_e64 v1, null, 0, v1, vcc_lo
	s_cmp_gt_i32 ttmp9, -1
	s_mov_b32 s3, 0
	v_lshlrev_b64_e32 v[2:3], 3, v[3:4]
	s_cselect_b32 s1, -1, 0
	s_add_co_i32 s23, ttmp9, 1
	s_wait_alu 0xfffe
	s_lshl_b64 s[18:19], s[18:19], 3
	s_lshl_b64 s[14:15], s[14:15], 3
	s_branch .LBB35_5
.LBB35_2:                               ;   in Loop: Header=BB35_5 Depth=1
	v_add_co_u32 v7, vcc_lo, s20, v2
	s_wait_alu 0xfffd
	v_add_co_ci_u32_e64 v8, null, s21, v3, vcc_lo
	flat_store_b64 v[7:8], v[4:5]
.LBB35_3:                               ;   in Loop: Header=BB35_5 Depth=1
	s_or_b32 exec_lo, exec_lo, s28
.LBB35_4:                               ;   in Loop: Header=BB35_5 Depth=1
	s_add_co_i32 s2, s2, 0x10000
	s_wait_alu 0xfffe
	s_cmp_lt_u32 s2, s22
	s_cbranch_scc0 .LBB35_23
.LBB35_5:                               ; =>This Loop Header: Depth=1
                                        ;     Child Loop BB35_18 Depth 2
	s_mul_u64 s[20:21], s[6:7], s[2:3]
	s_wait_alu 0xfffe
	s_lshl_b64 s[20:21], s[20:21], 3
	s_wait_alu 0xfffe
	s_add_nc_u64 s[20:21], s[4:5], s[20:21]
	global_load_b64 v[4:5], v6, s[20:21]
	s_mul_u64 s[20:21], s[10:11], s[2:3]
	s_wait_alu 0xfffe
	s_lshl_b64 s[20:21], s[20:21], 3
	s_wait_alu 0xfffe
	s_add_nc_u64 s[20:21], s[8:9], s[20:21]
	global_load_b64 v[7:8], v6, s[20:21]
	s_wait_loadcnt 0x1
	v_readfirstlane_b32 s27, v4
	v_readfirstlane_b32 s26, v5
	s_or_b32 s20, s27, s26
	s_wait_loadcnt 0x0
	v_readfirstlane_b32 s24, v7
	s_wait_alu 0xfffe
	s_and_b32 s21, s20, 0x7fffffff
	v_readfirstlane_b32 s25, v8
	s_wait_alu 0xfffe
	s_cmp_eq_u32 s21, 0
	s_cselect_b32 s20, -1, 0
	s_cmp_lg_u32 s21, 0
	s_mov_b32 s21, -1
	s_cbranch_scc1 .LBB35_7
; %bb.6:                                ;   in Loop: Header=BB35_5 Depth=1
	s_cmp_neq_f32 s24, 1.0
	s_cselect_b32 s21, -1, 0
	s_cmp_neq_f32 s25, 0
	s_cselect_b32 s28, -1, 0
	s_wait_alu 0xfffe
	s_or_b32 s21, s21, s28
.LBB35_7:                               ;   in Loop: Header=BB35_5 Depth=1
	s_wait_alu 0xfffe
	s_and_not1_b32 vcc_lo, exec_lo, s21
	s_wait_alu 0xfffe
	s_cbranch_vccnz .LBB35_4
; %bb.8:                                ;   in Loop: Header=BB35_5 Depth=1
	s_lshl_b64 s[28:29], s[2:3], 3
	s_and_not1_b32 vcc_lo, exec_lo, s20
	s_add_nc_u64 s[28:29], s[12:13], s[28:29]
	s_load_b64 s[28:29], s[28:29], 0x0
	s_wait_kmcnt 0x0
	s_add_nc_u64 s[20:21], s[28:29], s[14:15]
	s_mov_b32 s28, -1
	s_cbranch_vccnz .LBB35_14
; %bb.9:                                ;   in Loop: Header=BB35_5 Depth=1
	s_and_saveexec_b32 s28, s0
	s_cbranch_execz .LBB35_13
; %bb.10:                               ;   in Loop: Header=BB35_5 Depth=1
	s_cmp_neq_f32 s24, 0
	v_dual_mov_b32 v4, 0 :: v_dual_mov_b32 v5, 0
	s_cselect_b32 s29, -1, 0
	s_cmp_neq_f32 s25, 0
	s_cselect_b32 s30, -1, 0
	s_wait_alu 0xfffe
	s_or_b32 s29, s29, s30
	s_delay_alu instid0(SALU_CYCLE_1)
	s_and_not1_b32 vcc_lo, exec_lo, s29
	s_wait_alu 0xfffe
	s_cbranch_vccnz .LBB35_12
; %bb.11:                               ;   in Loop: Header=BB35_5 Depth=1
	v_add_co_u32 v4, vcc_lo, s20, v2
	s_wait_alu 0xfffd
	v_add_co_ci_u32_e64 v5, null, s21, v3, vcc_lo
	flat_load_b64 v[7:8], v[4:5]
	s_wait_loadcnt_dscnt 0x0
	v_mul_f32_e32 v5, s24, v8
	s_delay_alu instid0(VALU_DEP_1) | instskip(NEXT) | instid1(VALU_DEP_1)
	v_dual_mul_f32 v4, s25, v8 :: v_dual_fmac_f32 v5, s25, v7
	v_fma_f32 v4, v7, s24, -v4
.LBB35_12:                              ;   in Loop: Header=BB35_5 Depth=1
	v_add_co_u32 v7, vcc_lo, s20, v2
	s_wait_alu 0xfffd
	v_add_co_ci_u32_e64 v8, null, s21, v3, vcc_lo
	flat_store_b64 v[7:8], v[4:5]
.LBB35_13:                              ;   in Loop: Header=BB35_5 Depth=1
	s_or_b32 exec_lo, exec_lo, s28
	s_mov_b32 s28, 0
.LBB35_14:                              ;   in Loop: Header=BB35_5 Depth=1
	s_delay_alu instid0(SALU_CYCLE_1)
	s_and_not1_b32 vcc_lo, exec_lo, s28
	s_wait_alu 0xfffe
	s_cbranch_vccnz .LBB35_4
; %bb.15:                               ;   in Loop: Header=BB35_5 Depth=1
	s_and_saveexec_b32 s28, s0
	s_cbranch_execz .LBB35_3
; %bb.16:                               ;   in Loop: Header=BB35_5 Depth=1
	v_dual_mov_b32 v7, 0 :: v_dual_mov_b32 v8, 0
	s_and_not1_b32 vcc_lo, exec_lo, s1
	s_wait_alu 0xfffe
	s_cbranch_vccnz .LBB35_19
; %bb.17:                               ;   in Loop: Header=BB35_5 Depth=1
	s_load_b32 s30, s[16:17], 0x0
	s_mov_b32 s31, s3
	v_mov_b32_e32 v7, 0
	s_mov_b32 s29, s23
	s_wait_kmcnt 0x0
	s_wait_alu 0xfffe
	s_mul_u64 s[30:31], s[18:19], s[30:31]
	s_wait_alu 0xfffe
	v_mad_co_u64_u32 v[4:5], null, s30, s2, v[0:1]
	s_delay_alu instid0(VALU_DEP_1) | instskip(NEXT) | instid1(VALU_DEP_1)
	v_mad_co_u64_u32 v[8:9], null, s31, s2, v[5:6]
	v_dual_mov_b32 v5, v8 :: v_dual_mov_b32 v8, 0
.LBB35_18:                              ;   Parent Loop BB35_5 Depth=1
                                        ; =>  This Inner Loop Header: Depth=2
	global_load_b64 v[9:10], v[4:5], off offset:-4
	v_add_co_u32 v4, vcc_lo, v4, s18
	s_wait_alu 0xfffd
	v_add_co_ci_u32_e64 v5, null, s19, v5, vcc_lo
	s_add_co_i32 s29, s29, -1
	s_delay_alu instid0(SALU_CYCLE_1)
	s_cmp_eq_u32 s29, 0
	s_wait_loadcnt 0x0
	v_dual_add_f32 v8, v8, v9 :: v_dual_add_f32 v7, v7, v10
	s_cbranch_scc0 .LBB35_18
.LBB35_19:                              ;   in Loop: Header=BB35_5 Depth=1
	s_cmp_neq_f32 s24, 0
	s_delay_alu instid0(VALU_DEP_1) | instskip(SKIP_3) | instid1(VALU_DEP_2)
	v_mul_f32_e32 v5, s27, v7
	v_mul_f32_e32 v4, s26, v7
	s_cselect_b32 s29, -1, 0
	s_cmp_neq_f32 s25, 0
	v_fmac_f32_e32 v5, s26, v8
	s_delay_alu instid0(VALU_DEP_2) | instskip(SKIP_4) | instid1(SALU_CYCLE_1)
	v_fma_f32 v4, v8, s27, -v4
	s_mov_b32 s26, -1
	s_cselect_b32 s30, -1, 0
	s_wait_alu 0xfffe
	s_or_b32 s29, s29, s30
	s_and_not1_b32 vcc_lo, exec_lo, s29
	s_wait_alu 0xfffe
	s_cbranch_vccz .LBB35_21
; %bb.20:                               ;   in Loop: Header=BB35_5 Depth=1
	s_mov_b32 s26, 0
.LBB35_21:                              ;   in Loop: Header=BB35_5 Depth=1
	s_wait_alu 0xfffe
	s_and_not1_b32 vcc_lo, exec_lo, s26
	s_wait_alu 0xfffe
	s_cbranch_vccnz .LBB35_2
; %bb.22:                               ;   in Loop: Header=BB35_5 Depth=1
	v_add_co_u32 v7, vcc_lo, s20, v2
	s_wait_alu 0xfffd
	v_add_co_ci_u32_e64 v8, null, s21, v3, vcc_lo
	flat_load_b64 v[7:8], v[7:8]
	s_wait_loadcnt_dscnt 0x0
	v_mul_f32_e32 v9, s25, v8
	v_mul_f32_e32 v8, s24, v8
	s_delay_alu instid0(VALU_DEP_1) | instskip(NEXT) | instid1(VALU_DEP_3)
	v_fmac_f32_e32 v8, s25, v7
	v_fma_f32 v9, v7, s24, -v9
	s_delay_alu instid0(VALU_DEP_1)
	v_dual_add_f32 v5, v5, v8 :: v_dual_add_f32 v4, v4, v9
	s_branch .LBB35_2
.LBB35_23:
	s_endpgm
	.section	.rodata,"a",@progbits
	.p2align	6, 0x0
	.amdhsa_kernel _ZL36rocblas_hemvn_kernel_upper_block_sumILi64EiPK19rocblas_complex_numIfEPKPS1_S1_EviT1_lS7_lT2_lT0_lPT3_i
		.amdhsa_group_segment_fixed_size 0
		.amdhsa_private_segment_fixed_size 0
		.amdhsa_kernarg_size 344
		.amdhsa_user_sgpr_count 2
		.amdhsa_user_sgpr_dispatch_ptr 0
		.amdhsa_user_sgpr_queue_ptr 0
		.amdhsa_user_sgpr_kernarg_segment_ptr 1
		.amdhsa_user_sgpr_dispatch_id 0
		.amdhsa_user_sgpr_private_segment_size 0
		.amdhsa_wavefront_size32 1
		.amdhsa_uses_dynamic_stack 0
		.amdhsa_enable_private_segment 0
		.amdhsa_system_sgpr_workgroup_id_x 1
		.amdhsa_system_sgpr_workgroup_id_y 0
		.amdhsa_system_sgpr_workgroup_id_z 1
		.amdhsa_system_sgpr_workgroup_info 0
		.amdhsa_system_vgpr_workitem_id 0
		.amdhsa_next_free_vgpr 11
		.amdhsa_next_free_sgpr 32
		.amdhsa_reserve_vcc 1
		.amdhsa_float_round_mode_32 0
		.amdhsa_float_round_mode_16_64 0
		.amdhsa_float_denorm_mode_32 3
		.amdhsa_float_denorm_mode_16_64 3
		.amdhsa_fp16_overflow 0
		.amdhsa_workgroup_processor_mode 1
		.amdhsa_memory_ordered 1
		.amdhsa_forward_progress 1
		.amdhsa_inst_pref_size 8
		.amdhsa_round_robin_scheduling 0
		.amdhsa_exception_fp_ieee_invalid_op 0
		.amdhsa_exception_fp_denorm_src 0
		.amdhsa_exception_fp_ieee_div_zero 0
		.amdhsa_exception_fp_ieee_overflow 0
		.amdhsa_exception_fp_ieee_underflow 0
		.amdhsa_exception_fp_ieee_inexact 0
		.amdhsa_exception_int_div_zero 0
	.end_amdhsa_kernel
	.section	.text._ZL36rocblas_hemvn_kernel_upper_block_sumILi64EiPK19rocblas_complex_numIfEPKPS1_S1_EviT1_lS7_lT2_lT0_lPT3_i,"axG",@progbits,_ZL36rocblas_hemvn_kernel_upper_block_sumILi64EiPK19rocblas_complex_numIfEPKPS1_S1_EviT1_lS7_lT2_lT0_lPT3_i,comdat
.Lfunc_end35:
	.size	_ZL36rocblas_hemvn_kernel_upper_block_sumILi64EiPK19rocblas_complex_numIfEPKPS1_S1_EviT1_lS7_lT2_lT0_lPT3_i, .Lfunc_end35-_ZL36rocblas_hemvn_kernel_upper_block_sumILi64EiPK19rocblas_complex_numIfEPKPS1_S1_EviT1_lS7_lT2_lT0_lPT3_i
                                        ; -- End function
	.set _ZL36rocblas_hemvn_kernel_upper_block_sumILi64EiPK19rocblas_complex_numIfEPKPS1_S1_EviT1_lS7_lT2_lT0_lPT3_i.num_vgpr, 11
	.set _ZL36rocblas_hemvn_kernel_upper_block_sumILi64EiPK19rocblas_complex_numIfEPKPS1_S1_EviT1_lS7_lT2_lT0_lPT3_i.num_agpr, 0
	.set _ZL36rocblas_hemvn_kernel_upper_block_sumILi64EiPK19rocblas_complex_numIfEPKPS1_S1_EviT1_lS7_lT2_lT0_lPT3_i.numbered_sgpr, 32
	.set _ZL36rocblas_hemvn_kernel_upper_block_sumILi64EiPK19rocblas_complex_numIfEPKPS1_S1_EviT1_lS7_lT2_lT0_lPT3_i.num_named_barrier, 0
	.set _ZL36rocblas_hemvn_kernel_upper_block_sumILi64EiPK19rocblas_complex_numIfEPKPS1_S1_EviT1_lS7_lT2_lT0_lPT3_i.private_seg_size, 0
	.set _ZL36rocblas_hemvn_kernel_upper_block_sumILi64EiPK19rocblas_complex_numIfEPKPS1_S1_EviT1_lS7_lT2_lT0_lPT3_i.uses_vcc, 1
	.set _ZL36rocblas_hemvn_kernel_upper_block_sumILi64EiPK19rocblas_complex_numIfEPKPS1_S1_EviT1_lS7_lT2_lT0_lPT3_i.uses_flat_scratch, 0
	.set _ZL36rocblas_hemvn_kernel_upper_block_sumILi64EiPK19rocblas_complex_numIfEPKPS1_S1_EviT1_lS7_lT2_lT0_lPT3_i.has_dyn_sized_stack, 0
	.set _ZL36rocblas_hemvn_kernel_upper_block_sumILi64EiPK19rocblas_complex_numIfEPKPS1_S1_EviT1_lS7_lT2_lT0_lPT3_i.has_recursion, 0
	.set _ZL36rocblas_hemvn_kernel_upper_block_sumILi64EiPK19rocblas_complex_numIfEPKPS1_S1_EviT1_lS7_lT2_lT0_lPT3_i.has_indirect_call, 0
	.section	.AMDGPU.csdata,"",@progbits
; Kernel info:
; codeLenInByte = 960
; TotalNumSgprs: 34
; NumVgprs: 11
; ScratchSize: 0
; MemoryBound: 0
; FloatMode: 240
; IeeeMode: 1
; LDSByteSize: 0 bytes/workgroup (compile time only)
; SGPRBlocks: 0
; VGPRBlocks: 1
; NumSGPRsForWavesPerEU: 34
; NumVGPRsForWavesPerEU: 11
; Occupancy: 16
; WaveLimiterHint : 1
; COMPUTE_PGM_RSRC2:SCRATCH_EN: 0
; COMPUTE_PGM_RSRC2:USER_SGPR: 2
; COMPUTE_PGM_RSRC2:TRAP_HANDLER: 0
; COMPUTE_PGM_RSRC2:TGID_X_EN: 1
; COMPUTE_PGM_RSRC2:TGID_Y_EN: 0
; COMPUTE_PGM_RSRC2:TGID_Z_EN: 1
; COMPUTE_PGM_RSRC2:TIDIG_COMP_CNT: 0
	.section	.text._ZL26rocblas_hemvn_kernel_upperILb1ELi64ELi4ELi33ELi32ELi16El19rocblas_complex_numIfEPKPKS1_PS1_EviT6_lT7_lT5_lS8_lS9_lS7_lT8_i,"axG",@progbits,_ZL26rocblas_hemvn_kernel_upperILb1ELi64ELi4ELi33ELi32ELi16El19rocblas_complex_numIfEPKPKS1_PS1_EviT6_lT7_lT5_lS8_lS9_lS7_lT8_i,comdat
	.globl	_ZL26rocblas_hemvn_kernel_upperILb1ELi64ELi4ELi33ELi32ELi16El19rocblas_complex_numIfEPKPKS1_PS1_EviT6_lT7_lT5_lS8_lS9_lS7_lT8_i ; -- Begin function _ZL26rocblas_hemvn_kernel_upperILb1ELi64ELi4ELi33ELi32ELi16El19rocblas_complex_numIfEPKPKS1_PS1_EviT6_lT7_lT5_lS8_lS9_lS7_lT8_i
	.p2align	8
	.type	_ZL26rocblas_hemvn_kernel_upperILb1ELi64ELi4ELi33ELi32ELi16El19rocblas_complex_numIfEPKPKS1_PS1_EviT6_lT7_lT5_lS8_lS9_lS7_lT8_i,@function
_ZL26rocblas_hemvn_kernel_upperILb1ELi64ELi4ELi33ELi32ELi16El19rocblas_complex_numIfEPKPKS1_PS1_EviT6_lT7_lT5_lS8_lS9_lS7_lT8_i: ; @_ZL26rocblas_hemvn_kernel_upperILb1ELi64ELi4ELi33ELi32ELi16El19rocblas_complex_numIfEPKPKS1_PS1_EviT6_lT7_lT5_lS8_lS9_lS7_lT8_i
; %bb.0:
	s_clause 0x1
	s_load_b64 s[2:3], s[0:1], 0x84
	s_load_b32 s23, s[0:1], 0x70
	s_lshr_b32 s34, ttmp7, 16
	s_wait_kmcnt 0x0
	s_lshr_b32 s4, s2, 16
	s_and_b32 s2, s2, 0xffff
	s_and_b32 s3, s3, 0xffff
	s_mul_i32 s2, s4, s2
	s_delay_alu instid0(SALU_CYCLE_1) | instskip(NEXT) | instid1(SALU_CYCLE_1)
	s_mul_i32 s2, s2, s3
	s_cmp_lg_u32 s2, 0x100
	s_cselect_b32 s2, -1, 0
	s_cmp_ge_u32 s34, s23
	s_cselect_b32 s3, -1, 0
	s_delay_alu instid0(SALU_CYCLE_1) | instskip(NEXT) | instid1(SALU_CYCLE_1)
	s_or_b32 s2, s2, s3
	s_and_b32 vcc_lo, exec_lo, s2
	s_cbranch_vccnz .LBB36_189
; %bb.1:
	s_clause 0x3
	s_load_b64 s[8:9], s[0:1], 0x4
	s_load_b32 s2, s[0:1], 0x0
	s_load_b64 s[6:7], s[0:1], 0x68
	s_load_b64 s[10:11], s[0:1], 0x58
	s_add_nc_u64 s[12:13], s[0:1], 0x78
	s_clause 0x3
	s_load_b128 s[24:27], s[0:1], 0x18
	s_load_b64 s[56:57], s[0:1], 0x28
	s_load_b128 s[28:31], s[0:1], 0x38
	s_load_b64 s[36:37], s[0:1], 0x48
	s_load_b32 s38, s[12:13], 0x0
	v_and_b32_e32 v100, 0x3ff, v0
	v_bfe_u32 v12, v0, 10, 10
	v_dual_mov_b32 v56, 0 :: v_dual_and_b32 v1, 31, v0
	s_mov_b32 s35, 0
	s_mov_b32 s4, ttmp9
	s_delay_alu instid0(VALU_DEP_2) | instskip(NEXT) | instid1(VALU_DEP_2)
	v_lshl_add_u32 v10, v12, 6, v100
	v_dual_mov_b32 v2, v56 :: v_dual_lshlrev_b32 v17, 3, v1
	s_mov_b32 s39, s35
	v_lshlrev_b32_e32 v112, 2, v12
	s_delay_alu instid0(VALU_DEP_3) | instskip(NEXT) | instid1(VALU_DEP_3)
	v_lshrrev_b32_e32 v11, 5, v10
	v_lshl_or_b32 v19, v1, 8, v17
	s_wait_kmcnt 0x0
	s_or_b32 s0, s8, s9
	s_ashr_i32 s3, s2, 31
	s_bitset0_b32 s0, 31
	v_mad_co_u64_u32 v[2:3], null, s56, v11, v[1:2]
	s_cmp_eq_u32 s0, 0
	v_lshlrev_b32_e32 v16, 2, v11
	s_cselect_b32 s33, -1, 0
	s_cmp_lg_u32 s0, 0
	v_add_nc_u32_e32 v13, 8, v11
	s_cselect_b32 s66, -1, 0
	s_cmp_neq_f32 s10, 1.0
	v_and_b32_e32 v20, 0x7fe0, v10
	v_or_b32_e32 v22, 2, v16
	s_mul_u64 s[42:43], s[38:39], s[2:3]
	s_cselect_b32 s22, -1, 0
	s_cmp_neq_f32 s11, 0
	v_add_nc_u32_e32 v14, 16, v11
	v_mul_u32_u24_e32 v18, 0x108, v11
	v_add_nc_u32_e32 v15, 24, v11
	s_cselect_b32 s54, -1, 0
	s_lshl_b32 s58, ttmp9, 6
	s_lshr_b32 s1, s3, 26
	v_add_nc_u32_e32 v4, s58, v100
	s_add_co_i32 s1, s2, s1
	s_add_co_i32 s5, s38, -1
	s_and_not1_b32 s1, s1, 63
	v_add_nc_u32_e32 v104, v19, v20
	v_ashrrev_i32_e32 v5, 31, v4
	v_mul_lo_u32 v8, s37, v4
	v_mad_co_u64_u32 v[6:7], null, s36, v4, 0
	s_sub_co_i32 s68, s2, s1
	v_mul_lo_u32 v9, s36, v5
	s_cmp_eq_u32 ttmp9, s5
	v_mul_u32_u24_e32 v19, 0x420, v11
	s_cselect_b32 s40, s68, 0
	v_cmp_le_u32_e64 s10, v22, v1
	s_cmp_lg_u32 s40, 0
	v_cmp_eq_u32_e64 s11, v22, v1
	s_cselect_b32 s69, -1, 0
	v_add3_u32 v7, v7, v9, v8
	v_mad_co_u64_u32 v[8:9], null, s57, v11, v[3:4]
	s_cmp_eq_u32 s40, 0
	v_lshlrev_b32_e32 v22, 3, v11
	s_cselect_b32 s1, -1, 0
	s_ashr_i32 s5, ttmp9, 31
	s_sub_co_i32 s19, s40, 32
	s_mul_u64 s[4:5], s[2:3], s[4:5]
	v_mov_b32_e32 v3, v8
	v_sub_co_u32 v8, s2, 0, v1
	v_lshlrev_b32_e32 v101, 3, v100
	v_sub_co_ci_u32_e64 v9, null, 0, 0, s2
	v_cmp_le_i32_e64 s2, s40, v11
	v_cmp_le_i32_e64 s3, s40, v13
	;; [unrolled: 1-line block ×4, first 2 shown]
	v_cmp_eq_u32_e64 s20, 1, v11
	v_mul_i32_i24_e32 v111, 0xffffffe8, v11
	v_lshrrev_b32_e32 v11, 4, v10
	v_and_b32_e32 v13, 15, v0
	v_and_b32_e32 v0, 48, v0
	s_lshl_b64 s[4:5], s[4:5], 3
	v_or_b32_e32 v21, 1, v16
	s_add_nc_u64 s[44:45], s[6:7], s[4:5]
	v_cmp_le_i32_e64 s4, s40, v14
	v_cmp_le_i32_e64 s5, s40, v15
	v_add_nc_u32_e32 v109, 0x2380, v20
	v_cmp_le_i32_e64 s18, s19, v14
	v_cmp_le_i32_e64 s19, s19, v15
	v_lshlrev_b32_e32 v20, 5, v12
	v_lshlrev_b32_e32 v14, 5, v11
	;; [unrolled: 1-line block ×3, first 2 shown]
	v_or_b32_e32 v15, 0x78, v101
	v_cmp_gt_i32_e32 vcc_lo, s40, v100
	v_mul_u32_u24_e32 v23, 0x108, v21
	v_cmp_eq_u32_e64 s9, v21, v1
	v_mul_u32_u24_e32 v21, 33, v1
	v_mad_u32_u24 v116, 0x218, v13, v14
	v_mad_u32_u24 v117, 0x218, v13, v0
	;; [unrolled: 1-line block ×3, first 2 shown]
	v_add_nc_u32_e32 v13, 0x110, v20
	s_or_b32 s55, s1, vcc_lo
	s_add_co_i32 s21, ttmp9, 1
	s_xor_b32 s70, s55, -1
	s_ashr_i32 s59, s58, 31
	s_ashr_i32 s41, s40, 31
	s_lshl_b64 s[46:47], s[56:57], 6
	s_lshl_b64 s[48:49], s[56:57], 7
	;; [unrolled: 1-line block ×3, first 2 shown]
	v_lshlrev_b32_e32 v107, 3, v21
	v_cmp_gt_u32_e64 s14, 32, v10
	s_cmp_lt_u32 s21, s38
	v_mul_i32_i24_e32 v21, 0xffffffe8, v11
	v_cmp_gt_u32_e64 s21, 64, v10
	v_mad_co_u64_u32 v[10:11], null, s56, v13, 0
	v_add_nc_u32_e32 v14, 0x298, v20
	v_lshlrev_b64_e32 v[58:59], 3, v[2:3]
	v_cmp_eq_u32_e64 s0, 0, v12
	v_mad_u32_u24 v115, 0x860, v12, v101
	v_mad_u32_u24 v134, 0x218, v12, v101
	v_mad_co_u64_u32 v[2:3], null, s56, v14, 0
	v_mov_b32_e32 v0, v11
	v_sub_co_u32 v10, vcc_lo, v10, v58
	v_add_nc_u32_e32 v110, v107, v22
	v_add_nc_u32_e32 v135, 0x2380, v22
	s_delay_alu instid0(VALU_DEP_4)
	v_mad_co_u64_u32 v[11:12], null, s57, v13, v[0:1]
	v_dual_mov_b32 v0, v3 :: v_dual_add_nc_u32 v3, 0x108, v20
	v_add_nc_u32_e32 v22, 0x280, v20
	v_or_b32_e32 v137, 4, v10
	v_cmp_le_u32_e64 s6, v16, v1
	v_cmp_eq_u32_e64 s7, v16, v1
	v_sub_co_ci_u32_e64 v136, null, v11, v59, vcc_lo
	v_mad_co_u64_u32 v[10:11], null, s57, v14, v[0:1]
	v_mad_co_u64_u32 v[11:12], null, s56, v3, 0
	v_mad_co_u64_u32 v[13:14], null, s56, v22, 0
	v_cmp_ge_u32_e64 s8, v16, v1
	v_or_b32_e32 v16, 3, v16
	v_sub_co_u32 v2, vcc_lo, v2, v58
	v_dual_mov_b32 v0, v12 :: v_dual_add_nc_u32 v105, 8, v104
	s_delay_alu instid0(VALU_DEP_3)
	v_cmp_le_u32_e64 s12, v16, v1
	v_cmp_eq_u32_e64 s13, v16, v1
	v_or_b32_e32 v16, 32, v1
	v_or_b32_e32 v139, 4, v2
	v_add_nc_u32_e32 v12, 0x100, v20
	v_mov_b32_e32 v2, v14
	v_mad_co_u64_u32 v[14:15], null, s57, v3, v[0:1]
	v_cmp_gt_i32_e64 s15, s40, v16
	s_delay_alu instid0(VALU_DEP_4) | instskip(NEXT) | instid1(VALU_DEP_4)
	v_mad_co_u64_u32 v[15:16], null, s56, v12, 0
	v_mad_co_u64_u32 v[2:3], null, s57, v22, v[2:3]
	v_add_nc_u32_e32 v22, 0x288, v20
	s_wait_alu 0xfffd
	v_sub_co_ci_u32_e64 v138, null, v10, v59, vcc_lo
	v_sub_co_u32 v140, vcc_lo, v11, v58
	s_delay_alu instid0(VALU_DEP_3)
	v_mad_co_u64_u32 v[10:11], null, s56, v22, 0
	s_wait_alu 0xfffd
	v_sub_co_ci_u32_e64 v141, null, v14, v59, vcc_lo
	v_mov_b32_e32 v0, v16
	v_add_nc_u32_e32 v14, 0x118, v20
	v_sub_co_u32 v13, vcc_lo, v13, v58
	s_wait_alu 0xfffd
	v_sub_co_ci_u32_e64 v142, null, v2, v59, vcc_lo
	v_mad_co_u64_u32 v[2:3], null, s57, v12, v[0:1]
	v_mov_b32_e32 v0, v11
	v_mad_co_u64_u32 v[11:12], null, s56, v14, 0
	v_sub_co_u32 v144, vcc_lo, v15, v58
	v_or_b32_e32 v143, 4, v13
	s_wait_alu 0xfffd
	v_sub_co_ci_u32_e64 v145, null, v2, v59, vcc_lo
	v_mad_co_u64_u32 v[2:3], null, s57, v22, v[0:1]
	v_mov_b32_e32 v0, v12
	v_add_nc_u32_e32 v22, 0x190, v20
	v_add_nc_u32_e32 v3, 0x290, v20
	v_sub_co_u32 v10, vcc_lo, v10, v58
	s_delay_alu instid0(VALU_DEP_4) | instskip(NEXT) | instid1(VALU_DEP_4)
	v_mad_co_u64_u32 v[14:15], null, s57, v14, v[0:1]
	v_mad_co_u64_u32 v[15:16], null, s56, v22, 0
	s_delay_alu instid0(VALU_DEP_4) | instskip(SKIP_3) | instid1(VALU_DEP_4)
	v_mad_co_u64_u32 v[12:13], null, s56, v3, 0
	v_add_nc_u32_e32 v123, 17, v112
	s_wait_alu 0xfffd
	v_sub_co_ci_u32_e64 v146, null, v2, v59, vcc_lo
	v_dual_mov_b32 v2, v16 :: v_dual_add_nc_u32 v113, 0x2180, v101
	v_add_nc_u32_e32 v16, 0x218, v20
	v_mov_b32_e32 v0, v13
	v_sub_co_u32 v148, vcc_lo, v11, v58
	s_wait_alu 0xfffd
	v_sub_co_ci_u32_e64 v149, null, v14, v59, vcc_lo
	v_mad_co_u64_u32 v[13:14], null, s56, v16, 0
	v_or_b32_e32 v147, 4, v10
	v_mad_co_u64_u32 v[10:11], null, s57, v3, v[0:1]
	v_mad_co_u64_u32 v[2:3], null, s57, v22, v[2:3]
	v_add_nc_u32_e32 v22, 0x188, v20
	v_mov_b32_e32 v0, v14
	v_sub_co_u32 v150, vcc_lo, v12, v58
	v_add_nc_u32_e32 v14, 0x200, v20
	s_wait_alu 0xfffd
	v_sub_co_ci_u32_e64 v151, null, v10, v59, vcc_lo
	v_sub_co_u32 v15, vcc_lo, v15, v58
	s_wait_alu 0xfffd
	v_sub_co_ci_u32_e64 v152, null, v2, v59, vcc_lo
	v_mad_co_u64_u32 v[2:3], null, s56, v22, 0
	v_mad_co_u64_u32 v[10:11], null, s57, v16, v[0:1]
	;; [unrolled: 1-line block ×3, first 2 shown]
	v_add_nc_u32_e32 v125, 19, v112
	v_sub_co_u32 v13, vcc_lo, v13, v58
	v_mov_b32_e32 v0, v3
	v_add_nc_u32_e32 v16, 0x180, v20
	v_or_b32_e32 v153, 4, v15
	v_mov_b32_e32 v3, v12
	v_or_b32_e32 v155, 4, v13
	v_mad_co_u64_u32 v[12:13], null, s57, v22, v[0:1]
	s_wait_alu 0xfffd
	v_sub_co_ci_u32_e64 v154, null, v10, v59, vcc_lo
	v_mad_co_u64_u32 v[13:14], null, s57, v14, v[3:4]
	v_add_nc_u32_e32 v3, 0x208, v20
	v_mad_co_u64_u32 v[14:15], null, s56, v16, 0
	v_sub_co_u32 v22, vcc_lo, v11, v58
	s_delay_alu instid0(VALU_DEP_3) | instskip(SKIP_2) | instid1(VALU_DEP_4)
	v_mad_co_u64_u32 v[10:11], null, s56, v3, 0
	v_add_nc_u32_e32 v127, 33, v112
	s_cselect_b32 s39, -1, 0
	v_mov_b32_e32 v0, v15
	v_add_nc_u32_e32 v114, 0x2180, v20
	v_add_nc_u32_e32 v129, 35, v112
	s_or_b32 s67, s22, s54
	v_sub_co_u32 v156, s22, v2, v58
	v_or_b32_e32 v159, 4, v22
	v_mov_b32_e32 v2, v11
	v_add_nc_u32_e32 v22, 0x198, v20
	v_add_nc_u32_e32 v20, 0x210, v20
	v_sub_co_ci_u32_e64 v157, null, v12, v59, s22
	v_mad_co_u64_u32 v[11:12], null, s57, v16, v[0:1]
	s_wait_alu 0xfffd
	v_sub_co_ci_u32_e64 v158, null, v13, v59, vcc_lo
	v_mad_co_u64_u32 v[2:3], null, s57, v3, v[2:3]
	v_mad_co_u64_u32 v[12:13], null, s56, v22, 0
	;; [unrolled: 1-line block ×3, first 2 shown]
	v_sub_co_u32 v160, vcc_lo, v14, v58
	s_wait_alu 0xfffd
	v_sub_co_ci_u32_e64 v161, null, v11, v59, vcc_lo
	v_sub_co_u32 v3, vcc_lo, v10, v58
	v_dual_mov_b32 v0, v13 :: v_dual_add_nc_u32 v131, 49, v112
	v_add_nc_u32_e32 v133, 51, v112
	s_wait_alu 0xfffd
	v_sub_co_ci_u32_e64 v162, null, v2, v59, vcc_lo
	v_mov_b32_e32 v2, v16
	v_or_b32_e32 v163, 4, v3
	v_mad_co_u64_u32 v[10:11], null, s57, v22, v[0:1]
	v_sub_co_u32 v0, vcc_lo, v15, v58
	s_delay_alu instid0(VALU_DEP_4)
	v_mad_co_u64_u32 v[2:3], null, s57, v20, v[2:3]
	v_sub_co_u32 v164, s22, v12, v58
	s_wait_alu 0xfffe
	s_mul_u64 s[52:53], s[36:37], s[58:59]
	v_lshlrev_b64_e32 v[60:61], 3, v[6:7]
	v_lshlrev_b64_e32 v[62:63], 3, v[4:5]
	;; [unrolled: 1-line block ×3, first 2 shown]
	v_add_nc_u32_e32 v102, 0x2380, v101
	v_cmp_gt_i32_e64 s1, s40, v1
	v_mad_u32_u24 v103, 0x108, v1, v17
	v_add_nc_u32_e32 v106, 16, v104
	v_add_nc_u32_e32 v108, 24, v104
	v_or_b32_e32 v119, 1, v112
	v_or_b32_e32 v120, 2, v112
	;; [unrolled: 1-line block ×3, first 2 shown]
	v_add_nc_u32_e32 v122, 16, v112
	v_add_nc_u32_e32 v124, 18, v112
	;; [unrolled: 1-line block ×6, first 2 shown]
	v_sub_co_ci_u32_e64 v165, null, v10, v59, s22
	s_wait_alu 0xfffd
	v_sub_co_ci_u32_e64 v166, null, v2, v59, vcc_lo
	v_or_b32_e32 v167, 4, v0
	v_add_nc_u32_e32 v168, v116, v21
	v_add_nc_u32_e32 v169, v17, v18
	v_lshlrev_b32_e32 v170, 3, v1
	v_add_nc_u32_e32 v171, v17, v19
	v_add_nc_u32_e32 v172, v17, v23
	s_mul_u64 s[60:61], s[56:57], s[58:59]
	s_sub_nc_u64 s[64:65], 0, s[52:53]
	s_mul_u64 s[50:51], s[56:57], 0xc0
	s_add_co_i32 s71, s38, -2
	s_and_b32 s72, s0, s55
	s_sub_nc_u64 s[52:53], 0, s[40:41]
	s_add_co_i32 s73, s58, 64
	s_lshl_b64 s[54:55], s[56:57], 9
	s_lshl_b64 s[30:31], s[30:31], 3
	;; [unrolled: 1-line block ×4, first 2 shown]
	s_or_b32 s74, s67, s66
	s_lshl_b64 s[58:59], s[60:61], 3
	s_lshl_b64 s[60:61], s[62:63], 3
	;; [unrolled: 1-line block ×3, first 2 shown]
	s_branch .LBB36_4
.LBB36_2:                               ;   in Loop: Header=BB36_4 Depth=1
	s_wait_alu 0xfffe
	s_or_b32 exec_lo, exec_lo, s22
.LBB36_3:                               ;   in Loop: Header=BB36_4 Depth=1
	s_add_co_i32 s34, s34, 0x10000
	s_delay_alu instid0(SALU_CYCLE_1)
	s_cmp_lt_u32 s34, s23
	s_cbranch_scc0 .LBB36_189
.LBB36_4:                               ; =>This Loop Header: Depth=1
                                        ;     Child Loop BB36_113 Depth 2
	s_and_not1_b32 vcc_lo, exec_lo, s74
	s_wait_alu 0xfffe
	s_cbranch_vccnz .LBB36_3
; %bb.5:                                ;   in Loop: Header=BB36_4 Depth=1
	s_and_b32 vcc_lo, exec_lo, s33
	s_mov_b32 s22, -1
	s_wait_alu 0xfffe
	s_cbranch_vccz .LBB36_7
; %bb.6:                                ;   in Loop: Header=BB36_4 Depth=1
	s_mov_b32 s22, 0
.LBB36_7:                               ;   in Loop: Header=BB36_4 Depth=1
	s_wait_alu 0xfffe
	s_and_not1_b32 vcc_lo, exec_lo, s22
	s_wait_alu 0xfffe
	s_cbranch_vccnz .LBB36_3
; %bb.8:                                ;   in Loop: Header=BB36_4 Depth=1
	s_lshl_b64 s[64:65], s[34:35], 3
	s_wait_alu 0xfffe
	s_add_nc_u64 s[66:67], s[28:29], s[64:65]
	s_add_nc_u64 s[64:65], s[24:25], s[64:65]
	s_clause 0x1
	global_load_b64 v[2:3], v56, s[66:67]
	global_load_b64 v[0:1], v56, s[64:65]
	s_wait_loadcnt 0x1
	v_add_co_u32 v2, vcc_lo, v2, s30
	s_wait_alu 0xfffd
	v_add_co_ci_u32_e64 v3, null, s31, v3, vcc_lo
	s_delay_alu instid0(VALU_DEP_2) | instskip(SKIP_1) | instid1(VALU_DEP_2)
	v_add_co_u32 v12, vcc_lo, v2, v60
	s_wait_alu 0xfffd
	v_add_co_ci_u32_e64 v13, null, v3, v61, vcc_lo
	s_and_saveexec_b32 s22, s0
	s_cbranch_execz .LBB36_13
; %bb.9:                                ;   in Loop: Header=BB36_4 Depth=1
	s_and_saveexec_b32 s64, s70
	s_wait_alu 0xfffe
	s_xor_b32 s64, exec_lo, s64
; %bb.10:                               ;   in Loop: Header=BB36_4 Depth=1
	v_mov_b32_e32 v57, v56
	ds_store_b64 v102, v[56:57]
; %bb.11:                               ;   in Loop: Header=BB36_4 Depth=1
	s_wait_alu 0xfffe
	s_and_not1_saveexec_b32 s64, s64
	s_cbranch_execz .LBB36_13
; %bb.12:                               ;   in Loop: Header=BB36_4 Depth=1
	flat_load_b64 v[2:3], v[12:13]
	s_wait_loadcnt_dscnt 0x0
	ds_store_b64 v102, v[2:3]
.LBB36_13:                              ;   in Loop: Header=BB36_4 Depth=1
	s_wait_alu 0xfffe
	s_or_b32 exec_lo, exec_lo, s22
	s_wait_loadcnt 0x0
	v_add_co_u32 v0, vcc_lo, v0, s26
	s_wait_alu 0xfffd
	v_add_co_ci_u32_e64 v1, null, s27, v1, vcc_lo
	s_mov_b32 s22, -1
	v_add_co_u32 v0, vcc_lo, v0, s56
	s_wait_alu 0xfffd
	v_add_co_ci_u32_e64 v1, null, s57, v1, vcc_lo
	s_delay_alu instid0(VALU_DEP_2) | instskip(SKIP_1) | instid1(VALU_DEP_2)
	v_add_co_u32 v0, vcc_lo, v0, v58
	s_wait_alu 0xfffd
	v_add_co_ci_u32_e64 v1, null, v1, v59, vcc_lo
	s_delay_alu instid0(VALU_DEP_2) | instskip(SKIP_1) | instid1(VALU_DEP_2)
	v_add_co_u32 v2, vcc_lo, v0, s58
	s_wait_alu 0xfffd
	v_add_co_ci_u32_e64 v3, null, s59, v1, vcc_lo
	s_and_b32 vcc_lo, exec_lo, s69
                                        ; implicit-def: $vgpr0_vgpr1
	s_wait_alu 0xfffe
	s_cbranch_vccz .LBB36_25
; %bb.14:                               ;   in Loop: Header=BB36_4 Depth=1
	s_and_saveexec_b32 s22, s2
	s_wait_alu 0xfffe
	s_xor_b32 s22, exec_lo, s22
; %bb.15:                               ;   in Loop: Header=BB36_4 Depth=1
	v_mov_b32_e32 v57, v56
	ds_store_b64 v169, v[56:57]
; %bb.16:                               ;   in Loop: Header=BB36_4 Depth=1
	s_wait_alu 0xfffe
	s_or_saveexec_b32 s22, s22
	v_add_co_u32 v0, vcc_lo, v2, v64
	s_wait_alu 0xfffd
	v_add_co_ci_u32_e64 v1, null, v3, v65, vcc_lo
	s_lshl_b64 s[64:65], s[40:41], 3
	s_wait_alu 0xfffe
	v_add_co_u32 v0, vcc_lo, v0, s64
	s_wait_alu 0xfffd
	v_add_co_ci_u32_e64 v1, null, s65, v1, vcc_lo
	s_delay_alu instid0(VALU_DEP_2) | instskip(SKIP_1) | instid1(VALU_DEP_2)
	v_add_co_u32 v0, vcc_lo, v0, -8
	s_wait_alu 0xfffd
	v_add_co_ci_u32_e64 v1, null, -1, v1, vcc_lo
	s_delay_alu instid0(VALU_DEP_2) | instskip(NEXT) | instid1(VALU_DEP_2)
	v_cndmask_b32_e64 v0, v0, v2, s1
	v_cndmask_b32_e64 v1, v1, v3, s1
	s_xor_b32 exec_lo, exec_lo, s22
	s_cbranch_execnz .LBB36_171
; %bb.17:                               ;   in Loop: Header=BB36_4 Depth=1
	s_or_b32 exec_lo, exec_lo, s22
	s_and_saveexec_b32 s22, s3
	s_wait_alu 0xfffe
	s_xor_b32 s22, exec_lo, s22
	s_cbranch_execnz .LBB36_172
.LBB36_18:                              ;   in Loop: Header=BB36_4 Depth=1
	s_wait_alu 0xfffe
	s_and_not1_saveexec_b32 s22, s22
	s_cbranch_execnz .LBB36_173
.LBB36_19:                              ;   in Loop: Header=BB36_4 Depth=1
	s_wait_alu 0xfffe
	s_or_b32 exec_lo, exec_lo, s22
	s_and_saveexec_b32 s22, s4
	s_wait_alu 0xfffe
	s_xor_b32 s22, exec_lo, s22
	s_cbranch_execnz .LBB36_174
.LBB36_20:                              ;   in Loop: Header=BB36_4 Depth=1
	s_wait_alu 0xfffe
	s_and_not1_saveexec_b32 s22, s22
	s_cbranch_execnz .LBB36_175
.LBB36_21:                              ;   in Loop: Header=BB36_4 Depth=1
	s_wait_alu 0xfffe
	s_or_b32 exec_lo, exec_lo, s22
	s_and_saveexec_b32 s22, s5
	s_wait_alu 0xfffe
	s_xor_b32 s22, exec_lo, s22
	s_cbranch_execnz .LBB36_176
.LBB36_22:                              ;   in Loop: Header=BB36_4 Depth=1
	s_wait_alu 0xfffe
	s_and_not1_saveexec_b32 s22, s22
	s_cbranch_execz .LBB36_24
.LBB36_23:                              ;   in Loop: Header=BB36_4 Depth=1
	v_add_co_u32 v4, vcc_lo, v0, s50
	s_wait_alu 0xfffd
	v_add_co_ci_u32_e64 v5, null, s51, v1, vcc_lo
	flat_load_b64 v[4:5], v[4:5]
	s_wait_loadcnt_dscnt 0x0
	ds_store_b64 v169, v[4:5] offset:6336
.LBB36_24:                              ;   in Loop: Header=BB36_4 Depth=1
	s_wait_alu 0xfffe
	s_or_b32 exec_lo, exec_lo, s22
	v_add_co_u32 v0, vcc_lo, v0, v170
	s_wait_alu 0xfffd
	v_add_co_ci_u32_e64 v1, null, 0, v1, vcc_lo
	s_lshl_b64 s[64:65], s[52:53], 3
	s_mov_b32 s22, 0
	s_wait_alu 0xfffe
	v_add_co_u32 v0, vcc_lo, v0, s64
	s_wait_alu 0xfffd
	v_add_co_ci_u32_e64 v1, null, s65, v1, vcc_lo
	s_delay_alu instid0(VALU_DEP_2) | instskip(SKIP_1) | instid1(VALU_DEP_2)
	v_add_co_u32 v0, vcc_lo, v0, 8
	s_wait_alu 0xfffd
	v_add_co_ci_u32_e64 v1, null, 0, v1, vcc_lo
	s_delay_alu instid0(VALU_DEP_2) | instskip(NEXT) | instid1(VALU_DEP_2)
	v_cndmask_b32_e64 v0, v0, v2, s1
	v_cndmask_b32_e64 v1, v1, v3, s1
.LBB36_25:                              ;   in Loop: Header=BB36_4 Depth=1
	s_and_b32 vcc_lo, exec_lo, s22
	s_wait_alu 0xfffe
	s_cbranch_vccz .LBB36_27
; %bb.26:                               ;   in Loop: Header=BB36_4 Depth=1
	v_add_co_u32 v0, vcc_lo, v2, s46
	s_wait_alu 0xfffd
	v_add_co_ci_u32_e64 v1, null, s47, v3, vcc_lo
	s_delay_alu instid0(VALU_DEP_2) | instskip(SKIP_1) | instid1(VALU_DEP_2)
	v_add_co_u32 v4, vcc_lo, v0, s46
	s_wait_alu 0xfffd
	v_add_co_ci_u32_e64 v5, null, s47, v1, vcc_lo
	s_delay_alu instid0(VALU_DEP_2) | instskip(SKIP_1) | instid1(VALU_DEP_2)
	v_add_co_u32 v6, vcc_lo, v4, s46
	s_wait_alu 0xfffd
	v_add_co_ci_u32_e64 v7, null, s47, v5, vcc_lo
	s_clause 0x3
	flat_load_b64 v[8:9], v[2:3]
	flat_load_b64 v[10:11], v[0:1]
	;; [unrolled: 1-line block ×4, first 2 shown]
	v_dual_mov_b32 v0, v2 :: v_dual_mov_b32 v1, v3
	s_wait_loadcnt_dscnt 0x303
	ds_store_b64 v169, v[8:9]
	s_wait_loadcnt_dscnt 0x203
	ds_store_b64 v169, v[10:11] offset:2112
	s_wait_loadcnt_dscnt 0x103
	ds_store_b64 v169, v[4:5] offset:4224
	;; [unrolled: 2-line block ×3, first 2 shown]
.LBB36_27:                              ;   in Loop: Header=BB36_4 Depth=1
	s_mov_b32 s22, 0
	s_wait_dscnt 0x0
	s_barrier_signal -1
	s_barrier_wait -1
	global_inv scope:SCOPE_SE
	s_and_saveexec_b32 s64, s6
	s_wait_alu 0xfffe
	s_xor_b32 s64, exec_lo, s64
; %bb.28:                               ;   in Loop: Header=BB36_4 Depth=1
	s_and_b32 s22, s7, exec_lo
; %bb.29:                               ;   in Loop: Header=BB36_4 Depth=1
	s_wait_alu 0xfffe
	s_or_saveexec_b32 s64, s64
	v_dual_mov_b32 v2, 0 :: v_dual_mov_b32 v3, v103
	s_wait_alu 0xfffe
	s_xor_b32 exec_lo, exec_lo, s64
	s_cbranch_execz .LBB36_31
; %bb.30:                               ;   in Loop: Header=BB36_4 Depth=1
	ds_load_b64 v[4:5], v171
	v_mov_b32_e32 v3, v104
	s_or_b32 s22, s22, exec_lo
	s_wait_dscnt 0x0
	v_xor_b32_e32 v2, 0x80000000, v5
	ds_store_b32 v104, v4
.LBB36_31:                              ;   in Loop: Header=BB36_4 Depth=1
	s_or_b32 exec_lo, exec_lo, s64
	s_wait_alu 0xfffe
	s_and_saveexec_b32 s64, s22
; %bb.32:                               ;   in Loop: Header=BB36_4 Depth=1
	ds_store_b32 v3, v2 offset:4
; %bb.33:                               ;   in Loop: Header=BB36_4 Depth=1
	s_wait_alu 0xfffe
	s_or_b32 exec_lo, exec_lo, s64
	s_mov_b32 s22, 0
                                        ; implicit-def: $vgpr2
	s_and_saveexec_b32 s64, s8
	s_wait_alu 0xfffe
	s_xor_b32 s64, exec_lo, s64
	s_cbranch_execnz .LBB36_167
; %bb.34:                               ;   in Loop: Header=BB36_4 Depth=1
	s_wait_alu 0xfffe
	s_or_saveexec_b32 s64, s64
	v_mov_b32_e32 v3, v105
	s_wait_alu 0xfffe
	s_xor_b32 exec_lo, exec_lo, s64
	s_cbranch_execnz .LBB36_168
.LBB36_35:                              ;   in Loop: Header=BB36_4 Depth=1
	s_or_b32 exec_lo, exec_lo, s64
	s_and_saveexec_b32 s64, s22
.LBB36_36:                              ;   in Loop: Header=BB36_4 Depth=1
	ds_store_b32 v3, v2 offset:4
.LBB36_37:                              ;   in Loop: Header=BB36_4 Depth=1
	s_wait_alu 0xfffe
	s_or_b32 exec_lo, exec_lo, s64
	s_mov_b32 s22, 0
	s_and_saveexec_b32 s64, s10
	s_wait_alu 0xfffe
	s_xor_b32 s64, exec_lo, s64
; %bb.38:                               ;   in Loop: Header=BB36_4 Depth=1
	s_and_b32 s22, s11, exec_lo
; %bb.39:                               ;   in Loop: Header=BB36_4 Depth=1
	s_wait_alu 0xfffe
	s_or_saveexec_b32 s64, s64
	v_dual_mov_b32 v2, 0 :: v_dual_mov_b32 v3, v103
	s_wait_alu 0xfffe
	s_xor_b32 exec_lo, exec_lo, s64
	s_cbranch_execz .LBB36_41
; %bb.40:                               ;   in Loop: Header=BB36_4 Depth=1
	ds_load_b64 v[4:5], v172 offset:264
	v_mov_b32_e32 v3, v106
	s_or_b32 s22, s22, exec_lo
	s_wait_dscnt 0x0
	v_xor_b32_e32 v2, 0x80000000, v5
	ds_store_b32 v106, v4
.LBB36_41:                              ;   in Loop: Header=BB36_4 Depth=1
	s_or_b32 exec_lo, exec_lo, s64
	s_wait_alu 0xfffe
	s_and_saveexec_b32 s64, s22
; %bb.42:                               ;   in Loop: Header=BB36_4 Depth=1
	ds_store_b32 v3, v2 offset:4
; %bb.43:                               ;   in Loop: Header=BB36_4 Depth=1
	s_wait_alu 0xfffe
	s_or_b32 exec_lo, exec_lo, s64
	s_mov_b32 s22, 0
	s_and_saveexec_b32 s64, s12
	s_wait_alu 0xfffe
	s_xor_b32 s64, exec_lo, s64
; %bb.44:                               ;   in Loop: Header=BB36_4 Depth=1
	s_and_b32 s22, s13, exec_lo
; %bb.45:                               ;   in Loop: Header=BB36_4 Depth=1
	s_wait_alu 0xfffe
	s_or_saveexec_b32 s64, s64
	v_dual_mov_b32 v2, 0 :: v_dual_mov_b32 v3, v103
	s_wait_alu 0xfffe
	s_xor_b32 exec_lo, exec_lo, s64
	s_cbranch_execz .LBB36_47
; %bb.46:                               ;   in Loop: Header=BB36_4 Depth=1
	ds_load_b64 v[4:5], v172 offset:528
	v_mov_b32_e32 v3, v108
	s_or_b32 s22, s22, exec_lo
	s_wait_dscnt 0x0
	v_xor_b32_e32 v2, 0x80000000, v5
	ds_store_b32 v108, v4
.LBB36_47:                              ;   in Loop: Header=BB36_4 Depth=1
	s_or_b32 exec_lo, exec_lo, s64
	s_wait_alu 0xfffe
	s_and_saveexec_b32 s64, s22
; %bb.48:                               ;   in Loop: Header=BB36_4 Depth=1
	ds_store_b32 v3, v2 offset:4
; %bb.49:                               ;   in Loop: Header=BB36_4 Depth=1
	s_wait_alu 0xfffe
	s_or_b32 exec_lo, exec_lo, s64
	s_wait_loadcnt_dscnt 0x0
	s_barrier_signal -1
	s_barrier_wait -1
	global_inv scope:SCOPE_SE
	ds_load_b64 v[10:11], v171
	ds_load_b128 v[2:5], v109
	ds_load_2addr_b64 v[6:9], v172 offset1:33
	ds_load_b128 v[14:17], v109 offset:16
	ds_load_b64 v[18:19], v172 offset:528
	s_wait_loadcnt_dscnt 0x0
	s_barrier_signal -1
	s_barrier_wait -1
	global_inv scope:SCOPE_SE
	v_dual_mov_b32 v67, 0 :: v_dual_mul_f32 v20, v3, v11
	v_dual_mul_f32 v11, v2, v11 :: v_dual_mul_f32 v22, v15, v9
	v_mul_f32_e32 v9, v14, v9
	s_delay_alu instid0(VALU_DEP_3) | instskip(SKIP_1) | instid1(VALU_DEP_4)
	v_fma_f32 v2, v2, v10, -v20
	v_mul_f32_e32 v21, v5, v7
	v_fmac_f32_e32 v11, v3, v10
	s_delay_alu instid0(VALU_DEP_4) | instskip(SKIP_3) | instid1(VALU_DEP_1)
	v_fmac_f32_e32 v9, v15, v8
	v_fma_f32 v10, v14, v8, -v22
	v_dual_add_f32 v2, 0, v2 :: v_dual_mul_f32 v7, v4, v7
	v_fma_f32 v4, v4, v6, -v21
	v_dual_add_f32 v2, v2, v4 :: v_dual_fmac_f32 v7, v5, v6
	v_mul_f32_e32 v6, v16, v19
	v_add_f32_e32 v5, 0, v11
	s_delay_alu instid0(VALU_DEP_3) | instskip(NEXT) | instid1(VALU_DEP_3)
	v_dual_mul_f32 v3, v17, v19 :: v_dual_add_f32 v2, v2, v10
	v_fmac_f32_e32 v6, v17, v18
	s_delay_alu instid0(VALU_DEP_3) | instskip(NEXT) | instid1(VALU_DEP_3)
	v_add_f32_e32 v4, v5, v7
	v_fma_f32 v3, v16, v18, -v3
	s_delay_alu instid0(VALU_DEP_2) | instskip(SKIP_1) | instid1(VALU_DEP_2)
	v_add_f32_e32 v4, v4, v9
	v_mov_b32_e32 v66, 0
	v_dual_add_f32 v2, v2, v3 :: v_dual_add_f32 v3, v4, v6
	ds_store_b64 v110, v[2:3]
	s_wait_loadcnt_dscnt 0x0
	s_barrier_signal -1
	s_barrier_wait -1
	global_inv scope:SCOPE_SE
	s_and_saveexec_b32 s22, s14
	s_cbranch_execz .LBB36_51
; %bb.50:                               ;   in Loop: Header=BB36_4 Depth=1
	ds_load_2addr_b64 v[2:5], v107 offset1:7
	ds_load_2addr_b64 v[6:9], v107 offset0:1 offset1:2
	ds_load_2addr_b64 v[14:17], v107 offset0:3 offset1:4
	;; [unrolled: 1-line block ×3, first 2 shown]
	s_wait_dscnt 0x2
	v_dual_add_f32 v2, v6, v2 :: v_dual_add_f32 v3, v7, v3
	s_delay_alu instid0(VALU_DEP_1) | instskip(SKIP_1) | instid1(VALU_DEP_1)
	v_dual_add_f32 v2, v8, v2 :: v_dual_add_f32 v3, v9, v3
	s_wait_dscnt 0x1
	v_dual_add_f32 v2, v2, v14 :: v_dual_add_f32 v3, v3, v15
	s_delay_alu instid0(VALU_DEP_1) | instskip(SKIP_1) | instid1(VALU_DEP_1)
	v_dual_add_f32 v2, v2, v16 :: v_dual_add_f32 v3, v3, v17
	s_wait_dscnt 0x0
	v_dual_add_f32 v2, v2, v18 :: v_dual_add_f32 v3, v3, v19
	s_delay_alu instid0(VALU_DEP_1) | instskip(NEXT) | instid1(VALU_DEP_1)
	v_dual_add_f32 v2, v2, v20 :: v_dual_add_f32 v3, v3, v21
	v_dual_add_f32 v66, v2, v4 :: v_dual_add_f32 v67, v3, v5
.LBB36_51:                              ;   in Loop: Header=BB36_4 Depth=1
	s_wait_alu 0xfffe
	s_or_b32 exec_lo, exec_lo, s22
	v_add_co_u32 v4, vcc_lo, v0, s60
	s_wait_alu 0xfffd
	v_add_co_ci_u32_e64 v5, null, s61, v1, vcc_lo
	s_mov_b32 s22, -1
	v_add_co_u32 v2, vcc_lo, 0x100, v4
	s_wait_alu 0xfffd
	v_add_co_ci_u32_e64 v3, null, 0, v5, vcc_lo
	s_and_b32 vcc_lo, exec_lo, s69
	s_wait_loadcnt 0x0
	s_barrier_signal -1
	s_barrier_wait -1
	global_inv scope:SCOPE_SE
                                        ; implicit-def: $vgpr0_vgpr1
	s_wait_alu 0xfffe
	s_cbranch_vccz .LBB36_63
; %bb.52:                               ;   in Loop: Header=BB36_4 Depth=1
	s_and_saveexec_b32 s22, s16
	s_wait_alu 0xfffe
	s_xor_b32 s22, exec_lo, s22
; %bb.53:                               ;   in Loop: Header=BB36_4 Depth=1
	v_mov_b32_e32 v57, v56
	ds_store_b64 v169, v[56:57]
; %bb.54:                               ;   in Loop: Header=BB36_4 Depth=1
	s_wait_alu 0xfffe
	s_or_saveexec_b32 s22, s22
	v_add_co_u32 v0, vcc_lo, v4, v64
	s_wait_alu 0xfffd
	v_add_co_ci_u32_e64 v1, null, v5, v65, vcc_lo
	s_lshl_b64 s[64:65], s[40:41], 3
	s_wait_alu 0xfffe
	v_add_co_u32 v0, vcc_lo, v0, s64
	s_wait_alu 0xfffd
	v_add_co_ci_u32_e64 v1, null, s65, v1, vcc_lo
	s_delay_alu instid0(VALU_DEP_2) | instskip(SKIP_1) | instid1(VALU_DEP_2)
	v_add_co_u32 v0, vcc_lo, v0, -8
	s_wait_alu 0xfffd
	v_add_co_ci_u32_e64 v1, null, -1, v1, vcc_lo
	s_delay_alu instid0(VALU_DEP_2) | instskip(NEXT) | instid1(VALU_DEP_2)
	v_cndmask_b32_e64 v0, v0, v2, s15
	v_cndmask_b32_e64 v1, v1, v3, s15
	s_xor_b32 exec_lo, exec_lo, s22
	s_cbranch_execnz .LBB36_177
; %bb.55:                               ;   in Loop: Header=BB36_4 Depth=1
	s_or_b32 exec_lo, exec_lo, s22
	s_and_saveexec_b32 s22, s17
	s_wait_alu 0xfffe
	s_xor_b32 s22, exec_lo, s22
	s_cbranch_execnz .LBB36_178
.LBB36_56:                              ;   in Loop: Header=BB36_4 Depth=1
	s_wait_alu 0xfffe
	s_and_not1_saveexec_b32 s22, s22
	s_cbranch_execnz .LBB36_179
.LBB36_57:                              ;   in Loop: Header=BB36_4 Depth=1
	s_wait_alu 0xfffe
	s_or_b32 exec_lo, exec_lo, s22
	s_and_saveexec_b32 s22, s18
	s_wait_alu 0xfffe
	s_xor_b32 s22, exec_lo, s22
	s_cbranch_execnz .LBB36_180
.LBB36_58:                              ;   in Loop: Header=BB36_4 Depth=1
	s_wait_alu 0xfffe
	s_and_not1_saveexec_b32 s22, s22
	s_cbranch_execnz .LBB36_181
.LBB36_59:                              ;   in Loop: Header=BB36_4 Depth=1
	s_wait_alu 0xfffe
	s_or_b32 exec_lo, exec_lo, s22
	s_and_saveexec_b32 s22, s19
	s_wait_alu 0xfffe
	s_xor_b32 s22, exec_lo, s22
	s_cbranch_execnz .LBB36_182
.LBB36_60:                              ;   in Loop: Header=BB36_4 Depth=1
	s_wait_alu 0xfffe
	s_and_not1_saveexec_b32 s22, s22
	s_cbranch_execz .LBB36_62
.LBB36_61:                              ;   in Loop: Header=BB36_4 Depth=1
	v_add_co_u32 v6, vcc_lo, v0, s50
	s_wait_alu 0xfffd
	v_add_co_ci_u32_e64 v7, null, s51, v1, vcc_lo
	flat_load_b64 v[6:7], v[6:7]
	s_wait_loadcnt_dscnt 0x0
	ds_store_b64 v169, v[6:7] offset:6336
.LBB36_62:                              ;   in Loop: Header=BB36_4 Depth=1
	s_wait_alu 0xfffe
	s_or_b32 exec_lo, exec_lo, s22
	v_add_co_u32 v0, vcc_lo, v0, v170
	s_wait_alu 0xfffd
	v_add_co_ci_u32_e64 v1, null, 0, v1, vcc_lo
	s_lshl_b64 s[64:65], s[52:53], 3
	s_mov_b32 s22, 0
	s_wait_alu 0xfffe
	v_add_co_u32 v0, vcc_lo, v0, s64
	s_wait_alu 0xfffd
	v_add_co_ci_u32_e64 v1, null, s65, v1, vcc_lo
	s_delay_alu instid0(VALU_DEP_2) | instskip(SKIP_1) | instid1(VALU_DEP_2)
	v_add_co_u32 v0, vcc_lo, 0x108, v0
	s_wait_alu 0xfffd
	v_add_co_ci_u32_e64 v1, null, 0, v1, vcc_lo
	s_delay_alu instid0(VALU_DEP_2) | instskip(NEXT) | instid1(VALU_DEP_2)
	v_cndmask_b32_e64 v0, v0, v2, s15
	v_cndmask_b32_e64 v1, v1, v3, s15
.LBB36_63:                              ;   in Loop: Header=BB36_4 Depth=1
	s_and_b32 vcc_lo, exec_lo, s22
	s_wait_alu 0xfffe
	s_cbranch_vccz .LBB36_65
; %bb.64:                               ;   in Loop: Header=BB36_4 Depth=1
	v_add_co_u32 v0, vcc_lo, v4, s46
	s_wait_alu 0xfffd
	v_add_co_ci_u32_e64 v1, null, s47, v5, vcc_lo
	s_delay_alu instid0(VALU_DEP_2) | instskip(SKIP_1) | instid1(VALU_DEP_2)
	v_add_co_u32 v6, vcc_lo, v0, s46
	s_wait_alu 0xfffd
	v_add_co_ci_u32_e64 v7, null, s47, v1, vcc_lo
	s_delay_alu instid0(VALU_DEP_2) | instskip(SKIP_1) | instid1(VALU_DEP_2)
	v_add_co_u32 v8, vcc_lo, v6, s46
	s_wait_alu 0xfffd
	v_add_co_ci_u32_e64 v9, null, s47, v7, vcc_lo
	s_clause 0x3
	flat_load_b64 v[4:5], v[4:5] offset:256
	flat_load_b64 v[10:11], v[0:1] offset:256
	;; [unrolled: 1-line block ×4, first 2 shown]
	v_dual_mov_b32 v0, v2 :: v_dual_mov_b32 v1, v3
	s_wait_loadcnt_dscnt 0x303
	ds_store_b64 v169, v[4:5]
	s_wait_loadcnt_dscnt 0x203
	ds_store_b64 v169, v[10:11] offset:2112
	s_wait_loadcnt_dscnt 0x103
	ds_store_b64 v169, v[6:7] offset:4224
	;; [unrolled: 2-line block ×3, first 2 shown]
.LBB36_65:                              ;   in Loop: Header=BB36_4 Depth=1
	s_mov_b32 s22, 0
	s_wait_loadcnt_dscnt 0x0
	s_barrier_signal -1
	s_barrier_wait -1
	global_inv scope:SCOPE_SE
	s_and_saveexec_b32 s64, s6
	s_wait_alu 0xfffe
	s_xor_b32 s64, exec_lo, s64
; %bb.66:                               ;   in Loop: Header=BB36_4 Depth=1
	s_and_b32 s22, s7, exec_lo
; %bb.67:                               ;   in Loop: Header=BB36_4 Depth=1
	s_wait_alu 0xfffe
	s_or_saveexec_b32 s64, s64
	v_dual_mov_b32 v2, 0 :: v_dual_mov_b32 v3, v103
	s_wait_alu 0xfffe
	s_xor_b32 exec_lo, exec_lo, s64
	s_cbranch_execz .LBB36_69
; %bb.68:                               ;   in Loop: Header=BB36_4 Depth=1
	ds_load_b64 v[4:5], v171
	v_mov_b32_e32 v3, v104
	s_or_b32 s22, s22, exec_lo
	s_wait_dscnt 0x0
	v_xor_b32_e32 v2, 0x80000000, v5
	ds_store_b32 v104, v4
.LBB36_69:                              ;   in Loop: Header=BB36_4 Depth=1
	s_or_b32 exec_lo, exec_lo, s64
	s_wait_alu 0xfffe
	s_and_saveexec_b32 s64, s22
; %bb.70:                               ;   in Loop: Header=BB36_4 Depth=1
	ds_store_b32 v3, v2 offset:4
; %bb.71:                               ;   in Loop: Header=BB36_4 Depth=1
	s_wait_alu 0xfffe
	s_or_b32 exec_lo, exec_lo, s64
	s_mov_b32 s22, 0
                                        ; implicit-def: $vgpr2
	s_and_saveexec_b32 s64, s8
	s_wait_alu 0xfffe
	s_xor_b32 s64, exec_lo, s64
	s_cbranch_execnz .LBB36_169
; %bb.72:                               ;   in Loop: Header=BB36_4 Depth=1
	s_wait_alu 0xfffe
	s_or_saveexec_b32 s64, s64
	v_mov_b32_e32 v3, v105
	s_wait_alu 0xfffe
	s_xor_b32 exec_lo, exec_lo, s64
	s_cbranch_execnz .LBB36_170
.LBB36_73:                              ;   in Loop: Header=BB36_4 Depth=1
	s_or_b32 exec_lo, exec_lo, s64
	s_and_saveexec_b32 s64, s22
.LBB36_74:                              ;   in Loop: Header=BB36_4 Depth=1
	ds_store_b32 v3, v2 offset:4
.LBB36_75:                              ;   in Loop: Header=BB36_4 Depth=1
	s_wait_alu 0xfffe
	s_or_b32 exec_lo, exec_lo, s64
	s_mov_b32 s22, 0
	s_and_saveexec_b32 s64, s10
	s_wait_alu 0xfffe
	s_xor_b32 s64, exec_lo, s64
; %bb.76:                               ;   in Loop: Header=BB36_4 Depth=1
	s_and_b32 s22, s11, exec_lo
; %bb.77:                               ;   in Loop: Header=BB36_4 Depth=1
	s_wait_alu 0xfffe
	s_or_saveexec_b32 s64, s64
	v_dual_mov_b32 v2, 0 :: v_dual_mov_b32 v3, v103
	s_wait_alu 0xfffe
	s_xor_b32 exec_lo, exec_lo, s64
	s_cbranch_execz .LBB36_79
; %bb.78:                               ;   in Loop: Header=BB36_4 Depth=1
	ds_load_b64 v[4:5], v172 offset:264
	v_mov_b32_e32 v3, v106
	s_or_b32 s22, s22, exec_lo
	s_wait_dscnt 0x0
	v_xor_b32_e32 v2, 0x80000000, v5
	ds_store_b32 v106, v4
.LBB36_79:                              ;   in Loop: Header=BB36_4 Depth=1
	s_or_b32 exec_lo, exec_lo, s64
	s_wait_alu 0xfffe
	s_and_saveexec_b32 s64, s22
; %bb.80:                               ;   in Loop: Header=BB36_4 Depth=1
	ds_store_b32 v3, v2 offset:4
; %bb.81:                               ;   in Loop: Header=BB36_4 Depth=1
	s_wait_alu 0xfffe
	s_or_b32 exec_lo, exec_lo, s64
	s_mov_b32 s22, 0
	s_and_saveexec_b32 s64, s12
	s_wait_alu 0xfffe
	s_xor_b32 s64, exec_lo, s64
; %bb.82:                               ;   in Loop: Header=BB36_4 Depth=1
	s_and_b32 s22, s13, exec_lo
; %bb.83:                               ;   in Loop: Header=BB36_4 Depth=1
	s_wait_alu 0xfffe
	s_or_saveexec_b32 s64, s64
	v_dual_mov_b32 v2, 0 :: v_dual_mov_b32 v3, v103
	s_wait_alu 0xfffe
	s_xor_b32 exec_lo, exec_lo, s64
	s_cbranch_execz .LBB36_85
; %bb.84:                               ;   in Loop: Header=BB36_4 Depth=1
	ds_load_b64 v[4:5], v172 offset:528
	v_mov_b32_e32 v3, v108
	s_or_b32 s22, s22, exec_lo
	s_wait_dscnt 0x0
	v_xor_b32_e32 v2, 0x80000000, v5
	ds_store_b32 v108, v4
.LBB36_85:                              ;   in Loop: Header=BB36_4 Depth=1
	s_or_b32 exec_lo, exec_lo, s64
	s_wait_alu 0xfffe
	s_and_saveexec_b32 s64, s22
; %bb.86:                               ;   in Loop: Header=BB36_4 Depth=1
	ds_store_b32 v3, v2 offset:4
; %bb.87:                               ;   in Loop: Header=BB36_4 Depth=1
	s_wait_alu 0xfffe
	s_or_b32 exec_lo, exec_lo, s64
	s_wait_loadcnt_dscnt 0x0
	s_barrier_signal -1
	s_barrier_wait -1
	global_inv scope:SCOPE_SE
	ds_load_b64 v[10:11], v171
	ds_load_b128 v[2:5], v109 offset:256
	ds_load_2addr_b64 v[6:9], v172 offset1:33
	ds_load_b128 v[14:17], v109 offset:272
	ds_load_b64 v[18:19], v172 offset:528
	s_wait_loadcnt_dscnt 0x0
	s_barrier_signal -1
	s_barrier_wait -1
	global_inv scope:SCOPE_SE
	v_mul_f32_e32 v20, v3, v11
	v_dual_mul_f32 v11, v2, v11 :: v_dual_mul_f32 v22, v15, v9
	v_mul_f32_e32 v9, v14, v9
	s_delay_alu instid0(VALU_DEP_3) | instskip(SKIP_1) | instid1(VALU_DEP_4)
	v_fma_f32 v2, v2, v10, -v20
	v_mul_f32_e32 v21, v5, v7
	v_fmac_f32_e32 v11, v3, v10
	s_delay_alu instid0(VALU_DEP_4) | instskip(SKIP_3) | instid1(VALU_DEP_1)
	v_fmac_f32_e32 v9, v15, v8
	v_fma_f32 v10, v14, v8, -v22
	v_dual_add_f32 v2, 0, v2 :: v_dual_mul_f32 v7, v4, v7
	v_fma_f32 v4, v4, v6, -v21
	v_dual_add_f32 v2, v2, v4 :: v_dual_fmac_f32 v7, v5, v6
	v_mul_f32_e32 v6, v16, v19
	v_add_f32_e32 v5, 0, v11
	s_delay_alu instid0(VALU_DEP_3) | instskip(NEXT) | instid1(VALU_DEP_3)
	v_dual_mul_f32 v3, v17, v19 :: v_dual_add_f32 v2, v2, v10
	v_fmac_f32_e32 v6, v17, v18
	s_delay_alu instid0(VALU_DEP_3) | instskip(NEXT) | instid1(VALU_DEP_3)
	v_add_f32_e32 v4, v5, v7
	v_fma_f32 v3, v16, v18, -v3
	s_delay_alu instid0(VALU_DEP_2) | instskip(NEXT) | instid1(VALU_DEP_1)
	v_add_f32_e32 v4, v4, v9
	v_dual_add_f32 v2, v2, v3 :: v_dual_add_f32 v3, v4, v6
	ds_store_b64 v110, v[2:3]
	s_wait_loadcnt_dscnt 0x0
	s_barrier_signal -1
	s_barrier_wait -1
	global_inv scope:SCOPE_SE
	s_and_saveexec_b32 s22, s20
	s_cbranch_execz .LBB36_89
; %bb.88:                               ;   in Loop: Header=BB36_4 Depth=1
	ds_load_2addr_b64 v[2:5], v107 offset1:7
	ds_load_2addr_b64 v[6:9], v107 offset0:1 offset1:2
	ds_load_2addr_b64 v[14:17], v107 offset0:3 offset1:4
	;; [unrolled: 1-line block ×3, first 2 shown]
	s_wait_dscnt 0x2
	v_dual_add_f32 v2, v6, v2 :: v_dual_add_f32 v3, v7, v3
	s_delay_alu instid0(VALU_DEP_1) | instskip(SKIP_1) | instid1(VALU_DEP_1)
	v_dual_add_f32 v2, v8, v2 :: v_dual_add_f32 v3, v9, v3
	s_wait_dscnt 0x1
	v_dual_add_f32 v2, v2, v14 :: v_dual_add_f32 v3, v3, v15
	s_delay_alu instid0(VALU_DEP_1) | instskip(SKIP_1) | instid1(VALU_DEP_1)
	v_dual_add_f32 v2, v2, v16 :: v_dual_add_f32 v3, v3, v17
	s_wait_dscnt 0x0
	v_dual_add_f32 v2, v2, v18 :: v_dual_add_f32 v3, v3, v19
	s_delay_alu instid0(VALU_DEP_1) | instskip(NEXT) | instid1(VALU_DEP_1)
	v_dual_add_f32 v2, v2, v20 :: v_dual_add_f32 v3, v3, v21
	v_dual_add_f32 v66, v2, v4 :: v_dual_add_f32 v67, v3, v5
.LBB36_89:                              ;   in Loop: Header=BB36_4 Depth=1
	s_wait_alu 0xfffe
	s_or_b32 exec_lo, exec_lo, s22
	v_add_co_u32 v2, vcc_lo, 0xffffff00, v0
	s_wait_alu 0xfffd
	v_add_co_ci_u32_e64 v3, null, -1, v1, vcc_lo
	s_and_b32 vcc_lo, exec_lo, s69
	s_mov_b32 s22, -1
	s_wait_loadcnt 0x0
	s_barrier_signal -1
	s_barrier_wait -1
	global_inv scope:SCOPE_SE
                                        ; implicit-def: $vgpr14_vgpr15
	s_wait_alu 0xfffe
	s_cbranch_vccz .LBB36_101
; %bb.90:                               ;   in Loop: Header=BB36_4 Depth=1
	s_and_saveexec_b32 s22, s16
	s_wait_alu 0xfffe
	s_xor_b32 s22, exec_lo, s22
; %bb.91:                               ;   in Loop: Header=BB36_4 Depth=1
	v_mov_b32_e32 v57, v56
	ds_store_b64 v169, v[56:57]
; %bb.92:                               ;   in Loop: Header=BB36_4 Depth=1
	s_wait_alu 0xfffe
	s_or_saveexec_b32 s22, s22
	v_add_co_u32 v4, vcc_lo, v0, v64
	s_wait_alu 0xfffd
	v_add_co_ci_u32_e64 v5, null, v1, v65, vcc_lo
	s_lshl_b64 s[64:65], s[40:41], 3
	s_wait_alu 0xfffe
	v_add_co_u32 v4, vcc_lo, v4, s64
	s_wait_alu 0xfffd
	v_add_co_ci_u32_e64 v5, null, s65, v5, vcc_lo
	s_delay_alu instid0(VALU_DEP_2) | instskip(SKIP_1) | instid1(VALU_DEP_2)
	v_add_co_u32 v4, vcc_lo, 0xfffffef8, v4
	s_wait_alu 0xfffd
	v_add_co_ci_u32_e64 v5, null, -1, v5, vcc_lo
	s_delay_alu instid0(VALU_DEP_2) | instskip(NEXT) | instid1(VALU_DEP_2)
	v_cndmask_b32_e64 v4, v4, v2, s1
	v_cndmask_b32_e64 v5, v5, v3, s1
	s_xor_b32 exec_lo, exec_lo, s22
	s_cbranch_execnz .LBB36_183
; %bb.93:                               ;   in Loop: Header=BB36_4 Depth=1
	s_or_b32 exec_lo, exec_lo, s22
	s_and_saveexec_b32 s22, s17
	s_wait_alu 0xfffe
	s_xor_b32 s22, exec_lo, s22
	s_cbranch_execnz .LBB36_184
.LBB36_94:                              ;   in Loop: Header=BB36_4 Depth=1
	s_wait_alu 0xfffe
	s_and_not1_saveexec_b32 s22, s22
	s_cbranch_execnz .LBB36_185
.LBB36_95:                              ;   in Loop: Header=BB36_4 Depth=1
	s_wait_alu 0xfffe
	s_or_b32 exec_lo, exec_lo, s22
	s_and_saveexec_b32 s22, s18
	s_wait_alu 0xfffe
	s_xor_b32 s22, exec_lo, s22
	s_cbranch_execnz .LBB36_186
.LBB36_96:                              ;   in Loop: Header=BB36_4 Depth=1
	s_wait_alu 0xfffe
	s_and_not1_saveexec_b32 s22, s22
	s_cbranch_execnz .LBB36_187
.LBB36_97:                              ;   in Loop: Header=BB36_4 Depth=1
	s_wait_alu 0xfffe
	s_or_b32 exec_lo, exec_lo, s22
	s_and_saveexec_b32 s22, s19
	s_wait_alu 0xfffe
	s_xor_b32 s22, exec_lo, s22
	s_cbranch_execnz .LBB36_188
.LBB36_98:                              ;   in Loop: Header=BB36_4 Depth=1
	s_wait_alu 0xfffe
	s_and_not1_saveexec_b32 s22, s22
	s_cbranch_execz .LBB36_100
.LBB36_99:                              ;   in Loop: Header=BB36_4 Depth=1
	v_add_co_u32 v6, vcc_lo, v4, s50
	s_wait_alu 0xfffd
	v_add_co_ci_u32_e64 v7, null, s51, v5, vcc_lo
	flat_load_b64 v[6:7], v[6:7]
	s_wait_loadcnt_dscnt 0x0
	ds_store_b64 v169, v[6:7] offset:6336
.LBB36_100:                             ;   in Loop: Header=BB36_4 Depth=1
	s_wait_alu 0xfffe
	s_or_b32 exec_lo, exec_lo, s22
	v_add_co_u32 v4, vcc_lo, v4, v170
	s_wait_alu 0xfffd
	v_add_co_ci_u32_e64 v5, null, 0, v5, vcc_lo
	s_lshl_b64 s[64:65], s[52:53], 3
	s_mov_b32 s22, 0
	s_wait_alu 0xfffe
	v_add_co_u32 v4, vcc_lo, v4, s64
	s_wait_alu 0xfffd
	v_add_co_ci_u32_e64 v5, null, s65, v5, vcc_lo
	s_delay_alu instid0(VALU_DEP_2) | instskip(SKIP_1) | instid1(VALU_DEP_2)
	v_add_co_u32 v4, vcc_lo, v4, 8
	s_wait_alu 0xfffd
	v_add_co_ci_u32_e64 v5, null, 0, v5, vcc_lo
	s_delay_alu instid0(VALU_DEP_2) | instskip(NEXT) | instid1(VALU_DEP_2)
	v_cndmask_b32_e64 v14, v4, v2, s1
	v_cndmask_b32_e64 v15, v5, v3, s1
.LBB36_101:                             ;   in Loop: Header=BB36_4 Depth=1
	s_and_b32 vcc_lo, exec_lo, s22
	s_wait_alu 0xfffe
	s_cbranch_vccz .LBB36_103
; %bb.102:                              ;   in Loop: Header=BB36_4 Depth=1
	v_add_co_u32 v4, vcc_lo, v0, s46
	s_wait_alu 0xfffd
	v_add_co_ci_u32_e64 v5, null, s47, v1, vcc_lo
	v_dual_mov_b32 v15, v3 :: v_dual_mov_b32 v14, v2
	s_delay_alu instid0(VALU_DEP_3) | instskip(SKIP_1) | instid1(VALU_DEP_3)
	v_add_co_u32 v6, vcc_lo, v4, s46
	s_wait_alu 0xfffd
	v_add_co_ci_u32_e64 v7, null, s47, v5, vcc_lo
	s_delay_alu instid0(VALU_DEP_2) | instskip(SKIP_1) | instid1(VALU_DEP_2)
	v_add_co_u32 v8, vcc_lo, v6, s46
	s_wait_alu 0xfffd
	v_add_co_ci_u32_e64 v9, null, s47, v7, vcc_lo
	s_clause 0x3
	flat_load_b64 v[0:1], v[0:1] offset:-256
	flat_load_b64 v[4:5], v[4:5] offset:-256
	;; [unrolled: 1-line block ×4, first 2 shown]
	s_wait_loadcnt_dscnt 0x303
	ds_store_b64 v169, v[0:1]
	s_wait_loadcnt_dscnt 0x203
	ds_store_b64 v169, v[4:5] offset:2112
	s_wait_loadcnt_dscnt 0x103
	ds_store_b64 v169, v[6:7] offset:4224
	;; [unrolled: 2-line block ×3, first 2 shown]
.LBB36_103:                             ;   in Loop: Header=BB36_4 Depth=1
	v_add_nc_u32_e32 v0, v104, v111
	v_add_nc_u32_e32 v1, v109, v111
	s_wait_loadcnt_dscnt 0x0
	s_barrier_signal -1
	s_barrier_wait -1
	global_inv scope:SCOPE_SE
	ds_load_2addr_b64 v[20:23], v110 offset0:8 offset1:16
	ds_load_2addr_b64 v[24:27], v135 offset0:8 offset1:16
	ds_load_b64 v[28:29], v0
	ds_load_b64 v[30:31], v1
	ds_load_b64 v[32:33], v110 offset:192
	ds_load_b64 v[34:35], v135 offset:192
	ds_load_b128 v[8:11], v109 offset:256
	ds_load_b128 v[0:3], v109 offset:272
	ds_load_2addr_b64 v[4:7], v172 offset1:33
	ds_load_b64 v[18:19], v171
	ds_load_b64 v[16:17], v172 offset:528
	s_wait_loadcnt_dscnt 0x0
	s_barrier_signal -1
	s_barrier_wait -1
	global_inv scope:SCOPE_SE
	v_mul_f32_e32 v36, v21, v25
	v_dual_mul_f32 v21, v21, v24 :: v_dual_mul_f32 v38, v23, v27
	v_mul_f32_e32 v37, v29, v31
	v_mul_f32_e32 v29, v29, v30
	s_delay_alu instid0(VALU_DEP_4) | instskip(NEXT) | instid1(VALU_DEP_4)
	v_dual_mul_f32 v23, v23, v26 :: v_dual_fmac_f32 v36, v20, v24
	v_fmac_f32_e32 v38, v22, v26
	s_delay_alu instid0(VALU_DEP_4) | instskip(NEXT) | instid1(VALU_DEP_4)
	v_fmac_f32_e32 v37, v28, v30
	v_fma_f32 v28, v28, v31, -v29
	v_fma_f32 v20, v20, v25, -v21
	v_mul_f32_e32 v26, v33, v34
	v_fma_f32 v22, v22, v27, -v23
	s_delay_alu instid0(VALU_DEP_4) | instskip(SKIP_1) | instid1(VALU_DEP_4)
	v_dual_add_f32 v24, 0, v28 :: v_dual_add_f32 v21, 0, v37
	v_mul_f32_e32 v25, v33, v35
	v_fma_f32 v23, v32, v35, -v26
	s_delay_alu instid0(VALU_DEP_3) | instskip(NEXT) | instid1(VALU_DEP_4)
	v_add_f32_e32 v20, v24, v20
	v_add_f32_e32 v21, v21, v36
	s_delay_alu instid0(VALU_DEP_4) | instskip(NEXT) | instid1(VALU_DEP_3)
	v_fmac_f32_e32 v25, v32, v34
	v_add_f32_e32 v22, v20, v22
	s_delay_alu instid0(VALU_DEP_3) | instskip(NEXT) | instid1(VALU_DEP_1)
	v_add_f32_e32 v21, v21, v38
	v_dual_add_f32 v20, v21, v25 :: v_dual_add_f32 v21, v22, v23
	ds_store_b64 v110, v[20:21]
	s_wait_loadcnt_dscnt 0x0
	s_barrier_signal -1
	s_barrier_wait -1
	global_inv scope:SCOPE_SE
	s_and_saveexec_b32 s22, s20
	s_cbranch_execz .LBB36_105
; %bb.104:                              ;   in Loop: Header=BB36_4 Depth=1
	ds_load_2addr_b64 v[20:23], v107 offset1:1
	ds_load_2addr_b64 v[24:27], v107 offset0:2 offset1:3
	ds_load_2addr_b64 v[28:31], v107 offset0:4 offset1:5
	s_wait_dscnt 0x2
	v_dual_add_f32 v20, v66, v20 :: v_dual_add_f32 v21, v67, v21
	s_delay_alu instid0(VALU_DEP_1) | instskip(SKIP_3) | instid1(VALU_DEP_1)
	v_dual_add_f32 v32, v20, v22 :: v_dual_add_f32 v33, v21, v23
	ds_load_2addr_b64 v[20:23], v107 offset0:6 offset1:7
	s_wait_dscnt 0x2
	v_dual_add_f32 v24, v32, v24 :: v_dual_add_f32 v25, v33, v25
	v_dual_add_f32 v24, v24, v26 :: v_dual_add_f32 v25, v25, v27
	s_wait_dscnt 0x1
	s_delay_alu instid0(VALU_DEP_1) | instskip(NEXT) | instid1(VALU_DEP_1)
	v_dual_add_f32 v24, v24, v28 :: v_dual_add_f32 v25, v25, v29
	v_dual_add_f32 v24, v24, v30 :: v_dual_add_f32 v25, v25, v31
	s_wait_dscnt 0x0
	s_delay_alu instid0(VALU_DEP_1) | instskip(NEXT) | instid1(VALU_DEP_1)
	v_dual_add_f32 v20, v24, v20 :: v_dual_add_f32 v21, v25, v21
	v_dual_add_f32 v66, v20, v22 :: v_dual_add_f32 v67, v21, v23
.LBB36_105:                             ;   in Loop: Header=BB36_4 Depth=1
	s_wait_alu 0xfffe
	s_or_b32 exec_lo, exec_lo, s22
	v_dual_mul_f32 v20, v9, v19 :: v_dual_mul_f32 v21, v11, v5
	v_mul_f32_e32 v19, v8, v19
	v_dual_mul_f32 v5, v10, v5 :: v_dual_mul_f32 v22, v1, v7
	s_delay_alu instid0(VALU_DEP_3) | instskip(NEXT) | instid1(VALU_DEP_4)
	v_fma_f32 v8, v8, v18, -v20
	v_fma_f32 v10, v10, v4, -v21
	v_mul_f32_e32 v7, v0, v7
	s_wait_loadcnt 0x0
	v_fma_f32 v0, v0, v6, -v22
	v_add_f32_e32 v8, 0, v8
	v_fmac_f32_e32 v5, v11, v4
	v_fmac_f32_e32 v7, v1, v6
	s_barrier_signal -1
	s_barrier_wait -1
	v_add_f32_e32 v8, v8, v10
	v_fmac_f32_e32 v19, v9, v18
	global_inv scope:SCOPE_SE
	v_dual_add_f32 v0, v8, v0 :: v_dual_mul_f32 v9, v3, v17
	v_dual_add_f32 v4, 0, v19 :: v_dual_mul_f32 v11, v2, v17
	s_delay_alu instid0(VALU_DEP_2) | instskip(NEXT) | instid1(VALU_DEP_2)
	v_fma_f32 v2, v2, v16, -v9
	v_add_f32_e32 v1, v4, v5
	s_delay_alu instid0(VALU_DEP_2) | instskip(NEXT) | instid1(VALU_DEP_2)
	v_dual_add_f32 v0, v0, v2 :: v_dual_fmac_f32 v11, v3, v16
	v_add_f32_e32 v1, v1, v7
	s_delay_alu instid0(VALU_DEP_1)
	v_add_f32_e32 v1, v1, v11
	ds_store_b64 v110, v[0:1]
	s_wait_loadcnt_dscnt 0x0
	s_barrier_signal -1
	s_barrier_wait -1
	global_inv scope:SCOPE_SE
	s_and_saveexec_b32 s22, s14
	s_cbranch_execz .LBB36_107
; %bb.106:                              ;   in Loop: Header=BB36_4 Depth=1
	ds_load_2addr_b64 v[0:3], v107 offset1:1
	ds_load_2addr_b64 v[4:7], v107 offset0:2 offset1:3
	ds_load_2addr_b64 v[8:11], v107 offset0:4 offset1:5
	s_wait_dscnt 0x2
	v_dual_add_f32 v0, v66, v0 :: v_dual_add_f32 v1, v67, v1
	s_delay_alu instid0(VALU_DEP_1) | instskip(SKIP_3) | instid1(VALU_DEP_1)
	v_dual_add_f32 v16, v0, v2 :: v_dual_add_f32 v17, v1, v3
	ds_load_2addr_b64 v[0:3], v107 offset0:6 offset1:7
	s_wait_dscnt 0x2
	v_dual_add_f32 v4, v16, v4 :: v_dual_add_f32 v5, v17, v5
	v_dual_add_f32 v4, v4, v6 :: v_dual_add_f32 v5, v5, v7
	s_wait_dscnt 0x1
	s_delay_alu instid0(VALU_DEP_1) | instskip(NEXT) | instid1(VALU_DEP_1)
	v_dual_add_f32 v4, v4, v8 :: v_dual_add_f32 v5, v5, v9
	v_dual_add_f32 v4, v4, v10 :: v_dual_add_f32 v5, v5, v11
	s_wait_dscnt 0x0
	s_delay_alu instid0(VALU_DEP_1) | instskip(NEXT) | instid1(VALU_DEP_1)
	v_dual_add_f32 v0, v4, v0 :: v_dual_add_f32 v1, v5, v1
	v_dual_add_f32 v66, v0, v2 :: v_dual_add_f32 v67, v1, v3
.LBB36_107:                             ;   in Loop: Header=BB36_4 Depth=1
	s_wait_alu 0xfffe
	s_or_b32 exec_lo, exec_lo, s22
	s_mul_u64 s[64:65], s[42:43], s[34:35]
	s_and_not1_b32 vcc_lo, exec_lo, s39
	s_wait_alu 0xfffe
	s_lshl_b64 s[64:65], s[64:65], 3
	s_wait_loadcnt 0x0
	s_wait_alu 0xfffe
	s_add_nc_u64 s[64:65], s[44:45], s[64:65]
	s_barrier_signal -1
	s_barrier_wait -1
	global_inv scope:SCOPE_SE
	s_cbranch_vccnz .LBB36_165
; %bb.108:                              ;   in Loop: Header=BB36_4 Depth=1
	v_add_co_u32 v173, vcc_lo, v12, s62
	s_wait_alu 0xfffd
	v_add_co_ci_u32_e64 v174, null, s63, v13, vcc_lo
	v_add_co_u32 v175, vcc_lo, v14, v137
	s_wait_alu 0xfffd
	v_add_co_ci_u32_e64 v176, null, v15, v136, vcc_lo
	;; [unrolled: 3-line block ×17, first 2 shown]
	s_mov_b32 s75, ttmp9
	s_mov_b32 s66, s73
	s_cmp_eq_u32 s71, s75
	s_cselect_b32 s76, s68, 0
	s_and_saveexec_b32 s22, s0
	s_cbranch_execz .LBB36_113
.LBB36_109:                             ;   in Loop: Header=BB36_4 Depth=1
	s_wait_alu 0xfffe
	v_cmp_le_i32_e32 vcc_lo, s76, v100
	s_cmp_lg_u32 s76, 0
	s_cselect_b32 s67, -1, 0
	s_wait_alu 0xfffe
	s_and_b32 s67, s67, vcc_lo
	s_wait_alu 0xfffe
	s_and_saveexec_b32 s77, s67
	s_wait_alu 0xfffe
	s_xor_b32 s67, exec_lo, s77
; %bb.110:                              ;   in Loop: Header=BB36_4 Depth=1
	v_mov_b32_e32 v57, v56
	ds_store_b64 v113, v[56:57]
; %bb.111:                              ;   in Loop: Header=BB36_4 Depth=1
	s_wait_alu 0xfffe
	s_and_not1_saveexec_b32 s67, s67
	s_cbranch_execz .LBB36_113
; %bb.112:                              ;   in Loop: Header=BB36_4 Depth=1
	s_ashr_i32 s67, s66, 31
	s_wait_alu 0xfffe
	s_mul_u64 s[78:79], s[36:37], s[66:67]
	s_wait_alu 0xfffe
	s_lshl_b64 s[78:79], s[78:79], 3
	s_wait_alu 0xfffe
	v_add_co_u32 v0, vcc_lo, v173, s78
	s_wait_alu 0xfffd
	v_add_co_ci_u32_e64 v1, null, s79, v174, vcc_lo
	flat_load_b64 v[0:1], v[0:1]
	s_wait_loadcnt_dscnt 0x0
	ds_store_b64 v113, v[0:1]
.LBB36_113:                             ;   Parent Loop BB36_4 Depth=1
                                        ; =>  This Inner Loop Header: Depth=2
	s_wait_alu 0xfffe
	s_or_b32 exec_lo, exec_lo, s22
	s_cmp_eq_u32 s76, 0
	v_add_co_u32 v0, vcc_lo, v183, v101
	s_cselect_b32 s67, -1, 0
	s_cmp_lg_u32 s76, 0
	s_wait_alu 0xfffd
	v_add_co_ci_u32_e64 v1, null, 0, v184, vcc_lo
	s_cselect_b32 s22, -1, 0
	s_wait_loadcnt_dscnt 0x0
	s_wait_alu 0xfffe
	s_and_b32 vcc_lo, exec_lo, s22
	s_barrier_signal -1
	s_barrier_wait -1
	global_inv scope:SCOPE_SE
	s_wait_alu 0xfffe
	s_cbranch_vccz .LBB36_121
; %bb.114:                              ;   in Loop: Header=BB36_113 Depth=2
	v_dual_mov_b32 v70, 0 :: v_dual_mov_b32 v69, 0
	v_mov_b32_e32 v68, 0
	s_mov_b32 s77, exec_lo
	v_cmpx_gt_i32_e64 s76, v112
	s_cbranch_execz .LBB36_116
; %bb.115:                              ;   in Loop: Header=BB36_113 Depth=2
	flat_load_b64 v[68:69], v[0:1]
.LBB36_116:                             ;   in Loop: Header=BB36_113 Depth=2
	s_wait_alu 0xfffe
	s_or_b32 exec_lo, exec_lo, s77
	v_mov_b32_e32 v71, 0
	s_mov_b32 s77, exec_lo
	v_cmpx_gt_i32_e64 s76, v119
	s_cbranch_execz .LBB36_118
; %bb.117:                              ;   in Loop: Header=BB36_113 Depth=2
	v_add_co_u32 v2, vcc_lo, v179, v101
	s_wait_alu 0xfffd
	v_add_co_ci_u32_e64 v3, null, 0, v180, vcc_lo
	flat_load_b64 v[70:71], v[2:3]
.LBB36_118:                             ;   in Loop: Header=BB36_113 Depth=2
	s_wait_alu 0xfffe
	s_or_b32 exec_lo, exec_lo, s77
	v_dual_mov_b32 v72, 0 :: v_dual_mov_b32 v73, 0
	s_mov_b32 s77, exec_lo
	v_cmpx_gt_i32_e64 s76, v120
	s_cbranch_execz .LBB36_120
; %bb.119:                              ;   in Loop: Header=BB36_113 Depth=2
	v_add_co_u32 v2, vcc_lo, v175, v101
	s_wait_alu 0xfffd
	v_add_co_ci_u32_e64 v3, null, 0, v176, vcc_lo
	flat_load_b64 v[72:73], v[2:3] offset:-4
.LBB36_120:                             ;   in Loop: Header=BB36_113 Depth=2
	s_wait_alu 0xfffe
	s_or_b32 exec_lo, exec_lo, s77
	v_cmp_gt_i32_e64 s77, s76, v121
	s_branch .LBB36_123
.LBB36_121:                             ;   in Loop: Header=BB36_113 Depth=2
	s_mov_b32 s77, 0
                                        ; implicit-def: $vgpr69
                                        ; implicit-def: $vgpr71
                                        ; implicit-def: $vgpr73
	s_cbranch_execz .LBB36_123
; %bb.122:                              ;   in Loop: Header=BB36_113 Depth=2
	v_add_co_u32 v2, vcc_lo, v179, v101
	s_wait_alu 0xfffd
	v_add_co_ci_u32_e64 v3, null, 0, v180, vcc_lo
	v_add_co_u32 v4, vcc_lo, v175, v101
	s_wait_alu 0xfffd
	v_add_co_ci_u32_e64 v5, null, 0, v176, vcc_lo
	s_wait_loadcnt_dscnt 0x0
	flat_load_b64 v[68:69], v[0:1]
	flat_load_b64 v[70:71], v[2:3]
	flat_load_b64 v[72:73], v[4:5] offset:-4
	s_wait_alu 0xfffe
	s_or_b32 s77, s77, exec_lo
.LBB36_123:                             ;   in Loop: Header=BB36_113 Depth=2
	v_dual_mov_b32 v74, 0 :: v_dual_mov_b32 v75, 0
	s_wait_alu 0xfffe
	s_delay_alu instid0(VALU_DEP_2)
	s_and_saveexec_b32 s78, s77
	s_cbranch_execz .LBB36_125
; %bb.124:                              ;   in Loop: Header=BB36_113 Depth=2
	v_add_co_u32 v0, vcc_lo, v187, v101
	s_wait_alu 0xfffd
	v_add_co_ci_u32_e64 v1, null, 0, v188, vcc_lo
	flat_load_b64 v[74:75], v[0:1]
.LBB36_125:                             ;   in Loop: Header=BB36_113 Depth=2
	s_wait_alu 0xfffe
	s_or_b32 exec_lo, exec_lo, s78
	ds_load_b64 v[4:5], v102
	ds_load_b128 v[0:3], v114
	v_cndmask_b32_e64 v40, 0, 1, s22
	s_wait_loadcnt_dscnt 0x1
	v_dual_mul_f32 v8, v69, v5 :: v_dual_mul_f32 v7, v71, v4
	v_mul_f32_e32 v6, v69, v4
	v_dual_mul_f32 v10, v71, v5 :: v_dual_mul_f32 v13, v73, v4
	v_dual_mul_f32 v12, v73, v5 :: v_dual_mul_f32 v15, v75, v4
	v_mul_f32_e32 v14, v75, v5
	v_fmac_f32_e32 v8, v68, v4
	v_fma_f32 v9, v68, v5, -v6
	v_fmac_f32_e32 v10, v70, v4
	v_fma_f32 v11, v70, v5, -v7
	;; [unrolled: 2-line block ×4, first 2 shown]
	ds_load_b128 v[4:7], v114 offset:16
	ds_store_2addr_b64 v115, v[8:9], v[10:11] offset1:67
	ds_store_2addr_b64 v115, v[12:13], v[14:15] offset0:134 offset1:201
	s_wait_dscnt 0x0
	s_barrier_signal -1
	s_barrier_wait -1
	global_inv scope:SCOPE_SE
	ds_load_2addr_b64 v[16:19], v116 offset1:1
	ds_load_2addr_b64 v[8:11], v116 offset0:2 offset1:3
	v_add_co_u32 v12, vcc_lo, v199, v101
	s_wait_alu 0xfffd
	v_add_co_ci_u32_e64 v13, null, 0, v200, vcc_lo
	s_and_not1_b32 vcc_lo, exec_lo, s22
	s_wait_loadcnt_dscnt 0x0
	s_barrier_signal -1
	s_barrier_wait -1
	global_inv scope:SCOPE_SE
	s_wait_alu 0xfffe
	s_cbranch_vccnz .LBB36_133
; %bb.126:                              ;   in Loop: Header=BB36_113 Depth=2
	v_dual_mov_b32 v76, 0 :: v_dual_mov_b32 v79, 0
	v_mov_b32_e32 v78, 0
	s_mov_b32 s22, exec_lo
	v_cmpx_gt_i32_e64 s76, v122
	s_cbranch_execz .LBB36_128
; %bb.127:                              ;   in Loop: Header=BB36_113 Depth=2
	flat_load_b64 v[78:79], v[12:13]
.LBB36_128:                             ;   in Loop: Header=BB36_113 Depth=2
	s_wait_alu 0xfffe
	s_or_b32 exec_lo, exec_lo, s22
	v_mov_b32_e32 v77, 0
	s_mov_b32 s22, exec_lo
	v_cmpx_gt_i32_e64 s76, v123
	s_cbranch_execz .LBB36_130
; %bb.129:                              ;   in Loop: Header=BB36_113 Depth=2
	v_add_co_u32 v14, vcc_lo, v195, v101
	s_wait_alu 0xfffd
	v_add_co_ci_u32_e64 v15, null, 0, v196, vcc_lo
	flat_load_b64 v[76:77], v[14:15]
.LBB36_130:                             ;   in Loop: Header=BB36_113 Depth=2
	s_wait_alu 0xfffe
	s_or_b32 exec_lo, exec_lo, s22
	v_dual_mov_b32 v80, 0 :: v_dual_mov_b32 v81, 0
	s_mov_b32 s22, exec_lo
	v_cmpx_gt_i32_e64 s76, v124
	s_cbranch_execz .LBB36_132
; %bb.131:                              ;   in Loop: Header=BB36_113 Depth=2
	v_add_co_u32 v14, vcc_lo, v191, v101
	s_wait_alu 0xfffd
	v_add_co_ci_u32_e64 v15, null, 0, v192, vcc_lo
	flat_load_b64 v[80:81], v[14:15] offset:-4
.LBB36_132:                             ;   in Loop: Header=BB36_113 Depth=2
	s_wait_alu 0xfffe
	s_or_b32 exec_lo, exec_lo, s22
	v_cmp_gt_i32_e64 s22, s76, v125
	s_branch .LBB36_135
.LBB36_133:                             ;   in Loop: Header=BB36_113 Depth=2
	s_mov_b32 s22, 0
                                        ; implicit-def: $vgpr79
                                        ; implicit-def: $vgpr77
                                        ; implicit-def: $vgpr81
	s_cbranch_execz .LBB36_135
; %bb.134:                              ;   in Loop: Header=BB36_113 Depth=2
	v_add_co_u32 v14, vcc_lo, v195, v101
	s_wait_alu 0xfffd
	v_add_co_ci_u32_e64 v15, null, 0, v196, vcc_lo
	v_add_co_u32 v20, vcc_lo, v191, v101
	s_wait_alu 0xfffd
	v_add_co_ci_u32_e64 v21, null, 0, v192, vcc_lo
	s_wait_loadcnt_dscnt 0x0
	flat_load_b64 v[78:79], v[12:13]
	flat_load_b64 v[76:77], v[14:15]
	flat_load_b64 v[80:81], v[20:21] offset:-4
	s_wait_alu 0xfffe
	s_or_b32 s22, s22, exec_lo
.LBB36_135:                             ;   in Loop: Header=BB36_113 Depth=2
	v_dual_mov_b32 v82, 0 :: v_dual_mov_b32 v83, 0
	s_wait_alu 0xfffe
	s_delay_alu instid0(VALU_DEP_2)
	s_and_saveexec_b32 s77, s22
	s_cbranch_execz .LBB36_137
; %bb.136:                              ;   in Loop: Header=BB36_113 Depth=2
	v_add_co_u32 v12, vcc_lo, v203, v101
	s_wait_alu 0xfffd
	v_add_co_ci_u32_e64 v13, null, 0, v204, vcc_lo
	flat_load_b64 v[82:83], v[12:13]
.LBB36_137:                             ;   in Loop: Header=BB36_113 Depth=2
	s_wait_alu 0xfffe
	s_or_b32 exec_lo, exec_lo, s77
	ds_load_b64 v[20:21], v102
	ds_load_b128 v[12:15], v114 offset:128
	v_cmp_ne_u32_e32 vcc_lo, 1, v40
	s_and_b32 vcc_lo, exec_lo, vcc_lo
	s_wait_loadcnt_dscnt 0x1
	v_dual_mul_f32 v24, v79, v21 :: v_dual_mul_f32 v23, v77, v20
	v_mul_f32_e32 v22, v79, v20
	v_dual_mul_f32 v26, v77, v21 :: v_dual_mul_f32 v31, v83, v20
	v_mul_f32_e32 v28, v81, v21
	v_dual_mul_f32 v29, v81, v20 :: v_dual_mul_f32 v30, v83, v21
	v_fmac_f32_e32 v24, v78, v20
	v_fma_f32 v25, v78, v21, -v22
	v_fmac_f32_e32 v26, v76, v20
	v_fma_f32 v27, v76, v21, -v23
	;; [unrolled: 2-line block ×4, first 2 shown]
	ds_load_b128 v[20:23], v114 offset:144
	ds_store_2addr_b64 v115, v[24:25], v[26:27] offset1:67
	ds_store_2addr_b64 v115, v[28:29], v[30:31] offset0:134 offset1:201
	s_wait_dscnt 0x0
	s_barrier_signal -1
	s_barrier_wait -1
	global_inv scope:SCOPE_SE
	ds_load_2addr_b64 v[36:39], v116 offset1:1
	ds_load_2addr_b64 v[28:31], v116 offset0:2 offset1:3
	v_add_co_u32 v24, s22, v197, v101
	s_wait_alu 0xf1ff
	v_add_co_ci_u32_e64 v25, null, 0, v198, s22
	s_wait_loadcnt_dscnt 0x0
	s_barrier_signal -1
	s_barrier_wait -1
	global_inv scope:SCOPE_SE
	s_wait_alu 0xfffe
	s_cbranch_vccnz .LBB36_145
; %bb.138:                              ;   in Loop: Header=BB36_113 Depth=2
	v_dual_mov_b32 v84, 0 :: v_dual_mov_b32 v87, 0
	v_mov_b32_e32 v86, 0
	s_mov_b32 s22, exec_lo
	v_cmpx_gt_i32_e64 s76, v126
	s_cbranch_execz .LBB36_140
; %bb.139:                              ;   in Loop: Header=BB36_113 Depth=2
	flat_load_b64 v[86:87], v[24:25] offset:-4
.LBB36_140:                             ;   in Loop: Header=BB36_113 Depth=2
	s_wait_alu 0xfffe
	s_or_b32 exec_lo, exec_lo, s22
	v_mov_b32_e32 v85, 0
	s_mov_b32 s22, exec_lo
	v_cmpx_gt_i32_e64 s76, v127
	s_cbranch_execz .LBB36_142
; %bb.141:                              ;   in Loop: Header=BB36_113 Depth=2
	v_add_co_u32 v26, vcc_lo, v201, v101
	s_wait_alu 0xfffd
	v_add_co_ci_u32_e64 v27, null, 0, v202, vcc_lo
	flat_load_b64 v[84:85], v[26:27] offset:-4
.LBB36_142:                             ;   in Loop: Header=BB36_113 Depth=2
	s_wait_alu 0xfffe
	s_or_b32 exec_lo, exec_lo, s22
	v_dual_mov_b32 v88, 0 :: v_dual_mov_b32 v89, 0
	s_mov_b32 s22, exec_lo
	v_cmpx_gt_i32_e64 s76, v128
	s_cbranch_execz .LBB36_144
; %bb.143:                              ;   in Loop: Header=BB36_113 Depth=2
	v_add_co_u32 v26, vcc_lo, v205, v101
	s_wait_alu 0xfffd
	v_add_co_ci_u32_e64 v27, null, 0, v206, vcc_lo
	flat_load_b64 v[88:89], v[26:27] offset:-4
.LBB36_144:                             ;   in Loop: Header=BB36_113 Depth=2
	s_wait_alu 0xfffe
	s_or_b32 exec_lo, exec_lo, s22
	v_cmp_gt_i32_e64 s22, s76, v129
	s_branch .LBB36_147
.LBB36_145:                             ;   in Loop: Header=BB36_113 Depth=2
	s_mov_b32 s22, 0
                                        ; implicit-def: $vgpr87
                                        ; implicit-def: $vgpr85
                                        ; implicit-def: $vgpr89
	s_cbranch_execz .LBB36_147
; %bb.146:                              ;   in Loop: Header=BB36_113 Depth=2
	v_add_co_u32 v26, vcc_lo, v201, v101
	s_wait_alu 0xfffd
	v_add_co_ci_u32_e64 v27, null, 0, v202, vcc_lo
	v_add_co_u32 v32, vcc_lo, v205, v101
	s_wait_alu 0xfffd
	v_add_co_ci_u32_e64 v33, null, 0, v206, vcc_lo
	s_wait_loadcnt_dscnt 0x0
	flat_load_b64 v[86:87], v[24:25] offset:-4
	flat_load_b64 v[84:85], v[26:27] offset:-4
	;; [unrolled: 1-line block ×3, first 2 shown]
	s_wait_alu 0xfffe
	s_or_b32 s22, s22, exec_lo
.LBB36_147:                             ;   in Loop: Header=BB36_113 Depth=2
	v_dual_mov_b32 v90, 0 :: v_dual_mov_b32 v91, 0
	s_wait_alu 0xfffe
	s_delay_alu instid0(VALU_DEP_2)
	s_and_saveexec_b32 s77, s22
	s_cbranch_execz .LBB36_149
; %bb.148:                              ;   in Loop: Header=BB36_113 Depth=2
	v_add_co_u32 v24, vcc_lo, v193, v101
	s_wait_alu 0xfffd
	v_add_co_ci_u32_e64 v25, null, 0, v194, vcc_lo
	flat_load_b64 v[90:91], v[24:25] offset:-4
.LBB36_149:                             ;   in Loop: Header=BB36_113 Depth=2
	s_wait_alu 0xfffe
	s_or_b32 exec_lo, exec_lo, s77
	ds_load_b64 v[24:25], v102
	v_cmp_ne_u32_e32 vcc_lo, 1, v40
	v_add_co_u32 v40, s22, v181, v101
	s_and_b32 vcc_lo, exec_lo, vcc_lo
	s_wait_loadcnt_dscnt 0x0
	v_dual_mul_f32 v41, v87, v25 :: v_dual_mul_f32 v32, v89, v24
	v_dual_mul_f32 v26, v87, v24 :: v_dual_mul_f32 v43, v85, v25
	v_mul_f32_e32 v27, v85, v24
	v_mul_f32_e32 v45, v89, v25
	;; [unrolled: 1-line block ×4, first 2 shown]
	v_fmac_f32_e32 v41, v86, v24
	v_fma_f32 v42, v86, v25, -v26
	v_fmac_f32_e32 v43, v84, v24
	v_fma_f32 v44, v84, v25, -v27
	;; [unrolled: 2-line block ×4, first 2 shown]
	ds_load_b128 v[32:35], v114 offset:256
	ds_load_b128 v[24:27], v114 offset:272
	ds_store_2addr_b64 v115, v[41:42], v[43:44] offset1:67
	ds_store_2addr_b64 v115, v[45:46], v[47:48] offset0:134 offset1:201
	s_wait_dscnt 0x0
	s_barrier_signal -1
	s_barrier_wait -1
	global_inv scope:SCOPE_SE
	ds_load_2addr_b64 v[52:55], v116 offset1:1
	ds_load_2addr_b64 v[48:51], v116 offset0:2 offset1:3
	s_wait_alu 0xf1ff
	v_add_co_ci_u32_e64 v41, null, 0, v182, s22
	s_wait_loadcnt_dscnt 0x0
	s_barrier_signal -1
	s_barrier_wait -1
	global_inv scope:SCOPE_SE
	s_wait_alu 0xfffe
	s_cbranch_vccnz .LBB36_157
; %bb.150:                              ;   in Loop: Header=BB36_113 Depth=2
	v_dual_mov_b32 v94, 0 :: v_dual_mov_b32 v93, 0
	v_mov_b32_e32 v92, 0
	s_mov_b32 s22, exec_lo
	v_cmpx_gt_i32_e64 s76, v130
	s_cbranch_execz .LBB36_152
; %bb.151:                              ;   in Loop: Header=BB36_113 Depth=2
	flat_load_b64 v[92:93], v[40:41] offset:-4
.LBB36_152:                             ;   in Loop: Header=BB36_113 Depth=2
	s_wait_alu 0xfffe
	s_or_b32 exec_lo, exec_lo, s22
	v_mov_b32_e32 v95, 0
	s_mov_b32 s22, exec_lo
	v_cmpx_gt_i32_e64 s76, v131
	s_cbranch_execz .LBB36_154
; %bb.153:                              ;   in Loop: Header=BB36_113 Depth=2
	v_add_co_u32 v42, vcc_lo, v185, v101
	s_wait_alu 0xfffd
	v_add_co_ci_u32_e64 v43, null, 0, v186, vcc_lo
	flat_load_b64 v[94:95], v[42:43] offset:-4
.LBB36_154:                             ;   in Loop: Header=BB36_113 Depth=2
	s_wait_alu 0xfffe
	s_or_b32 exec_lo, exec_lo, s22
	v_dual_mov_b32 v96, 0 :: v_dual_mov_b32 v97, 0
	s_mov_b32 s22, exec_lo
	v_cmpx_gt_i32_e64 s76, v132
	s_cbranch_execz .LBB36_156
; %bb.155:                              ;   in Loop: Header=BB36_113 Depth=2
	v_add_co_u32 v42, vcc_lo, v189, v101
	s_wait_alu 0xfffd
	v_add_co_ci_u32_e64 v43, null, 0, v190, vcc_lo
	flat_load_b64 v[96:97], v[42:43]
.LBB36_156:                             ;   in Loop: Header=BB36_113 Depth=2
	s_wait_alu 0xfffe
	s_or_b32 exec_lo, exec_lo, s22
	v_cmp_gt_i32_e64 s22, s76, v133
	s_branch .LBB36_159
.LBB36_157:                             ;   in Loop: Header=BB36_113 Depth=2
	s_mov_b32 s22, 0
                                        ; implicit-def: $vgpr93
                                        ; implicit-def: $vgpr95
                                        ; implicit-def: $vgpr97
	s_cbranch_execz .LBB36_159
; %bb.158:                              ;   in Loop: Header=BB36_113 Depth=2
	v_add_co_u32 v42, vcc_lo, v185, v101
	s_wait_alu 0xfffd
	v_add_co_ci_u32_e64 v43, null, 0, v186, vcc_lo
	v_add_co_u32 v44, vcc_lo, v189, v101
	s_wait_alu 0xfffd
	v_add_co_ci_u32_e64 v45, null, 0, v190, vcc_lo
	s_wait_loadcnt_dscnt 0x0
	flat_load_b64 v[92:93], v[40:41] offset:-4
	flat_load_b64 v[94:95], v[42:43] offset:-4
	flat_load_b64 v[96:97], v[44:45]
	s_wait_alu 0xfffe
	s_or_b32 s22, s22, exec_lo
.LBB36_159:                             ;   in Loop: Header=BB36_113 Depth=2
	v_dual_mov_b32 v98, 0 :: v_dual_mov_b32 v99, 0
	s_wait_alu 0xfffe
	s_delay_alu instid0(VALU_DEP_2)
	s_and_saveexec_b32 s77, s22
	s_cbranch_execz .LBB36_161
; %bb.160:                              ;   in Loop: Header=BB36_113 Depth=2
	v_add_co_u32 v40, vcc_lo, v177, v101
	s_wait_alu 0xfffd
	v_add_co_ci_u32_e64 v41, null, 0, v178, vcc_lo
	flat_load_b64 v[98:99], v[40:41] offset:-4
.LBB36_161:                             ;   in Loop: Header=BB36_113 Depth=2
	s_wait_alu 0xfffe
	s_or_b32 exec_lo, exec_lo, s77
	ds_load_b64 v[44:45], v102
	ds_load_b128 v[40:43], v114 offset:384
	v_dual_add_f32 v53, 0, v53 :: v_dual_add_f32 v16, 0, v16
	v_cmp_gt_i32_e32 vcc_lo, s76, v100
	v_add_f32_e32 v52, 0, v52
	v_add_f32_e32 v36, 0, v36
	s_delay_alu instid0(VALU_DEP_4)
	v_add_f32_e32 v16, v16, v18
	s_or_b32 s22, s67, vcc_lo
	s_wait_alu 0xfffe
	s_and_b32 s67, s21, s22
	v_dual_add_f32 v36, v36, v38 :: v_dual_add_f32 v17, 0, v17
	v_add_f32_e32 v38, v16, v8
	s_delay_alu instid0(VALU_DEP_2) | instskip(SKIP_1) | instid1(VALU_DEP_2)
	v_dual_add_f32 v28, v36, v28 :: v_dual_add_f32 v17, v17, v19
	s_wait_loadcnt_dscnt 0x1
	v_dual_add_f32 v10, v38, v10 :: v_dual_mul_f32 v211, v97, v45
	v_mul_f32_e32 v57, v97, v44
	v_dual_mul_f32 v207, v93, v45 :: v_dual_mul_f32 v214, v99, v44
	v_dual_mul_f32 v46, v93, v44 :: v_dual_mul_f32 v209, v95, v45
	v_mul_f32_e32 v47, v95, v44
	v_mul_f32_e32 v213, v99, v45
	v_fma_f32 v212, v96, v45, -v57
	v_add_f32_e32 v57, v52, v54
	v_fma_f32 v208, v92, v45, -v46
	v_fmac_f32_e32 v209, v94, v44
	v_fma_f32 v210, v94, v45, -v47
	s_delay_alu instid0(VALU_DEP_4)
	v_dual_add_f32 v37, 0, v37 :: v_dual_add_f32 v18, v57, v48
	v_fmac_f32_e32 v207, v92, v44
	v_fmac_f32_e32 v211, v96, v44
	;; [unrolled: 1-line block ×3, first 2 shown]
	v_fma_f32 v214, v98, v45, -v214
	ds_load_b128 v[44:47], v114 offset:400
	v_dual_add_f32 v37, v37, v39 :: v_dual_add_f32 v8, v18, v50
	ds_store_2addr_b64 v115, v[207:208], v[209:210] offset1:67
	ds_store_2addr_b64 v115, v[211:212], v[213:214] offset0:134 offset1:201
	s_wait_dscnt 0x0
	s_barrier_signal -1
	s_barrier_wait -1
	global_inv scope:SCOPE_SE
	ds_load_2addr_b64 v[207:210], v116 offset1:1
	v_dual_add_f32 v211, v53, v55 :: v_dual_add_f32 v16, v28, v30
	ds_load_2addr_b64 v[52:55], v116 offset0:2 offset1:3
	v_add_f32_e32 v29, v37, v29
	v_add_f32_e32 v39, v17, v9
	s_wait_loadcnt_dscnt 0x0
	s_barrier_signal -1
	s_barrier_wait -1
	v_add_f32_e32 v17, v29, v31
	v_add_f32_e32 v11, v39, v11
	global_inv scope:SCOPE_SE
	v_dual_add_f32 v36, 0, v207 :: v_dual_add_f32 v37, 0, v208
	s_delay_alu instid0(VALU_DEP_1) | instskip(NEXT) | instid1(VALU_DEP_2)
	v_add_f32_e32 v18, v36, v209
	v_add_f32_e32 v36, v37, v210
	s_delay_alu instid0(VALU_DEP_2) | instskip(NEXT) | instid1(VALU_DEP_1)
	v_dual_add_f32 v18, v18, v52 :: v_dual_add_f32 v19, v211, v49
	v_dual_add_f32 v18, v18, v54 :: v_dual_add_f32 v9, v19, v51
	s_delay_alu instid0(VALU_DEP_3) | instskip(NEXT) | instid1(VALU_DEP_1)
	v_add_f32_e32 v19, v36, v53
	v_add_f32_e32 v19, v19, v55
	ds_store_2addr_b64 v168, v[10:11], v[16:17] offset1:16
	ds_store_2addr_b64 v168, v[8:9], v[18:19] offset0:32 offset1:48
	s_wait_loadcnt_dscnt 0x0
	s_barrier_signal -1
	s_barrier_wait -1
	global_inv scope:SCOPE_SE
	s_wait_alu 0xfffe
	s_and_saveexec_b32 s22, s67
	s_cbranch_execz .LBB36_163
; %bb.162:                              ;   in Loop: Header=BB36_113 Depth=2
	ds_load_b64 v[36:37], v117
	ds_load_2addr_b64 v[8:11], v117 offset0:1 offset1:2
	ds_load_2addr_b64 v[16:19], v117 offset0:3 offset1:4
	ds_load_2addr_b64 v[28:31], v117 offset0:5 offset1:6
	s_wait_dscnt 0x2
	v_dual_add_f32 v8, v8, v36 :: v_dual_add_f32 v9, v9, v37
	s_delay_alu instid0(VALU_DEP_1) | instskip(SKIP_3) | instid1(VALU_DEP_1)
	v_dual_add_f32 v36, v10, v8 :: v_dual_add_f32 v37, v11, v9
	ds_load_2addr_b64 v[8:11], v117 offset0:7 offset1:8
	s_wait_dscnt 0x2
	v_dual_add_f32 v16, v36, v16 :: v_dual_add_f32 v17, v37, v17
	v_dual_add_f32 v36, v16, v18 :: v_dual_add_f32 v37, v17, v19
	ds_load_2addr_b64 v[16:19], v117 offset0:9 offset1:10
	s_wait_dscnt 0x2
	v_dual_add_f32 v28, v36, v28 :: v_dual_add_f32 v29, v37, v29
	s_delay_alu instid0(VALU_DEP_1) | instskip(SKIP_3) | instid1(VALU_DEP_1)
	v_dual_add_f32 v36, v28, v30 :: v_dual_add_f32 v37, v29, v31
	ds_load_2addr_b64 v[28:31], v117 offset0:11 offset1:12
	s_wait_dscnt 0x2
	v_dual_add_f32 v8, v36, v8 :: v_dual_add_f32 v9, v37, v9
	v_dual_add_f32 v36, v8, v10 :: v_dual_add_f32 v37, v9, v11
	ds_load_2addr_b64 v[8:11], v117 offset0:13 offset1:14
	s_wait_dscnt 0x2
	v_dual_add_f32 v16, v36, v16 :: v_dual_add_f32 v17, v37, v17
	s_delay_alu instid0(VALU_DEP_1) | instskip(SKIP_3) | instid1(VALU_DEP_1)
	v_dual_add_f32 v18, v16, v18 :: v_dual_add_f32 v19, v17, v19
	ds_load_b64 v[16:17], v118
	s_wait_dscnt 0x2
	v_dual_add_f32 v18, v18, v28 :: v_dual_add_f32 v19, v19, v29
	v_dual_add_f32 v28, v18, v30 :: v_dual_add_f32 v19, v19, v31
	s_wait_dscnt 0x1
	s_delay_alu instid0(VALU_DEP_1) | instskip(NEXT) | instid1(VALU_DEP_2)
	v_dual_add_f32 v9, v19, v9 :: v_dual_add_nc_u32 v18, s66, v100
	v_add_f32_e32 v8, v28, v8
	s_delay_alu instid0(VALU_DEP_2) | instskip(NEXT) | instid1(VALU_DEP_2)
	v_ashrrev_i32_e32 v19, 31, v18
	v_dual_add_f32 v11, v9, v11 :: v_dual_add_f32 v10, v8, v10
	s_delay_alu instid0(VALU_DEP_2) | instskip(SKIP_1) | instid1(VALU_DEP_2)
	v_lshlrev_b64_e32 v[8:9], 3, v[18:19]
	s_wait_dscnt 0x0
	v_dual_add_f32 v11, v11, v17 :: v_dual_add_f32 v10, v10, v16
	s_delay_alu instid0(VALU_DEP_2) | instskip(SKIP_1) | instid1(VALU_DEP_3)
	v_add_co_u32 v8, vcc_lo, s64, v8
	s_wait_alu 0xfffd
	v_add_co_ci_u32_e64 v9, null, s65, v9, vcc_lo
	global_store_b64 v[8:9], v[10:11], off
.LBB36_163:                             ;   in Loop: Header=BB36_113 Depth=2
	s_wait_alu 0xfffe
	s_or_b32 exec_lo, exec_lo, s22
	v_dual_mul_f32 v8, v69, v1 :: v_dual_mul_f32 v9, v71, v3
	v_dual_mul_f32 v3, v70, v3 :: v_dual_mul_f32 v10, v73, v5
	v_add_co_u32 v175, vcc_lo, v175, s54
	s_delay_alu instid0(VALU_DEP_3)
	v_fma_f32 v8, v68, v0, -v8
	v_mul_f32_e32 v1, v68, v1
	v_fma_f32 v9, v70, v2, -v9
	v_fmac_f32_e32 v3, v71, v2
	v_mul_f32_e32 v16, v79, v13
	v_dual_add_f32 v8, v66, v8 :: v_dual_mul_f32 v11, v75, v7
	v_fmac_f32_e32 v1, v69, v0
	v_fma_f32 v0, v72, v4, -v10
	s_delay_alu instid0(VALU_DEP_3)
	v_dual_mul_f32 v7, v74, v7 :: v_dual_add_f32 v8, v8, v9
	v_mul_f32_e32 v13, v78, v13
	v_fma_f32 v2, v74, v6, -v11
	s_wait_alu 0xfffd
	v_add_co_ci_u32_e64 v176, null, s55, v176, vcc_lo
	v_dual_add_f32 v0, v8, v0 :: v_dual_mul_f32 v9, v77, v15
	v_mul_f32_e32 v8, v76, v15
	v_mul_f32_e32 v5, v72, v5
	v_add_co_u32 v177, vcc_lo, v177, s54
	s_delay_alu instid0(VALU_DEP_4)
	v_dual_add_f32 v0, v0, v2 :: v_dual_add_f32 v1, v67, v1
	v_mul_f32_e32 v2, v81, v21
	v_fmac_f32_e32 v8, v77, v14
	v_fmac_f32_e32 v5, v73, v4
	v_fma_f32 v4, v76, v14, -v9
	v_add_f32_e32 v1, v1, v3
	v_fma_f32 v3, v78, v12, -v16
	v_fma_f32 v2, v80, v20, -v2
	s_wait_alu 0xfffd
	v_add_co_ci_u32_e64 v178, null, s55, v178, vcc_lo
	v_add_co_u32 v179, vcc_lo, v179, s54
	v_add_f32_e32 v0, v0, v3
	v_mul_f32_e32 v3, v83, v23
	s_wait_alu 0xfffd
	v_add_co_ci_u32_e64 v180, null, s55, v180, vcc_lo
	v_add_co_u32 v181, vcc_lo, v181, s54
	v_add_f32_e32 v0, v0, v4
	v_dual_mul_f32 v4, v80, v21 :: v_dual_fmac_f32 v7, v75, v6
	v_add_f32_e32 v1, v1, v5
	s_wait_alu 0xfffd
	v_add_co_ci_u32_e64 v182, null, s55, v182, vcc_lo
	v_dual_add_f32 v0, v0, v2 :: v_dual_fmac_f32 v13, v79, v12
	v_mul_f32_e32 v2, v87, v33
	v_fmac_f32_e32 v4, v81, v20
	v_add_f32_e32 v1, v1, v7
	v_add_co_u32 v183, vcc_lo, v183, s54
	s_delay_alu instid0(VALU_DEP_4)
	v_fma_f32 v2, v86, v32, -v2
	s_wait_alu 0xfffd
	v_add_co_ci_u32_e64 v184, null, s55, v184, vcc_lo
	v_add_f32_e32 v1, v1, v13
	v_add_co_u32 v185, vcc_lo, v185, s54
	s_wait_alu 0xfffd
	v_add_co_ci_u32_e64 v186, null, s55, v186, vcc_lo
	s_delay_alu instid0(VALU_DEP_3) | instskip(SKIP_3) | instid1(VALU_DEP_3)
	v_add_f32_e32 v1, v1, v8
	v_add_co_u32 v187, vcc_lo, v187, s54
	s_wait_alu 0xfffd
	v_add_co_ci_u32_e64 v188, null, s55, v188, vcc_lo
	v_dual_add_f32 v1, v1, v4 :: v_dual_mul_f32 v4, v86, v33
	v_mul_f32_e32 v5, v82, v23
	v_fma_f32 v3, v82, v22, -v3
	v_add_co_u32 v189, vcc_lo, v189, s54
	s_delay_alu instid0(VALU_DEP_4) | instskip(NEXT) | instid1(VALU_DEP_3)
	v_fmac_f32_e32 v4, v87, v32
	v_dual_fmac_f32 v5, v83, v22 :: v_dual_add_f32 v0, v0, v3
	v_mul_f32_e32 v3, v85, v35
	v_mul_f32_e32 v6, v98, v47
	s_wait_alu 0xfffd
	v_add_co_ci_u32_e64 v190, null, s55, v190, vcc_lo
	v_add_f32_e32 v1, v1, v5
	v_mul_f32_e32 v5, v84, v35
	v_add_f32_e32 v0, v0, v2
	v_fmac_f32_e32 v6, v99, v46
	v_add_co_u32 v191, vcc_lo, v191, s54
	v_add_f32_e32 v1, v1, v4
	v_dual_fmac_f32 v5, v85, v34 :: v_dual_mul_f32 v4, v88, v25
	v_fma_f32 v2, v84, v34, -v3
	v_mul_f32_e32 v3, v89, v25
	s_wait_alu 0xfffd
	v_add_co_ci_u32_e64 v192, null, s55, v192, vcc_lo
	v_add_f32_e32 v1, v1, v5
	v_dual_fmac_f32 v4, v89, v24 :: v_dual_mul_f32 v5, v90, v27
	v_add_f32_e32 v0, v0, v2
	v_fma_f32 v2, v88, v24, -v3
	v_mul_f32_e32 v3, v91, v27
	s_delay_alu instid0(VALU_DEP_4) | instskip(SKIP_1) | instid1(VALU_DEP_4)
	v_add_f32_e32 v1, v1, v4
	v_dual_fmac_f32 v5, v91, v26 :: v_dual_mul_f32 v4, v92, v41
	v_add_f32_e32 v0, v0, v2
	s_delay_alu instid0(VALU_DEP_4) | instskip(SKIP_1) | instid1(VALU_DEP_4)
	v_fma_f32 v2, v90, v26, -v3
	v_add_co_u32 v193, vcc_lo, v193, s54
	v_add_f32_e32 v1, v1, v5
	v_fmac_f32_e32 v4, v93, v40
	s_delay_alu instid0(VALU_DEP_4) | instskip(SKIP_2) | instid1(VALU_DEP_3)
	v_dual_mul_f32 v5, v97, v45 :: v_dual_add_f32 v0, v0, v2
	s_wait_alu 0xfffd
	v_add_co_ci_u32_e64 v194, null, s55, v194, vcc_lo
	v_add_f32_e32 v1, v1, v4
	s_delay_alu instid0(VALU_DEP_3)
	v_fma_f32 v4, v96, v44, -v5
	v_mul_f32_e32 v3, v93, v41
	v_add_co_u32 v195, vcc_lo, v195, s54
	v_mul_f32_e32 v5, v99, v47
	s_wait_alu 0xfffd
	v_add_co_ci_u32_e64 v196, null, s55, v196, vcc_lo
	v_fma_f32 v2, v92, v40, -v3
	v_mul_f32_e32 v3, v95, v43
	v_add_co_u32 v197, vcc_lo, v197, s54
	s_wait_alu 0xfffd
	v_add_co_ci_u32_e64 v198, null, s55, v198, vcc_lo
	v_add_f32_e32 v0, v0, v2
	v_fma_f32 v2, v94, v42, -v3
	v_mul_f32_e32 v3, v94, v43
	v_add_co_u32 v199, vcc_lo, v199, s54
	s_wait_alu 0xfffd
	v_add_co_ci_u32_e64 v200, null, s55, v200, vcc_lo
	v_add_f32_e32 v0, v0, v2
	v_dual_mul_f32 v2, v96, v45 :: v_dual_fmac_f32 v3, v95, v42
	v_add_co_u32 v201, vcc_lo, v201, s54
	s_delay_alu instid0(VALU_DEP_3) | instskip(NEXT) | instid1(VALU_DEP_3)
	v_add_f32_e32 v0, v0, v4
	v_fmac_f32_e32 v2, v97, v44
	s_delay_alu instid0(VALU_DEP_4)
	v_add_f32_e32 v1, v1, v3
	v_fma_f32 v3, v98, v46, -v5
	s_wait_alu 0xfffd
	v_add_co_ci_u32_e64 v202, null, s55, v202, vcc_lo
	v_add_co_u32 v203, vcc_lo, v203, s54
	v_add_f32_e32 v1, v1, v2
	s_wait_alu 0xfffd
	v_add_co_ci_u32_e64 v204, null, s55, v204, vcc_lo
	v_add_co_u32 v205, vcc_lo, v205, s54
	s_delay_alu instid0(VALU_DEP_3)
	v_dual_add_f32 v66, v0, v3 :: v_dual_add_f32 v67, v1, v6
	s_wait_alu 0xfffd
	v_add_co_ci_u32_e64 v206, null, s55, v206, vcc_lo
	s_add_co_i32 s67, s75, 2
	s_add_co_i32 s22, s75, 1
	;; [unrolled: 1-line block ×3, first 2 shown]
	s_wait_alu 0xfffe
	s_cmp_ge_u32 s67, s38
	s_wait_loadcnt 0x0
	s_wait_storecnt 0x0
	s_barrier_signal -1
	s_barrier_wait -1
	global_inv scope:SCOPE_SE
	s_cbranch_scc1 .LBB36_165
; %bb.164:                              ;   in Loop: Header=BB36_113 Depth=2
	s_mov_b32 s75, s22
	s_delay_alu instid0(SALU_CYCLE_1)
	s_cmp_eq_u32 s71, s75
	s_cselect_b32 s76, s68, 0
	s_and_saveexec_b32 s22, s0
	s_cbranch_execnz .LBB36_109
	s_branch .LBB36_113
.LBB36_165:                             ;   in Loop: Header=BB36_4 Depth=1
	ds_store_b64 v134, v[66:67]
	s_wait_loadcnt_dscnt 0x0
	s_barrier_signal -1
	s_barrier_wait -1
	global_inv scope:SCOPE_SE
	s_and_saveexec_b32 s22, s72
	s_cbranch_execz .LBB36_2
; %bb.166:                              ;   in Loop: Header=BB36_4 Depth=1
	ds_load_2addr_b64 v[0:3], v101 offset1:67
	ds_load_2addr_b64 v[4:7], v101 offset0:134 offset1:201
	s_wait_dscnt 0x1
	v_dual_add_f32 v0, v2, v0 :: v_dual_add_f32 v1, v3, v1
	s_wait_alu 0xfffe
	v_add_co_u32 v2, vcc_lo, s64, v62
	s_wait_alu 0xfffd
	v_add_co_ci_u32_e64 v3, null, s65, v63, vcc_lo
	s_wait_dscnt 0x0
	v_dual_add_f32 v0, v4, v0 :: v_dual_add_f32 v1, v5, v1
	s_delay_alu instid0(VALU_DEP_1)
	v_dual_add_f32 v0, v0, v6 :: v_dual_add_f32 v1, v1, v7
	global_store_b64 v[2:3], v[0:1], off
	s_branch .LBB36_2
.LBB36_167:                             ;   in Loop: Header=BB36_4 Depth=1
	ds_load_b64 v[3:4], v172
	s_mov_b32 s22, exec_lo
	s_wait_dscnt 0x0
	v_xor_b32_e32 v2, 0x80000000, v4
	ds_store_b32 v105, v3
	s_wait_alu 0xfffe
	s_or_saveexec_b32 s64, s64
	v_mov_b32_e32 v3, v105
	s_wait_alu 0xfffe
	s_xor_b32 exec_lo, exec_lo, s64
	s_cbranch_execz .LBB36_35
.LBB36_168:                             ;   in Loop: Header=BB36_4 Depth=1
	v_dual_mov_b32 v2, 0 :: v_dual_mov_b32 v3, v103
	s_and_not1_b32 s22, s22, exec_lo
	s_and_b32 s65, s9, exec_lo
	s_wait_alu 0xfffe
	s_or_b32 s22, s22, s65
	s_or_b32 exec_lo, exec_lo, s64
	s_wait_alu 0xfffe
	s_and_saveexec_b32 s64, s22
	s_cbranch_execnz .LBB36_36
	s_branch .LBB36_37
.LBB36_169:                             ;   in Loop: Header=BB36_4 Depth=1
	ds_load_b64 v[3:4], v172
	s_mov_b32 s22, exec_lo
	s_wait_dscnt 0x0
	v_xor_b32_e32 v2, 0x80000000, v4
	ds_store_b32 v105, v3
	s_wait_alu 0xfffe
	s_or_saveexec_b32 s64, s64
	v_mov_b32_e32 v3, v105
	s_wait_alu 0xfffe
	s_xor_b32 exec_lo, exec_lo, s64
	s_cbranch_execz .LBB36_73
.LBB36_170:                             ;   in Loop: Header=BB36_4 Depth=1
	v_dual_mov_b32 v2, 0 :: v_dual_mov_b32 v3, v103
	s_and_not1_b32 s22, s22, exec_lo
	s_and_b32 s65, s9, exec_lo
	s_wait_alu 0xfffe
	s_or_b32 s22, s22, s65
	s_or_b32 exec_lo, exec_lo, s64
	s_wait_alu 0xfffe
	s_and_saveexec_b32 s64, s22
	s_cbranch_execnz .LBB36_74
	s_branch .LBB36_75
.LBB36_171:                             ;   in Loop: Header=BB36_4 Depth=1
	flat_load_b64 v[4:5], v[0:1]
	s_wait_loadcnt_dscnt 0x0
	ds_store_b64 v169, v[4:5]
	s_or_b32 exec_lo, exec_lo, s22
	s_and_saveexec_b32 s22, s3
	s_wait_alu 0xfffe
	s_xor_b32 s22, exec_lo, s22
	s_cbranch_execz .LBB36_18
.LBB36_172:                             ;   in Loop: Header=BB36_4 Depth=1
	v_mov_b32_e32 v57, v56
	ds_store_b64 v169, v[56:57] offset:2112
	s_wait_alu 0xfffe
	s_and_not1_saveexec_b32 s22, s22
	s_cbranch_execz .LBB36_19
.LBB36_173:                             ;   in Loop: Header=BB36_4 Depth=1
	v_add_co_u32 v4, vcc_lo, v0, s46
	s_wait_alu 0xfffd
	v_add_co_ci_u32_e64 v5, null, s47, v1, vcc_lo
	flat_load_b64 v[4:5], v[4:5]
	s_wait_loadcnt_dscnt 0x0
	ds_store_b64 v169, v[4:5] offset:2112
	s_wait_alu 0xfffe
	s_or_b32 exec_lo, exec_lo, s22
	s_and_saveexec_b32 s22, s4
	s_wait_alu 0xfffe
	s_xor_b32 s22, exec_lo, s22
	s_cbranch_execz .LBB36_20
.LBB36_174:                             ;   in Loop: Header=BB36_4 Depth=1
	v_mov_b32_e32 v57, v56
	ds_store_b64 v169, v[56:57] offset:4224
	s_wait_alu 0xfffe
	s_and_not1_saveexec_b32 s22, s22
	s_cbranch_execz .LBB36_21
.LBB36_175:                             ;   in Loop: Header=BB36_4 Depth=1
	v_add_co_u32 v4, vcc_lo, v0, s48
	s_wait_alu 0xfffd
	v_add_co_ci_u32_e64 v5, null, s49, v1, vcc_lo
	flat_load_b64 v[4:5], v[4:5]
	s_wait_loadcnt_dscnt 0x0
	ds_store_b64 v169, v[4:5] offset:4224
	s_wait_alu 0xfffe
	s_or_b32 exec_lo, exec_lo, s22
	s_and_saveexec_b32 s22, s5
	s_wait_alu 0xfffe
	s_xor_b32 s22, exec_lo, s22
	s_cbranch_execz .LBB36_22
.LBB36_176:                             ;   in Loop: Header=BB36_4 Depth=1
	v_mov_b32_e32 v57, v56
	ds_store_b64 v169, v[56:57] offset:6336
	s_wait_alu 0xfffe
	s_and_not1_saveexec_b32 s22, s22
	s_cbranch_execnz .LBB36_23
	s_branch .LBB36_24
.LBB36_177:                             ;   in Loop: Header=BB36_4 Depth=1
	flat_load_b64 v[6:7], v[0:1]
	s_wait_loadcnt_dscnt 0x0
	ds_store_b64 v169, v[6:7]
	s_or_b32 exec_lo, exec_lo, s22
	s_and_saveexec_b32 s22, s17
	s_wait_alu 0xfffe
	s_xor_b32 s22, exec_lo, s22
	s_cbranch_execz .LBB36_56
.LBB36_178:                             ;   in Loop: Header=BB36_4 Depth=1
	v_mov_b32_e32 v57, v56
	ds_store_b64 v169, v[56:57] offset:2112
	s_wait_alu 0xfffe
	s_and_not1_saveexec_b32 s22, s22
	s_cbranch_execz .LBB36_57
.LBB36_179:                             ;   in Loop: Header=BB36_4 Depth=1
	v_add_co_u32 v6, vcc_lo, v0, s46
	s_wait_alu 0xfffd
	v_add_co_ci_u32_e64 v7, null, s47, v1, vcc_lo
	flat_load_b64 v[6:7], v[6:7]
	s_wait_loadcnt_dscnt 0x0
	ds_store_b64 v169, v[6:7] offset:2112
	s_wait_alu 0xfffe
	s_or_b32 exec_lo, exec_lo, s22
	s_and_saveexec_b32 s22, s18
	s_wait_alu 0xfffe
	s_xor_b32 s22, exec_lo, s22
	s_cbranch_execz .LBB36_58
.LBB36_180:                             ;   in Loop: Header=BB36_4 Depth=1
	v_mov_b32_e32 v57, v56
	ds_store_b64 v169, v[56:57] offset:4224
	s_wait_alu 0xfffe
	s_and_not1_saveexec_b32 s22, s22
	s_cbranch_execz .LBB36_59
.LBB36_181:                             ;   in Loop: Header=BB36_4 Depth=1
	v_add_co_u32 v6, vcc_lo, v0, s48
	s_wait_alu 0xfffd
	v_add_co_ci_u32_e64 v7, null, s49, v1, vcc_lo
	flat_load_b64 v[6:7], v[6:7]
	s_wait_loadcnt_dscnt 0x0
	ds_store_b64 v169, v[6:7] offset:4224
	s_wait_alu 0xfffe
	s_or_b32 exec_lo, exec_lo, s22
	s_and_saveexec_b32 s22, s19
	s_wait_alu 0xfffe
	s_xor_b32 s22, exec_lo, s22
	s_cbranch_execz .LBB36_60
.LBB36_182:                             ;   in Loop: Header=BB36_4 Depth=1
	v_mov_b32_e32 v57, v56
	ds_store_b64 v169, v[56:57] offset:6336
	s_wait_alu 0xfffe
	s_and_not1_saveexec_b32 s22, s22
	s_cbranch_execnz .LBB36_61
	s_branch .LBB36_62
.LBB36_183:                             ;   in Loop: Header=BB36_4 Depth=1
	flat_load_b64 v[6:7], v[4:5]
	s_wait_loadcnt_dscnt 0x0
	ds_store_b64 v169, v[6:7]
	s_or_b32 exec_lo, exec_lo, s22
	s_and_saveexec_b32 s22, s17
	s_wait_alu 0xfffe
	s_xor_b32 s22, exec_lo, s22
	s_cbranch_execz .LBB36_94
.LBB36_184:                             ;   in Loop: Header=BB36_4 Depth=1
	v_mov_b32_e32 v57, v56
	ds_store_b64 v169, v[56:57] offset:2112
	s_wait_alu 0xfffe
	s_and_not1_saveexec_b32 s22, s22
	s_cbranch_execz .LBB36_95
.LBB36_185:                             ;   in Loop: Header=BB36_4 Depth=1
	v_add_co_u32 v6, vcc_lo, v4, s46
	s_wait_alu 0xfffd
	v_add_co_ci_u32_e64 v7, null, s47, v5, vcc_lo
	flat_load_b64 v[6:7], v[6:7]
	s_wait_loadcnt_dscnt 0x0
	ds_store_b64 v169, v[6:7] offset:2112
	s_wait_alu 0xfffe
	s_or_b32 exec_lo, exec_lo, s22
	s_and_saveexec_b32 s22, s18
	s_wait_alu 0xfffe
	s_xor_b32 s22, exec_lo, s22
	s_cbranch_execz .LBB36_96
.LBB36_186:                             ;   in Loop: Header=BB36_4 Depth=1
	v_mov_b32_e32 v57, v56
	ds_store_b64 v169, v[56:57] offset:4224
	s_wait_alu 0xfffe
	s_and_not1_saveexec_b32 s22, s22
	s_cbranch_execz .LBB36_97
.LBB36_187:                             ;   in Loop: Header=BB36_4 Depth=1
	v_add_co_u32 v6, vcc_lo, v4, s48
	s_wait_alu 0xfffd
	v_add_co_ci_u32_e64 v7, null, s49, v5, vcc_lo
	flat_load_b64 v[6:7], v[6:7]
	s_wait_loadcnt_dscnt 0x0
	ds_store_b64 v169, v[6:7] offset:4224
	s_wait_alu 0xfffe
	s_or_b32 exec_lo, exec_lo, s22
	s_and_saveexec_b32 s22, s19
	s_wait_alu 0xfffe
	s_xor_b32 s22, exec_lo, s22
	s_cbranch_execz .LBB36_98
.LBB36_188:                             ;   in Loop: Header=BB36_4 Depth=1
	v_mov_b32_e32 v57, v56
	ds_store_b64 v169, v[56:57] offset:6336
	s_wait_alu 0xfffe
	s_and_not1_saveexec_b32 s22, s22
	s_cbranch_execnz .LBB36_99
	s_branch .LBB36_100
.LBB36_189:
	s_nop 0
	s_sendmsg sendmsg(MSG_DEALLOC_VGPRS)
	s_endpgm
	.section	.rodata,"a",@progbits
	.p2align	6, 0x0
	.amdhsa_kernel _ZL26rocblas_hemvn_kernel_upperILb1ELi64ELi4ELi33ELi32ELi16El19rocblas_complex_numIfEPKPKS1_PS1_EviT6_lT7_lT5_lS8_lS9_lS7_lT8_i
		.amdhsa_group_segment_fixed_size 9600
		.amdhsa_private_segment_fixed_size 0
		.amdhsa_kernarg_size 376
		.amdhsa_user_sgpr_count 2
		.amdhsa_user_sgpr_dispatch_ptr 0
		.amdhsa_user_sgpr_queue_ptr 0
		.amdhsa_user_sgpr_kernarg_segment_ptr 1
		.amdhsa_user_sgpr_dispatch_id 0
		.amdhsa_user_sgpr_private_segment_size 0
		.amdhsa_wavefront_size32 1
		.amdhsa_uses_dynamic_stack 0
		.amdhsa_enable_private_segment 0
		.amdhsa_system_sgpr_workgroup_id_x 1
		.amdhsa_system_sgpr_workgroup_id_y 0
		.amdhsa_system_sgpr_workgroup_id_z 1
		.amdhsa_system_sgpr_workgroup_info 0
		.amdhsa_system_vgpr_workitem_id 1
		.amdhsa_next_free_vgpr 215
		.amdhsa_next_free_sgpr 80
		.amdhsa_reserve_vcc 1
		.amdhsa_float_round_mode_32 0
		.amdhsa_float_round_mode_16_64 0
		.amdhsa_float_denorm_mode_32 3
		.amdhsa_float_denorm_mode_16_64 3
		.amdhsa_fp16_overflow 0
		.amdhsa_workgroup_processor_mode 1
		.amdhsa_memory_ordered 1
		.amdhsa_forward_progress 1
		.amdhsa_inst_pref_size 94
		.amdhsa_round_robin_scheduling 0
		.amdhsa_exception_fp_ieee_invalid_op 0
		.amdhsa_exception_fp_denorm_src 0
		.amdhsa_exception_fp_ieee_div_zero 0
		.amdhsa_exception_fp_ieee_overflow 0
		.amdhsa_exception_fp_ieee_underflow 0
		.amdhsa_exception_fp_ieee_inexact 0
		.amdhsa_exception_int_div_zero 0
	.end_amdhsa_kernel
	.section	.text._ZL26rocblas_hemvn_kernel_upperILb1ELi64ELi4ELi33ELi32ELi16El19rocblas_complex_numIfEPKPKS1_PS1_EviT6_lT7_lT5_lS8_lS9_lS7_lT8_i,"axG",@progbits,_ZL26rocblas_hemvn_kernel_upperILb1ELi64ELi4ELi33ELi32ELi16El19rocblas_complex_numIfEPKPKS1_PS1_EviT6_lT7_lT5_lS8_lS9_lS7_lT8_i,comdat
.Lfunc_end36:
	.size	_ZL26rocblas_hemvn_kernel_upperILb1ELi64ELi4ELi33ELi32ELi16El19rocblas_complex_numIfEPKPKS1_PS1_EviT6_lT7_lT5_lS8_lS9_lS7_lT8_i, .Lfunc_end36-_ZL26rocblas_hemvn_kernel_upperILb1ELi64ELi4ELi33ELi32ELi16El19rocblas_complex_numIfEPKPKS1_PS1_EviT6_lT7_lT5_lS8_lS9_lS7_lT8_i
                                        ; -- End function
	.set _ZL26rocblas_hemvn_kernel_upperILb1ELi64ELi4ELi33ELi32ELi16El19rocblas_complex_numIfEPKPKS1_PS1_EviT6_lT7_lT5_lS8_lS9_lS7_lT8_i.num_vgpr, 215
	.set _ZL26rocblas_hemvn_kernel_upperILb1ELi64ELi4ELi33ELi32ELi16El19rocblas_complex_numIfEPKPKS1_PS1_EviT6_lT7_lT5_lS8_lS9_lS7_lT8_i.num_agpr, 0
	.set _ZL26rocblas_hemvn_kernel_upperILb1ELi64ELi4ELi33ELi32ELi16El19rocblas_complex_numIfEPKPKS1_PS1_EviT6_lT7_lT5_lS8_lS9_lS7_lT8_i.numbered_sgpr, 80
	.set _ZL26rocblas_hemvn_kernel_upperILb1ELi64ELi4ELi33ELi32ELi16El19rocblas_complex_numIfEPKPKS1_PS1_EviT6_lT7_lT5_lS8_lS9_lS7_lT8_i.num_named_barrier, 0
	.set _ZL26rocblas_hemvn_kernel_upperILb1ELi64ELi4ELi33ELi32ELi16El19rocblas_complex_numIfEPKPKS1_PS1_EviT6_lT7_lT5_lS8_lS9_lS7_lT8_i.private_seg_size, 0
	.set _ZL26rocblas_hemvn_kernel_upperILb1ELi64ELi4ELi33ELi32ELi16El19rocblas_complex_numIfEPKPKS1_PS1_EviT6_lT7_lT5_lS8_lS9_lS7_lT8_i.uses_vcc, 1
	.set _ZL26rocblas_hemvn_kernel_upperILb1ELi64ELi4ELi33ELi32ELi16El19rocblas_complex_numIfEPKPKS1_PS1_EviT6_lT7_lT5_lS8_lS9_lS7_lT8_i.uses_flat_scratch, 1
	.set _ZL26rocblas_hemvn_kernel_upperILb1ELi64ELi4ELi33ELi32ELi16El19rocblas_complex_numIfEPKPKS1_PS1_EviT6_lT7_lT5_lS8_lS9_lS7_lT8_i.has_dyn_sized_stack, 0
	.set _ZL26rocblas_hemvn_kernel_upperILb1ELi64ELi4ELi33ELi32ELi16El19rocblas_complex_numIfEPKPKS1_PS1_EviT6_lT7_lT5_lS8_lS9_lS7_lT8_i.has_recursion, 0
	.set _ZL26rocblas_hemvn_kernel_upperILb1ELi64ELi4ELi33ELi32ELi16El19rocblas_complex_numIfEPKPKS1_PS1_EviT6_lT7_lT5_lS8_lS9_lS7_lT8_i.has_indirect_call, 0
	.section	.AMDGPU.csdata,"",@progbits
; Kernel info:
; codeLenInByte = 11968
; TotalNumSgprs: 82
; NumVgprs: 215
; ScratchSize: 0
; MemoryBound: 1
; FloatMode: 240
; IeeeMode: 1
; LDSByteSize: 9600 bytes/workgroup (compile time only)
; SGPRBlocks: 0
; VGPRBlocks: 26
; NumSGPRsForWavesPerEU: 82
; NumVGPRsForWavesPerEU: 215
; Occupancy: 7
; WaveLimiterHint : 1
; COMPUTE_PGM_RSRC2:SCRATCH_EN: 0
; COMPUTE_PGM_RSRC2:USER_SGPR: 2
; COMPUTE_PGM_RSRC2:TRAP_HANDLER: 0
; COMPUTE_PGM_RSRC2:TGID_X_EN: 1
; COMPUTE_PGM_RSRC2:TGID_Y_EN: 0
; COMPUTE_PGM_RSRC2:TGID_Z_EN: 1
; COMPUTE_PGM_RSRC2:TIDIG_COMP_CNT: 1
	.section	.text._ZL36rocblas_hemvn_kernel_upper_block_sumILi64El19rocblas_complex_numIfEPKPS1_S1_EviT1_lS5_lT2_lT0_lPT3_i,"axG",@progbits,_ZL36rocblas_hemvn_kernel_upper_block_sumILi64El19rocblas_complex_numIfEPKPS1_S1_EviT1_lS5_lT2_lT0_lPT3_i,comdat
	.globl	_ZL36rocblas_hemvn_kernel_upper_block_sumILi64El19rocblas_complex_numIfEPKPS1_S1_EviT1_lS5_lT2_lT0_lPT3_i ; -- Begin function _ZL36rocblas_hemvn_kernel_upper_block_sumILi64El19rocblas_complex_numIfEPKPS1_S1_EviT1_lS5_lT2_lT0_lPT3_i
	.p2align	8
	.type	_ZL36rocblas_hemvn_kernel_upper_block_sumILi64El19rocblas_complex_numIfEPKPS1_S1_EviT1_lS5_lT2_lT0_lPT3_i,@function
_ZL36rocblas_hemvn_kernel_upper_block_sumILi64El19rocblas_complex_numIfEPKPS1_S1_EviT1_lS5_lT2_lT0_lPT3_i: ; @_ZL36rocblas_hemvn_kernel_upper_block_sumILi64El19rocblas_complex_numIfEPKPS1_S1_EviT1_lS5_lT2_lT0_lPT3_i
; %bb.0:
	s_load_b32 s18, s[0:1], 0x50
	s_lshr_b32 s2, ttmp7, 16
	s_wait_kmcnt 0x0
	s_cmp_ge_u32 s2, s18
	s_cbranch_scc1 .LBB37_21
; %bb.1:
	s_clause 0x5
	s_load_b64 s[8:9], s[0:1], 0x4
	s_load_b32 s16, s[0:1], 0x0
	s_load_b128 s[4:7], s[0:1], 0x30
	s_load_b64 s[10:11], s[0:1], 0x18
	s_load_b64 s[12:13], s[0:1], 0x28
	;; [unrolled: 1-line block ×3, first 2 shown]
	v_lshl_or_b32 v0, ttmp9, 6, v0
	s_add_nc_u64 s[14:15], s[0:1], 0x58
	s_mov_b32 s3, 0
	s_delay_alu instid0(VALU_DEP_1) | instskip(NEXT) | instid1(VALU_DEP_1)
	v_ashrrev_i32_e32 v1, 31, v0
	v_lshlrev_b64_e32 v[2:3], 3, v[0:1]
	s_wait_kmcnt 0x0
	s_or_b32 s17, s8, s9
	v_cmp_gt_i32_e64 s0, s16, v0
	s_bitset0_b32 s17, 31
	v_mul_lo_u32 v6, s6, v1
	s_wait_alu 0xfffe
	s_cmp_eq_u32 s17, 0
	v_mul_lo_u32 v7, s7, v0
	s_cselect_b32 s1, -1, 0
	s_cmp_lg_u32 s17, 0
	v_mad_co_u64_u32 v[4:5], null, s6, v0, 0
	s_cselect_b32 s22, -1, 0
	s_cmp_neq_f32 s10, 1.0
	v_add_co_u32 v0, vcc_lo, s20, v2
	s_delay_alu instid0(VALU_DEP_1)
	v_add_co_ci_u32_e64 v1, null, s21, v3, vcc_lo
	s_cselect_b32 s6, -1, 0
	s_cmp_neq_f32 s11, 0
	v_add3_u32 v5, v5, v6, v7
	v_add_co_u32 v0, vcc_lo, v0, 4
	s_cselect_b32 s7, -1, 0
	s_cmp_neq_f32 s10, 0
	v_lshlrev_b64_e32 v[2:3], 3, v[4:5]
	s_wait_alu 0xfffd
	v_add_co_ci_u32_e64 v1, null, 0, v1, vcc_lo
	s_cselect_b32 s19, -1, 0
	s_ashr_i32 s17, s16, 31
	s_wait_alu 0xfffe
	s_or_b32 s19, s19, s7
	s_delay_alu instid0(SALU_CYCLE_1)
	v_cndmask_b32_e64 v6, 0, 1, s19
	s_xor_b32 s19, s19, -1
	s_cmp_gt_i32 ttmp9, -1
	s_cselect_b32 s20, -1, 0
	s_or_b32 s6, s6, s7
	s_lshl_b64 s[4:5], s[4:5], 3
	s_wait_alu 0xfffe
	s_or_b32 s21, s6, s22
	s_add_co_i32 s22, ttmp9, 1
	s_lshl_b64 s[6:7], s[16:17], 3
	s_branch .LBB37_5
.LBB37_2:                               ;   in Loop: Header=BB37_5 Depth=1
	v_add_co_u32 v7, vcc_lo, s16, v2
	s_wait_alu 0xfffd
	v_add_co_ci_u32_e64 v8, null, s17, v3, vcc_lo
	flat_store_b64 v[7:8], v[4:5]
.LBB37_3:                               ;   in Loop: Header=BB37_5 Depth=1
	s_or_b32 exec_lo, exec_lo, s23
.LBB37_4:                               ;   in Loop: Header=BB37_5 Depth=1
	s_add_co_i32 s2, s2, 0x10000
	s_wait_alu 0xfffe
	s_cmp_lt_u32 s2, s18
	s_cbranch_scc0 .LBB37_21
.LBB37_5:                               ; =>This Loop Header: Depth=1
                                        ;     Child Loop BB37_16 Depth 2
	s_wait_alu 0xfffe
	s_and_not1_b32 vcc_lo, exec_lo, s21
	s_wait_alu 0xfffe
	s_cbranch_vccnz .LBB37_4
; %bb.6:                                ;   in Loop: Header=BB37_5 Depth=1
	s_lshl_b64 s[16:17], s[2:3], 3
	s_and_not1_b32 vcc_lo, exec_lo, s1
	s_wait_alu 0xfffe
	s_add_nc_u64 s[16:17], s[12:13], s[16:17]
	s_mov_b32 s23, -1
	s_load_b64 s[16:17], s[16:17], 0x0
	s_wait_kmcnt 0x0
	s_add_nc_u64 s[16:17], s[16:17], s[4:5]
	s_cbranch_vccnz .LBB37_12
; %bb.7:                                ;   in Loop: Header=BB37_5 Depth=1
	s_and_saveexec_b32 s23, s0
	s_cbranch_execz .LBB37_11
; %bb.8:                                ;   in Loop: Header=BB37_5 Depth=1
	v_cmp_ne_u32_e32 vcc_lo, 1, v6
	v_dual_mov_b32 v4, 0 :: v_dual_mov_b32 v5, 0
	s_cbranch_vccnz .LBB37_10
; %bb.9:                                ;   in Loop: Header=BB37_5 Depth=1
	s_wait_alu 0xfffe
	v_add_co_u32 v4, vcc_lo, s16, v2
	s_wait_alu 0xfffd
	v_add_co_ci_u32_e64 v5, null, s17, v3, vcc_lo
	flat_load_b64 v[7:8], v[4:5]
	s_wait_loadcnt_dscnt 0x0
	v_mul_f32_e32 v5, s10, v8
	s_delay_alu instid0(VALU_DEP_1) | instskip(NEXT) | instid1(VALU_DEP_1)
	v_dual_mul_f32 v4, s11, v8 :: v_dual_fmac_f32 v5, s11, v7
	v_fma_f32 v4, v7, s10, -v4
.LBB37_10:                              ;   in Loop: Header=BB37_5 Depth=1
	s_wait_alu 0xfffe
	v_add_co_u32 v7, vcc_lo, s16, v2
	s_wait_alu 0xfffd
	v_add_co_ci_u32_e64 v8, null, s17, v3, vcc_lo
	flat_store_b64 v[7:8], v[4:5]
.LBB37_11:                              ;   in Loop: Header=BB37_5 Depth=1
	s_or_b32 exec_lo, exec_lo, s23
	s_mov_b32 s23, 0
.LBB37_12:                              ;   in Loop: Header=BB37_5 Depth=1
	s_delay_alu instid0(SALU_CYCLE_1)
	s_and_not1_b32 vcc_lo, exec_lo, s23
	s_wait_alu 0xfffe
	s_cbranch_vccnz .LBB37_4
; %bb.13:                               ;   in Loop: Header=BB37_5 Depth=1
	s_and_saveexec_b32 s23, s0
	s_cbranch_execz .LBB37_3
; %bb.14:                               ;   in Loop: Header=BB37_5 Depth=1
	v_dual_mov_b32 v7, 0 :: v_dual_mov_b32 v8, 0
	s_and_not1_b32 vcc_lo, exec_lo, s20
	s_wait_alu 0xfffe
	s_cbranch_vccnz .LBB37_17
; %bb.15:                               ;   in Loop: Header=BB37_5 Depth=1
	s_load_b32 s24, s[14:15], 0x0
	s_mov_b32 s25, s3
	v_mov_b32_e32 v7, 0
	s_wait_kmcnt 0x0
	s_wait_alu 0xfffe
	s_mul_u64 s[24:25], s[6:7], s[24:25]
	s_wait_alu 0xfffe
	v_mad_co_u64_u32 v[4:5], null, s24, s2, v[0:1]
	s_mov_b32 s24, s22
	v_mad_co_u64_u32 v[8:9], null, s25, s2, v[5:6]
	s_delay_alu instid0(VALU_DEP_1)
	v_dual_mov_b32 v5, v8 :: v_dual_mov_b32 v8, 0
.LBB37_16:                              ;   Parent Loop BB37_5 Depth=1
                                        ; =>  This Inner Loop Header: Depth=2
	global_load_b64 v[9:10], v[4:5], off offset:-4
	v_add_co_u32 v4, vcc_lo, v4, s6
	s_wait_alu 0xfffd
	v_add_co_ci_u32_e64 v5, null, s7, v5, vcc_lo
	s_wait_alu 0xfffe
	s_add_co_i32 s24, s24, -1
	s_wait_alu 0xfffe
	s_cmp_eq_u32 s24, 0
	s_wait_loadcnt 0x0
	v_dual_add_f32 v8, v8, v9 :: v_dual_add_f32 v7, v7, v10
	s_cbranch_scc0 .LBB37_16
.LBB37_17:                              ;   in Loop: Header=BB37_5 Depth=1
	s_delay_alu instid0(VALU_DEP_1) | instskip(SKIP_3) | instid1(VALU_DEP_2)
	v_mul_f32_e32 v5, s8, v7
	v_mul_f32_e32 v4, s9, v7
	s_and_b32 vcc_lo, exec_lo, s19
	s_mov_b32 s24, -1
	v_fmac_f32_e32 v5, s9, v8
	s_delay_alu instid0(VALU_DEP_2)
	v_fma_f32 v4, v8, s8, -v4
	s_wait_alu 0xfffe
	s_cbranch_vccz .LBB37_19
; %bb.18:                               ;   in Loop: Header=BB37_5 Depth=1
	s_mov_b32 s24, 0
.LBB37_19:                              ;   in Loop: Header=BB37_5 Depth=1
	s_wait_alu 0xfffe
	s_and_not1_b32 vcc_lo, exec_lo, s24
	s_wait_alu 0xfffe
	s_cbranch_vccnz .LBB37_2
; %bb.20:                               ;   in Loop: Header=BB37_5 Depth=1
	v_add_co_u32 v7, vcc_lo, s16, v2
	s_wait_alu 0xfffd
	v_add_co_ci_u32_e64 v8, null, s17, v3, vcc_lo
	flat_load_b64 v[7:8], v[7:8]
	s_wait_loadcnt_dscnt 0x0
	v_mul_f32_e32 v9, s11, v8
	v_mul_f32_e32 v8, s10, v8
	s_delay_alu instid0(VALU_DEP_1) | instskip(NEXT) | instid1(VALU_DEP_3)
	v_fmac_f32_e32 v8, s11, v7
	v_fma_f32 v9, v7, s10, -v9
	s_delay_alu instid0(VALU_DEP_1)
	v_dual_add_f32 v5, v5, v8 :: v_dual_add_f32 v4, v4, v9
	s_branch .LBB37_2
.LBB37_21:
	s_endpgm
	.section	.rodata,"a",@progbits
	.p2align	6, 0x0
	.amdhsa_kernel _ZL36rocblas_hemvn_kernel_upper_block_sumILi64El19rocblas_complex_numIfEPKPS1_S1_EviT1_lS5_lT2_lT0_lPT3_i
		.amdhsa_group_segment_fixed_size 0
		.amdhsa_private_segment_fixed_size 0
		.amdhsa_kernarg_size 344
		.amdhsa_user_sgpr_count 2
		.amdhsa_user_sgpr_dispatch_ptr 0
		.amdhsa_user_sgpr_queue_ptr 0
		.amdhsa_user_sgpr_kernarg_segment_ptr 1
		.amdhsa_user_sgpr_dispatch_id 0
		.amdhsa_user_sgpr_private_segment_size 0
		.amdhsa_wavefront_size32 1
		.amdhsa_uses_dynamic_stack 0
		.amdhsa_enable_private_segment 0
		.amdhsa_system_sgpr_workgroup_id_x 1
		.amdhsa_system_sgpr_workgroup_id_y 0
		.amdhsa_system_sgpr_workgroup_id_z 1
		.amdhsa_system_sgpr_workgroup_info 0
		.amdhsa_system_vgpr_workitem_id 0
		.amdhsa_next_free_vgpr 11
		.amdhsa_next_free_sgpr 26
		.amdhsa_reserve_vcc 1
		.amdhsa_float_round_mode_32 0
		.amdhsa_float_round_mode_16_64 0
		.amdhsa_float_denorm_mode_32 3
		.amdhsa_float_denorm_mode_16_64 3
		.amdhsa_fp16_overflow 0
		.amdhsa_workgroup_processor_mode 1
		.amdhsa_memory_ordered 1
		.amdhsa_forward_progress 1
		.amdhsa_inst_pref_size 7
		.amdhsa_round_robin_scheduling 0
		.amdhsa_exception_fp_ieee_invalid_op 0
		.amdhsa_exception_fp_denorm_src 0
		.amdhsa_exception_fp_ieee_div_zero 0
		.amdhsa_exception_fp_ieee_overflow 0
		.amdhsa_exception_fp_ieee_underflow 0
		.amdhsa_exception_fp_ieee_inexact 0
		.amdhsa_exception_int_div_zero 0
	.end_amdhsa_kernel
	.section	.text._ZL36rocblas_hemvn_kernel_upper_block_sumILi64El19rocblas_complex_numIfEPKPS1_S1_EviT1_lS5_lT2_lT0_lPT3_i,"axG",@progbits,_ZL36rocblas_hemvn_kernel_upper_block_sumILi64El19rocblas_complex_numIfEPKPS1_S1_EviT1_lS5_lT2_lT0_lPT3_i,comdat
.Lfunc_end37:
	.size	_ZL36rocblas_hemvn_kernel_upper_block_sumILi64El19rocblas_complex_numIfEPKPS1_S1_EviT1_lS5_lT2_lT0_lPT3_i, .Lfunc_end37-_ZL36rocblas_hemvn_kernel_upper_block_sumILi64El19rocblas_complex_numIfEPKPS1_S1_EviT1_lS5_lT2_lT0_lPT3_i
                                        ; -- End function
	.set _ZL36rocblas_hemvn_kernel_upper_block_sumILi64El19rocblas_complex_numIfEPKPS1_S1_EviT1_lS5_lT2_lT0_lPT3_i.num_vgpr, 11
	.set _ZL36rocblas_hemvn_kernel_upper_block_sumILi64El19rocblas_complex_numIfEPKPS1_S1_EviT1_lS5_lT2_lT0_lPT3_i.num_agpr, 0
	.set _ZL36rocblas_hemvn_kernel_upper_block_sumILi64El19rocblas_complex_numIfEPKPS1_S1_EviT1_lS5_lT2_lT0_lPT3_i.numbered_sgpr, 26
	.set _ZL36rocblas_hemvn_kernel_upper_block_sumILi64El19rocblas_complex_numIfEPKPS1_S1_EviT1_lS5_lT2_lT0_lPT3_i.num_named_barrier, 0
	.set _ZL36rocblas_hemvn_kernel_upper_block_sumILi64El19rocblas_complex_numIfEPKPS1_S1_EviT1_lS5_lT2_lT0_lPT3_i.private_seg_size, 0
	.set _ZL36rocblas_hemvn_kernel_upper_block_sumILi64El19rocblas_complex_numIfEPKPS1_S1_EviT1_lS5_lT2_lT0_lPT3_i.uses_vcc, 1
	.set _ZL36rocblas_hemvn_kernel_upper_block_sumILi64El19rocblas_complex_numIfEPKPS1_S1_EviT1_lS5_lT2_lT0_lPT3_i.uses_flat_scratch, 0
	.set _ZL36rocblas_hemvn_kernel_upper_block_sumILi64El19rocblas_complex_numIfEPKPS1_S1_EviT1_lS5_lT2_lT0_lPT3_i.has_dyn_sized_stack, 0
	.set _ZL36rocblas_hemvn_kernel_upper_block_sumILi64El19rocblas_complex_numIfEPKPS1_S1_EviT1_lS5_lT2_lT0_lPT3_i.has_recursion, 0
	.set _ZL36rocblas_hemvn_kernel_upper_block_sumILi64El19rocblas_complex_numIfEPKPS1_S1_EviT1_lS5_lT2_lT0_lPT3_i.has_indirect_call, 0
	.section	.AMDGPU.csdata,"",@progbits
; Kernel info:
; codeLenInByte = 872
; TotalNumSgprs: 28
; NumVgprs: 11
; ScratchSize: 0
; MemoryBound: 0
; FloatMode: 240
; IeeeMode: 1
; LDSByteSize: 0 bytes/workgroup (compile time only)
; SGPRBlocks: 0
; VGPRBlocks: 1
; NumSGPRsForWavesPerEU: 28
; NumVGPRsForWavesPerEU: 11
; Occupancy: 16
; WaveLimiterHint : 1
; COMPUTE_PGM_RSRC2:SCRATCH_EN: 0
; COMPUTE_PGM_RSRC2:USER_SGPR: 2
; COMPUTE_PGM_RSRC2:TRAP_HANDLER: 0
; COMPUTE_PGM_RSRC2:TGID_X_EN: 1
; COMPUTE_PGM_RSRC2:TGID_Y_EN: 0
; COMPUTE_PGM_RSRC2:TGID_Z_EN: 1
; COMPUTE_PGM_RSRC2:TIDIG_COMP_CNT: 0
	.section	.text._ZL26rocblas_hemvn_kernel_upperILb1ELi64ELi4ELi33ELi32ELi16Ei19rocblas_complex_numIfEPKPKS1_PS1_EviT6_lT7_lT5_lS8_lS9_lS7_lT8_i,"axG",@progbits,_ZL26rocblas_hemvn_kernel_upperILb1ELi64ELi4ELi33ELi32ELi16Ei19rocblas_complex_numIfEPKPKS1_PS1_EviT6_lT7_lT5_lS8_lS9_lS7_lT8_i,comdat
	.globl	_ZL26rocblas_hemvn_kernel_upperILb1ELi64ELi4ELi33ELi32ELi16Ei19rocblas_complex_numIfEPKPKS1_PS1_EviT6_lT7_lT5_lS8_lS9_lS7_lT8_i ; -- Begin function _ZL26rocblas_hemvn_kernel_upperILb1ELi64ELi4ELi33ELi32ELi16Ei19rocblas_complex_numIfEPKPKS1_PS1_EviT6_lT7_lT5_lS8_lS9_lS7_lT8_i
	.p2align	8
	.type	_ZL26rocblas_hemvn_kernel_upperILb1ELi64ELi4ELi33ELi32ELi16Ei19rocblas_complex_numIfEPKPKS1_PS1_EviT6_lT7_lT5_lS8_lS9_lS7_lT8_i,@function
_ZL26rocblas_hemvn_kernel_upperILb1ELi64ELi4ELi33ELi32ELi16Ei19rocblas_complex_numIfEPKPKS1_PS1_EviT6_lT7_lT5_lS8_lS9_lS7_lT8_i: ; @_ZL26rocblas_hemvn_kernel_upperILb1ELi64ELi4ELi33ELi32ELi16Ei19rocblas_complex_numIfEPKPKS1_PS1_EviT6_lT7_lT5_lS8_lS9_lS7_lT8_i
; %bb.0:
	s_clause 0x1
	s_load_b64 s[2:3], s[0:1], 0x84
	s_load_b32 s33, s[0:1], 0x70
	s_lshr_b32 s34, ttmp7, 16
	s_wait_kmcnt 0x0
	s_lshr_b32 s4, s2, 16
	s_and_b32 s2, s2, 0xffff
	s_and_b32 s3, s3, 0xffff
	s_mul_i32 s2, s4, s2
	s_delay_alu instid0(SALU_CYCLE_1) | instskip(NEXT) | instid1(SALU_CYCLE_1)
	s_mul_i32 s2, s2, s3
	s_cmp_lg_u32 s2, 0x100
	s_cselect_b32 s2, -1, 0
	s_cmp_ge_u32 s34, s33
	s_cselect_b32 s3, -1, 0
	s_delay_alu instid0(SALU_CYCLE_1) | instskip(NEXT) | instid1(SALU_CYCLE_1)
	s_or_b32 s2, s2, s3
	s_and_b32 vcc_lo, exec_lo, s2
	s_cbranch_vccnz .LBB38_189
; %bb.1:
	s_clause 0x5
	s_load_b64 s[6:7], s[0:1], 0x4
	s_load_b32 s4, s[0:1], 0x0
	s_load_b32 s52, s[0:1], 0x28
	s_load_b64 s[8:9], s[0:1], 0x58
	s_load_b128 s[24:27], s[0:1], 0x18
	s_load_b64 s[10:11], s[0:1], 0x68
	s_add_nc_u64 s[12:13], s[0:1], 0x78
	s_clause 0x1
	s_load_b128 s[28:31], s[0:1], 0x38
	s_load_b32 s56, s[0:1], 0x48
	s_load_b32 s36, s[12:13], 0x0
	v_dual_mov_b32 v67, 0 :: v_dual_and_b32 v56, 0x3ff, v0
	v_bfe_u32 v5, v0, 10, 10
	v_and_b32_e32 v1, 31, v0
	s_mov_b32 s35, 0
	s_mov_b32 s2, ttmp9
	s_mov_b32 s37, s35
	v_lshl_add_u32 v12, v5, 6, v56
	v_lshlrev_b32_e32 v14, 3, v1
	v_lshlrev_b32_e32 v115, 2, v5
	;; [unrolled: 1-line block ×3, first 2 shown]
	s_wait_kmcnt 0x0
	s_or_b32 s0, s6, s7
	s_ashr_i32 s5, s4, 31
	s_bitset0_b32 s0, 31
	s_ashr_i32 s53, s52, 31
	s_cmp_eq_u32 s0, 0
	v_lshrrev_b32_e32 v10, 5, v12
	s_cselect_b32 s68, -1, 0
	s_cmp_lg_u32 s0, 0
	s_mul_u64 s[40:41], s[36:37], s[4:5]
	s_cselect_b32 s66, -1, 0
	s_cmp_neq_f32 s8, 1.0
	v_lshlrev_b32_e32 v17, 2, v10
	v_add_nc_u32_e32 v11, 8, v10
	v_lshl_or_b32 v18, v1, 8, v14
	s_cselect_b32 s48, -1, 0
	s_cmp_neq_f32 s9, 0
	v_and_b32_e32 v19, 0x7fe0, v12
	v_or_b32_e32 v21, 2, v17
	v_add_nc_u32_e32 v13, 16, v10
	s_cselect_b32 s49, -1, 0
	s_lshr_b32 s1, s5, 26
	s_add_co_i32 s3, s36, -1
	s_add_co_i32 s1, s4, s1
	s_lshl_b32 s22, ttmp9, 6
	s_and_not1_b32 s1, s1, 63
	v_cmp_le_u32_e64 s6, v17, v1
	s_sub_co_i32 s69, s4, s1
	s_cmp_eq_u32 ttmp9, s3
	v_cmp_eq_u32_e64 s7, v17, v1
	s_cselect_b32 s38, s69, 0
	v_or_b32_e32 v20, 1, v17
	s_cmp_lg_u32 s38, 0
	v_cmp_ge_u32_e64 s8, v17, v1
	s_cselect_b32 s37, -1, 0
	s_cmp_eq_u32 s38, 0
	v_or_b32_e32 v17, 3, v17
	s_cselect_b32 s1, -1, 0
	s_ashr_i32 s3, ttmp9, 31
	s_sub_co_i32 s19, s38, 32
	s_mul_u64 s[2:3], s[4:5], s[2:3]
	v_mad_co_u64_u32 v[2:3], null, s52, v10, v[1:2]
	s_lshl_b64 s[2:3], s[2:3], 3
	v_mul_u32_u24_e32 v15, 0x108, v10
	s_add_nc_u64 s[42:43], s[10:11], s[2:3]
	v_sub_co_u32 v8, s2, 0, v1
	s_delay_alu instid0(VALU_DEP_1)
	v_sub_co_ci_u32_e64 v9, null, 0, 0, s2
	v_cmp_le_i32_e64 s2, s38, v10
	v_cmp_le_i32_e64 s3, s38, v11
	v_add_nc_u32_e32 v16, 24, v10
	v_add_nc_u32_e32 v108, v18, v19
	v_mul_u32_u24_e32 v18, 0x420, v10
	v_cmp_le_u32_e64 s10, v21, v1
	v_cmp_eq_u32_e64 s11, v21, v1
	v_lshlrev_b32_e32 v21, 3, v10
	v_cmp_le_i32_e64 s16, s19, v10
	v_cmp_le_i32_e64 s17, s19, v11
	v_cmp_eq_u32_e64 s20, 1, v10
	v_mul_i32_i24_e32 v116, 0xffffffe8, v10
	v_mad_co_u64_u32 v[10:11], null, s52, v115, v[56:57]
	v_cmp_le_i32_e64 s4, s38, v13
	v_cmp_le_u32_e64 s12, v17, v1
	v_cmp_eq_u32_e64 s13, v17, v1
	v_or_b32_e32 v17, 32, v1
	v_cmp_le_i32_e64 s18, s19, v13
	v_lshrrev_b32_e32 v13, 4, v12
	v_cmp_gt_i32_e32 vcc_lo, s38, v56
	v_cmp_le_i32_e64 s5, s38, v16
	v_cmp_gt_i32_e64 s15, s38, v17
	v_cmp_le_i32_e64 s19, s19, v16
	v_and_b32_e32 v16, 15, v0
	v_ashrrev_i32_e32 v11, 31, v10
	v_lshlrev_b32_e32 v17, 5, v13
	s_lshl_b32 s54, s52, 5
	s_or_b32 s57, s1, vcc_lo
	v_cmp_gt_u32_e64 s14, 32, v12
	s_ashr_i32 s55, s54, 31
	v_cmp_gt_u32_e64 s21, 64, v12
	v_add_co_u32 v12, vcc_lo, s54, v10
	v_ashrrev_i32_e32 v3, 31, v2
	v_mad_u32_u24 v120, 0x218, v16, v17
	v_mul_i32_i24_e32 v17, 0xffffffe8, v13
	v_add_co_ci_u32_e64 v13, null, s55, v11, vcc_lo
	v_add_nc_u32_e32 v4, s22, v56
	s_mul_i32 s60, s52, s22
	s_lshl_b32 s44, s52, 3
	s_lshl_b32 s58, s52, 4
	s_mul_i32 s46, s52, 24
	s_mul_i32 s50, s56, s22
	s_add_co_i32 s64, ttmp9, 1
	v_and_b32_e32 v0, 48, v0
	v_cmp_eq_u32_e64 s0, 0, v5
	s_ashr_i32 s23, s22, 31
	s_xor_b32 s70, s57, -1
	s_ashr_i32 s61, s60, 31
	s_ashr_i32 s39, s38, 31
	s_ashr_i32 s45, s44, 31
	s_ashr_i32 s59, s58, 31
	s_ashr_i32 s47, s46, 31
	s_ashr_i32 s51, s50, 31
	v_lshlrev_b64_e32 v[57:58], 3, v[2:3]
	v_lshlrev_b64_e32 v[2:3], 3, v[10:11]
	;; [unrolled: 1-line block ×3, first 2 shown]
	s_cmp_lt_u32 s64, s36
	v_mul_lo_u32 v6, s56, v4
	s_cselect_b32 s71, -1, 0
	s_lshl_b32 s73, s56, 6
	s_mul_i32 s56, s56, s64
	v_lshlrev_b32_e32 v0, 3, v0
	s_sub_nc_u64 s[62:63], 0, s[50:51]
	s_lshl_b32 s76, s52, 1
	s_mul_i32 s78, s52, 3
	s_and_b32 s74, s0, s57
	s_lshl_b64 s[50:51], s[52:53], 6
	s_lshl_b64 s[64:65], s[52:53], 3
	s_wait_alu 0xfffe
	s_lshl_b32 s75, s56, 6
	s_lshl_b64 s[56:57], s[52:53], 4
	s_lshl_b64 s[52:53], s[54:55], 3
	v_mad_co_i64_i32 v[59:60], null, s58, 24, v[10:11]
	v_sub_co_u32 v141, vcc_lo, 0, v57
	s_wait_alu 0xfffe
	s_add_nc_u64 s[80:81], s[56:57], s[52:53]
	v_mad_u32_u24 v121, 0x218, v16, v0
	s_wait_alu 0xfffd
	v_sub_co_ci_u32_e64 v142, null, 0, v58, vcc_lo
	v_add_co_u32 v0, vcc_lo, s80, v2
	s_ashr_i32 s79, s78, 31
	s_ashr_i32 s77, s76, 31
	s_lshl_b64 s[78:79], s[78:79], 3
	s_wait_alu 0xfffd
	v_add_co_ci_u32_e64 v143, null, s81, v3, vcc_lo
	v_or_b32_e32 v144, 4, v0
	v_add_co_u32 v0, vcc_lo, v59, s78
	s_add_nc_u64 s[84:85], s[64:65], s[52:53]
	s_wait_alu 0xfffd
	v_add_co_ci_u32_e64 v145, null, s79, v60, vcc_lo
	v_add_co_u32 v146, vcc_lo, s84, v2
	s_lshl_b64 s[76:77], s[76:77], 3
	s_wait_alu 0xfffd
	v_add_co_ci_u32_e64 v147, null, s85, v3, vcc_lo
	v_add_co_u32 v148, vcc_lo, s52, v2
	s_add_nc_u64 s[86:87], s[52:53], s[76:77]
	s_wait_alu 0xfffd
	v_add_co_ci_u32_e64 v149, null, s53, v3, vcc_lo
	v_add_co_u32 v150, vcc_lo, s86, v2
	s_mul_u64 s[82:83], s[58:59], 24
	s_wait_alu 0xfffd
	v_add_co_ci_u32_e64 v151, null, s87, v3, vcc_lo
	s_add_nc_u64 s[86:87], s[52:53], s[78:79]
	s_add_nc_u64 s[56:57], s[82:83], s[56:57]
	s_wait_alu 0xfffe
	v_add_co_u32 v152, vcc_lo, s86, v2
	s_wait_alu 0xfffd
	v_add_co_ci_u32_e64 v153, null, s87, v3, vcc_lo
	v_add_co_u32 v154, vcc_lo, s56, v10
	s_wait_alu 0xfffd
	v_add_co_ci_u32_e64 v155, null, s57, v11, vcc_lo
	s_lshl_b64 s[56:57], s[58:59], 3
	s_lshl_b64 s[54:55], s[58:59], 5
	;; [unrolled: 1-line block ×3, first 2 shown]
	s_wait_alu 0xfffe
	s_add_nc_u64 s[82:83], s[80:81], s[56:57]
	s_add_nc_u64 s[86:87], s[58:59], s[52:53]
	v_add_co_u32 v10, vcc_lo, s82, v2
	s_wait_alu 0xfffd
	v_add_co_ci_u32_e64 v156, null, s83, v3, vcc_lo
	s_wait_alu 0xfffe
	s_add_nc_u64 s[82:83], s[86:87], s[78:79]
	v_add_nc_u32_e32 v113, 0x2380, v19
	s_wait_alu 0xfffe
	v_add_co_u32 v11, vcc_lo, s82, v2
	s_wait_alu 0xfffd
	v_add_co_ci_u32_e64 v157, null, s83, v3, vcc_lo
	s_add_nc_u64 s[82:83], s[84:85], s[56:57]
	v_or_b32_e32 v19, 0x78, v105
	s_wait_alu 0xfffe
	v_add_co_u32 v158, vcc_lo, s82, v2
	s_wait_alu 0xfffd
	v_add_co_ci_u32_e64 v159, null, s83, v3, vcc_lo
	s_add_nc_u64 s[82:83], s[86:87], s[76:77]
	v_mad_u32_u24 v122, 0x218, v16, v19
	s_wait_alu 0xfffe
	v_add_co_u32 v12, vcc_lo, s82, v2
	s_wait_alu 0xfffd
	v_add_co_ci_u32_e64 v160, null, s83, v3, vcc_lo
	s_add_nc_u64 s[82:83], s[52:53], s[56:57]
	s_add_nc_u64 s[58:59], s[80:81], s[58:59]
	s_wait_alu 0xfffe
	v_add_co_u32 v161, vcc_lo, s82, v2
	s_wait_alu 0xfffd
	v_add_co_ci_u32_e64 v162, null, s83, v3, vcc_lo
	v_add_co_u32 v13, vcc_lo, s86, v2
	s_add_nc_u64 s[84:85], s[82:83], s[76:77]
	s_wait_alu 0xfffd
	v_add_co_ci_u32_e64 v163, null, s87, v3, vcc_lo
	s_wait_alu 0xfffe
	v_add_co_u32 v164, vcc_lo, s84, v2
	s_wait_alu 0xfffd
	v_add_co_ci_u32_e64 v165, null, s85, v3, vcc_lo
	s_add_nc_u64 s[84:85], s[86:87], s[64:65]
	s_add_nc_u64 s[78:79], s[82:83], s[78:79]
	s_wait_alu 0xfffe
	v_add_co_u32 v16, vcc_lo, s84, v2
	s_wait_alu 0xfffd
	v_add_co_ci_u32_e64 v166, null, s85, v3, vcc_lo
	v_add_co_u32 v167, vcc_lo, s78, v2
	v_mul_u32_u24_e32 v22, 0x108, v20
	v_cmp_eq_u32_e64 s9, v20, v1
	v_mul_u32_u24_e32 v20, 33, v1
	s_wait_alu 0xfffd
	v_add_co_ci_u32_e64 v168, null, s79, v3, vcc_lo
	v_add_co_u32 v2, vcc_lo, s58, v2
	s_wait_alu 0xfffd
	v_add_co_ci_u32_e64 v169, null, s59, v3, vcc_lo
	v_add_co_u32 v3, vcc_lo, v59, s76
	v_or_b32_e32 v59, 4, v59
	v_ashrrev_i32_e32 v7, 31, v6
	v_lshl_add_u32 v118, v5, 5, 0x2180
	v_mad_u32_u24 v119, 0x860, v5, v105
	v_mad_u32_u24 v138, 0x218, v5, v105
	v_ashrrev_i32_e32 v5, 31, v4
	v_lshlrev_b32_e32 v111, 3, v20
	s_wait_alu 0xfffd
	v_add_co_ci_u32_e64 v172, null, s77, v60, vcc_lo
	v_add_co_u32 v184, vcc_lo, v59, s64
	v_lshlrev_b64_e32 v[61:62], 3, v[6:7]
	v_lshlrev_b64_e32 v[63:64], 3, v[8:9]
	;; [unrolled: 1-line block ×3, first 2 shown]
	v_add_nc_u32_e32 v106, 0x2380, v105
	v_cmp_gt_i32_e64 s1, s38, v1
	v_mad_u32_u24 v107, 0x108, v1, v14
	v_add_nc_u32_e32 v109, 8, v108
	v_add_nc_u32_e32 v110, 16, v108
	;; [unrolled: 1-line block ×5, first 2 shown]
	v_or_b32_e32 v123, 1, v115
	v_or_b32_e32 v124, 2, v115
	;; [unrolled: 1-line block ×3, first 2 shown]
	v_add_nc_u32_e32 v126, 16, v115
	v_add_nc_u32_e32 v127, 17, v115
	;; [unrolled: 1-line block ×14, first 2 shown]
	v_or_b32_e32 v170, 4, v0
	v_lshlrev_b32_e32 v171, 3, v1
	v_or_b32_e32 v173, 4, v3
	v_or_b32_e32 v174, 4, v10
	;; [unrolled: 1-line block ×7, first 2 shown]
	v_add_nc_u32_e32 v180, v14, v15
	v_add_nc_u32_e32 v181, v120, v17
	;; [unrolled: 1-line block ×4, first 2 shown]
	s_wait_alu 0xfffd
	v_add_co_ci_u32_e64 v185, null, s65, v60, vcc_lo
	s_or_b32 s67, s48, s49
	s_add_co_i32 s72, s36, -2
	s_sub_nc_u64 s[48:49], 0, s[38:39]
	s_lshl_b64 s[30:31], s[30:31], 3
	s_lshl_b64 s[26:27], s[26:27], 3
	s_or_b32 s76, s67, s66
	s_lshl_b64 s[58:59], s[22:23], 3
	s_lshl_b64 s[60:61], s[60:61], 3
	;; [unrolled: 1-line block ×3, first 2 shown]
	s_branch .LBB38_4
.LBB38_2:                               ;   in Loop: Header=BB38_4 Depth=1
	s_wait_alu 0xfffe
	s_or_b32 exec_lo, exec_lo, s22
.LBB38_3:                               ;   in Loop: Header=BB38_4 Depth=1
	s_add_co_i32 s34, s34, 0x10000
	s_delay_alu instid0(SALU_CYCLE_1)
	s_cmp_lt_u32 s34, s33
	s_cbranch_scc0 .LBB38_189
.LBB38_4:                               ; =>This Loop Header: Depth=1
                                        ;     Child Loop BB38_113 Depth 2
	s_wait_alu 0xfffe
	s_and_not1_b32 vcc_lo, exec_lo, s76
	s_wait_alu 0xfffe
	s_cbranch_vccnz .LBB38_3
; %bb.5:                                ;   in Loop: Header=BB38_4 Depth=1
	s_and_b32 vcc_lo, exec_lo, s68
	s_mov_b32 s22, -1
	s_wait_alu 0xfffe
	s_cbranch_vccz .LBB38_7
; %bb.6:                                ;   in Loop: Header=BB38_4 Depth=1
	s_mov_b32 s22, 0
.LBB38_7:                               ;   in Loop: Header=BB38_4 Depth=1
	s_wait_alu 0xfffe
	s_and_not1_b32 vcc_lo, exec_lo, s22
	s_wait_alu 0xfffe
	s_cbranch_vccnz .LBB38_3
; %bb.8:                                ;   in Loop: Header=BB38_4 Depth=1
	s_lshl_b64 s[22:23], s[34:35], 3
	s_wait_alu 0xfffe
	s_add_nc_u64 s[64:65], s[28:29], s[22:23]
	s_add_nc_u64 s[22:23], s[24:25], s[22:23]
	s_clause 0x1
	global_load_b64 v[2:3], v67, s[64:65]
	global_load_b64 v[0:1], v67, s[22:23]
	s_wait_loadcnt 0x1
	v_add_co_u32 v2, vcc_lo, v2, s30
	s_wait_alu 0xfffd
	v_add_co_ci_u32_e64 v3, null, s31, v3, vcc_lo
	s_delay_alu instid0(VALU_DEP_2) | instskip(SKIP_1) | instid1(VALU_DEP_2)
	v_add_co_u32 v12, vcc_lo, v2, v61
	s_wait_alu 0xfffd
	v_add_co_ci_u32_e64 v13, null, v3, v62, vcc_lo
	s_and_saveexec_b32 s22, s0
	s_cbranch_execz .LBB38_13
; %bb.9:                                ;   in Loop: Header=BB38_4 Depth=1
	s_and_saveexec_b32 s23, s70
	s_wait_alu 0xfffe
	s_xor_b32 s23, exec_lo, s23
; %bb.10:                               ;   in Loop: Header=BB38_4 Depth=1
	v_mov_b32_e32 v68, v67
	ds_store_b64 v106, v[67:68]
; %bb.11:                               ;   in Loop: Header=BB38_4 Depth=1
	s_wait_alu 0xfffe
	s_and_not1_saveexec_b32 s23, s23
	s_cbranch_execz .LBB38_13
; %bb.12:                               ;   in Loop: Header=BB38_4 Depth=1
	flat_load_b64 v[2:3], v[12:13]
	s_wait_loadcnt_dscnt 0x0
	ds_store_b64 v106, v[2:3]
.LBB38_13:                              ;   in Loop: Header=BB38_4 Depth=1
	s_wait_alu 0xfffe
	s_or_b32 exec_lo, exec_lo, s22
	s_wait_loadcnt 0x0
	v_add_co_u32 v0, vcc_lo, v0, s26
	s_wait_alu 0xfffd
	v_add_co_ci_u32_e64 v1, null, s27, v1, vcc_lo
	s_mov_b32 s22, -1
	v_add_co_u32 v0, vcc_lo, v0, s58
	s_wait_alu 0xfffd
	v_add_co_ci_u32_e64 v1, null, s59, v1, vcc_lo
	s_delay_alu instid0(VALU_DEP_2) | instskip(SKIP_1) | instid1(VALU_DEP_2)
	v_add_co_u32 v0, vcc_lo, v0, v57
	s_wait_alu 0xfffd
	v_add_co_ci_u32_e64 v1, null, v1, v58, vcc_lo
	s_delay_alu instid0(VALU_DEP_2) | instskip(SKIP_1) | instid1(VALU_DEP_2)
	v_add_co_u32 v2, vcc_lo, v0, s60
	s_wait_alu 0xfffd
	v_add_co_ci_u32_e64 v3, null, s61, v1, vcc_lo
	s_and_b32 vcc_lo, exec_lo, s37
                                        ; implicit-def: $vgpr0_vgpr1
	s_wait_alu 0xfffe
	s_cbranch_vccz .LBB38_25
; %bb.14:                               ;   in Loop: Header=BB38_4 Depth=1
	s_and_saveexec_b32 s22, s2
	s_wait_alu 0xfffe
	s_xor_b32 s22, exec_lo, s22
; %bb.15:                               ;   in Loop: Header=BB38_4 Depth=1
	v_mov_b32_e32 v68, v67
	ds_store_b64 v180, v[67:68]
; %bb.16:                               ;   in Loop: Header=BB38_4 Depth=1
	s_wait_alu 0xfffe
	s_or_saveexec_b32 s22, s22
	v_add_co_u32 v0, vcc_lo, v2, v63
	s_wait_alu 0xfffd
	v_add_co_ci_u32_e64 v1, null, v3, v64, vcc_lo
	s_lshl_b64 s[64:65], s[38:39], 3
	s_wait_alu 0xfffe
	v_add_co_u32 v0, vcc_lo, v0, s64
	s_wait_alu 0xfffd
	v_add_co_ci_u32_e64 v1, null, s65, v1, vcc_lo
	s_delay_alu instid0(VALU_DEP_2) | instskip(SKIP_1) | instid1(VALU_DEP_2)
	v_add_co_u32 v0, vcc_lo, v0, -8
	s_wait_alu 0xfffd
	v_add_co_ci_u32_e64 v1, null, -1, v1, vcc_lo
	s_delay_alu instid0(VALU_DEP_2) | instskip(NEXT) | instid1(VALU_DEP_2)
	v_cndmask_b32_e64 v0, v0, v2, s1
	v_cndmask_b32_e64 v1, v1, v3, s1
	s_xor_b32 exec_lo, exec_lo, s22
	s_cbranch_execnz .LBB38_171
; %bb.17:                               ;   in Loop: Header=BB38_4 Depth=1
	s_or_b32 exec_lo, exec_lo, s22
	s_and_saveexec_b32 s22, s3
	s_wait_alu 0xfffe
	s_xor_b32 s22, exec_lo, s22
	s_cbranch_execnz .LBB38_172
.LBB38_18:                              ;   in Loop: Header=BB38_4 Depth=1
	s_wait_alu 0xfffe
	s_and_not1_saveexec_b32 s22, s22
	s_cbranch_execnz .LBB38_173
.LBB38_19:                              ;   in Loop: Header=BB38_4 Depth=1
	s_wait_alu 0xfffe
	s_or_b32 exec_lo, exec_lo, s22
	s_and_saveexec_b32 s22, s4
	s_wait_alu 0xfffe
	s_xor_b32 s22, exec_lo, s22
	s_cbranch_execnz .LBB38_174
.LBB38_20:                              ;   in Loop: Header=BB38_4 Depth=1
	s_wait_alu 0xfffe
	s_and_not1_saveexec_b32 s22, s22
	s_cbranch_execnz .LBB38_175
.LBB38_21:                              ;   in Loop: Header=BB38_4 Depth=1
	s_wait_alu 0xfffe
	s_or_b32 exec_lo, exec_lo, s22
	s_and_saveexec_b32 s22, s5
	s_wait_alu 0xfffe
	s_xor_b32 s22, exec_lo, s22
	s_cbranch_execnz .LBB38_176
.LBB38_22:                              ;   in Loop: Header=BB38_4 Depth=1
	s_wait_alu 0xfffe
	s_and_not1_saveexec_b32 s22, s22
	s_cbranch_execz .LBB38_24
.LBB38_23:                              ;   in Loop: Header=BB38_4 Depth=1
	s_lshl_b64 s[64:65], s[46:47], 3
	s_wait_alu 0xfffe
	v_add_co_u32 v4, vcc_lo, v0, s64
	s_wait_alu 0xfffd
	v_add_co_ci_u32_e64 v5, null, s65, v1, vcc_lo
	flat_load_b64 v[4:5], v[4:5]
	s_wait_loadcnt_dscnt 0x0
	ds_store_b64 v180, v[4:5] offset:6336
.LBB38_24:                              ;   in Loop: Header=BB38_4 Depth=1
	s_wait_alu 0xfffe
	s_or_b32 exec_lo, exec_lo, s22
	v_add_co_u32 v0, vcc_lo, v0, v171
	s_wait_alu 0xfffd
	v_add_co_ci_u32_e64 v1, null, 0, v1, vcc_lo
	s_lshl_b64 s[22:23], s[48:49], 3
	s_wait_alu 0xfffe
	v_add_co_u32 v0, vcc_lo, v0, s22
	s_wait_alu 0xfffd
	v_add_co_ci_u32_e64 v1, null, s23, v1, vcc_lo
	s_mov_b32 s22, 0
	v_add_co_u32 v0, vcc_lo, v0, 8
	s_wait_alu 0xfffd
	v_add_co_ci_u32_e64 v1, null, 0, v1, vcc_lo
	s_delay_alu instid0(VALU_DEP_2) | instskip(NEXT) | instid1(VALU_DEP_2)
	v_cndmask_b32_e64 v0, v0, v2, s1
	v_cndmask_b32_e64 v1, v1, v3, s1
.LBB38_25:                              ;   in Loop: Header=BB38_4 Depth=1
	s_wait_alu 0xfffe
	s_and_b32 vcc_lo, exec_lo, s22
	s_wait_alu 0xfffe
	s_cbranch_vccz .LBB38_27
; %bb.26:                               ;   in Loop: Header=BB38_4 Depth=1
	s_lshl_b64 s[22:23], s[44:45], 3
	s_wait_alu 0xfffe
	v_add_co_u32 v0, vcc_lo, v2, s22
	s_wait_alu 0xfffd
	v_add_co_ci_u32_e64 v1, null, s23, v3, vcc_lo
	s_delay_alu instid0(VALU_DEP_2) | instskip(SKIP_1) | instid1(VALU_DEP_2)
	v_add_co_u32 v4, vcc_lo, v0, s50
	s_wait_alu 0xfffd
	v_add_co_ci_u32_e64 v5, null, s51, v1, vcc_lo
	s_delay_alu instid0(VALU_DEP_2) | instskip(SKIP_1) | instid1(VALU_DEP_2)
	v_add_co_u32 v6, vcc_lo, v4, s50
	s_wait_alu 0xfffd
	v_add_co_ci_u32_e64 v7, null, s51, v5, vcc_lo
	s_clause 0x3
	flat_load_b64 v[8:9], v[2:3]
	flat_load_b64 v[10:11], v[0:1]
	;; [unrolled: 1-line block ×4, first 2 shown]
	v_dual_mov_b32 v0, v2 :: v_dual_mov_b32 v1, v3
	s_wait_loadcnt_dscnt 0x303
	ds_store_b64 v180, v[8:9]
	s_wait_loadcnt_dscnt 0x203
	ds_store_b64 v180, v[10:11] offset:2112
	s_wait_loadcnt_dscnt 0x103
	ds_store_b64 v180, v[4:5] offset:4224
	;; [unrolled: 2-line block ×3, first 2 shown]
.LBB38_27:                              ;   in Loop: Header=BB38_4 Depth=1
	s_mov_b32 s22, 0
	s_wait_dscnt 0x0
	s_barrier_signal -1
	s_barrier_wait -1
	global_inv scope:SCOPE_SE
	s_and_saveexec_b32 s23, s6
	s_wait_alu 0xfffe
	s_xor_b32 s23, exec_lo, s23
; %bb.28:                               ;   in Loop: Header=BB38_4 Depth=1
	s_and_b32 s22, s7, exec_lo
; %bb.29:                               ;   in Loop: Header=BB38_4 Depth=1
	s_wait_alu 0xfffe
	s_or_saveexec_b32 s23, s23
	v_dual_mov_b32 v2, 0 :: v_dual_mov_b32 v3, v107
	s_wait_alu 0xfffe
	s_xor_b32 exec_lo, exec_lo, s23
	s_cbranch_execz .LBB38_31
; %bb.30:                               ;   in Loop: Header=BB38_4 Depth=1
	ds_load_b64 v[4:5], v182
	v_mov_b32_e32 v3, v108
	s_or_b32 s22, s22, exec_lo
	s_wait_dscnt 0x0
	v_xor_b32_e32 v2, 0x80000000, v5
	ds_store_b32 v108, v4
.LBB38_31:                              ;   in Loop: Header=BB38_4 Depth=1
	s_or_b32 exec_lo, exec_lo, s23
	s_wait_alu 0xfffe
	s_and_saveexec_b32 s23, s22
; %bb.32:                               ;   in Loop: Header=BB38_4 Depth=1
	ds_store_b32 v3, v2 offset:4
; %bb.33:                               ;   in Loop: Header=BB38_4 Depth=1
	s_wait_alu 0xfffe
	s_or_b32 exec_lo, exec_lo, s23
	s_mov_b32 s22, 0
                                        ; implicit-def: $vgpr2
	s_and_saveexec_b32 s23, s8
	s_wait_alu 0xfffe
	s_xor_b32 s23, exec_lo, s23
	s_cbranch_execnz .LBB38_167
; %bb.34:                               ;   in Loop: Header=BB38_4 Depth=1
	s_wait_alu 0xfffe
	s_or_saveexec_b32 s23, s23
	v_mov_b32_e32 v3, v109
	s_wait_alu 0xfffe
	s_xor_b32 exec_lo, exec_lo, s23
	s_cbranch_execnz .LBB38_168
.LBB38_35:                              ;   in Loop: Header=BB38_4 Depth=1
	s_or_b32 exec_lo, exec_lo, s23
	s_and_saveexec_b32 s23, s22
.LBB38_36:                              ;   in Loop: Header=BB38_4 Depth=1
	ds_store_b32 v3, v2 offset:4
.LBB38_37:                              ;   in Loop: Header=BB38_4 Depth=1
	s_wait_alu 0xfffe
	s_or_b32 exec_lo, exec_lo, s23
	s_mov_b32 s22, 0
	s_and_saveexec_b32 s23, s10
	s_wait_alu 0xfffe
	s_xor_b32 s23, exec_lo, s23
; %bb.38:                               ;   in Loop: Header=BB38_4 Depth=1
	s_and_b32 s22, s11, exec_lo
; %bb.39:                               ;   in Loop: Header=BB38_4 Depth=1
	s_wait_alu 0xfffe
	s_or_saveexec_b32 s23, s23
	v_dual_mov_b32 v2, 0 :: v_dual_mov_b32 v3, v107
	s_wait_alu 0xfffe
	s_xor_b32 exec_lo, exec_lo, s23
	s_cbranch_execz .LBB38_41
; %bb.40:                               ;   in Loop: Header=BB38_4 Depth=1
	ds_load_b64 v[4:5], v183 offset:264
	v_mov_b32_e32 v3, v110
	s_or_b32 s22, s22, exec_lo
	s_wait_dscnt 0x0
	v_xor_b32_e32 v2, 0x80000000, v5
	ds_store_b32 v110, v4
.LBB38_41:                              ;   in Loop: Header=BB38_4 Depth=1
	s_or_b32 exec_lo, exec_lo, s23
	s_wait_alu 0xfffe
	s_and_saveexec_b32 s23, s22
; %bb.42:                               ;   in Loop: Header=BB38_4 Depth=1
	ds_store_b32 v3, v2 offset:4
; %bb.43:                               ;   in Loop: Header=BB38_4 Depth=1
	s_wait_alu 0xfffe
	s_or_b32 exec_lo, exec_lo, s23
	s_mov_b32 s22, 0
	s_and_saveexec_b32 s23, s12
	s_wait_alu 0xfffe
	s_xor_b32 s23, exec_lo, s23
; %bb.44:                               ;   in Loop: Header=BB38_4 Depth=1
	s_and_b32 s22, s13, exec_lo
; %bb.45:                               ;   in Loop: Header=BB38_4 Depth=1
	s_wait_alu 0xfffe
	s_or_saveexec_b32 s23, s23
	v_dual_mov_b32 v2, 0 :: v_dual_mov_b32 v3, v107
	s_wait_alu 0xfffe
	s_xor_b32 exec_lo, exec_lo, s23
	s_cbranch_execz .LBB38_47
; %bb.46:                               ;   in Loop: Header=BB38_4 Depth=1
	ds_load_b64 v[4:5], v183 offset:528
	v_mov_b32_e32 v3, v112
	s_or_b32 s22, s22, exec_lo
	s_wait_dscnt 0x0
	v_xor_b32_e32 v2, 0x80000000, v5
	ds_store_b32 v112, v4
.LBB38_47:                              ;   in Loop: Header=BB38_4 Depth=1
	s_or_b32 exec_lo, exec_lo, s23
	s_wait_alu 0xfffe
	s_and_saveexec_b32 s23, s22
; %bb.48:                               ;   in Loop: Header=BB38_4 Depth=1
	ds_store_b32 v3, v2 offset:4
; %bb.49:                               ;   in Loop: Header=BB38_4 Depth=1
	s_wait_alu 0xfffe
	s_or_b32 exec_lo, exec_lo, s23
	s_wait_loadcnt_dscnt 0x0
	s_barrier_signal -1
	s_barrier_wait -1
	global_inv scope:SCOPE_SE
	ds_load_b64 v[10:11], v182
	ds_load_b128 v[2:5], v113
	ds_load_2addr_b64 v[6:9], v183 offset1:33
	ds_load_b128 v[14:17], v113 offset:16
	ds_load_b64 v[18:19], v183 offset:528
	s_wait_loadcnt_dscnt 0x0
	s_barrier_signal -1
	s_barrier_wait -1
	global_inv scope:SCOPE_SE
	v_mov_b32_e32 v70, 0
	v_mul_f32_e32 v20, v3, v11
	v_dual_mul_f32 v11, v2, v11 :: v_dual_mul_f32 v22, v15, v9
	v_mul_f32_e32 v9, v14, v9
	s_delay_alu instid0(VALU_DEP_3) | instskip(SKIP_1) | instid1(VALU_DEP_4)
	v_fma_f32 v2, v2, v10, -v20
	v_mul_f32_e32 v21, v5, v7
	v_fmac_f32_e32 v11, v3, v10
	s_delay_alu instid0(VALU_DEP_4) | instskip(SKIP_3) | instid1(VALU_DEP_1)
	v_fmac_f32_e32 v9, v15, v8
	v_fma_f32 v10, v14, v8, -v22
	v_dual_add_f32 v2, 0, v2 :: v_dual_mul_f32 v7, v4, v7
	v_fma_f32 v4, v4, v6, -v21
	v_dual_add_f32 v2, v2, v4 :: v_dual_fmac_f32 v7, v5, v6
	v_mul_f32_e32 v6, v16, v19
	v_add_f32_e32 v5, 0, v11
	s_delay_alu instid0(VALU_DEP_3) | instskip(NEXT) | instid1(VALU_DEP_3)
	v_dual_mul_f32 v3, v17, v19 :: v_dual_add_f32 v2, v2, v10
	v_fmac_f32_e32 v6, v17, v18
	s_delay_alu instid0(VALU_DEP_3) | instskip(NEXT) | instid1(VALU_DEP_3)
	v_add_f32_e32 v4, v5, v7
	v_fma_f32 v3, v16, v18, -v3
	s_delay_alu instid0(VALU_DEP_2) | instskip(NEXT) | instid1(VALU_DEP_1)
	v_dual_mov_b32 v69, 0 :: v_dual_add_f32 v4, v4, v9
	v_dual_add_f32 v2, v2, v3 :: v_dual_add_f32 v3, v4, v6
	ds_store_b64 v114, v[2:3]
	s_wait_loadcnt_dscnt 0x0
	s_barrier_signal -1
	s_barrier_wait -1
	global_inv scope:SCOPE_SE
	s_and_saveexec_b32 s22, s14
	s_cbranch_execz .LBB38_51
; %bb.50:                               ;   in Loop: Header=BB38_4 Depth=1
	ds_load_2addr_b64 v[2:5], v111 offset1:7
	ds_load_2addr_b64 v[6:9], v111 offset0:1 offset1:2
	ds_load_2addr_b64 v[14:17], v111 offset0:3 offset1:4
	;; [unrolled: 1-line block ×3, first 2 shown]
	s_wait_dscnt 0x2
	v_dual_add_f32 v2, v6, v2 :: v_dual_add_f32 v3, v7, v3
	s_delay_alu instid0(VALU_DEP_1) | instskip(SKIP_1) | instid1(VALU_DEP_1)
	v_dual_add_f32 v2, v8, v2 :: v_dual_add_f32 v3, v9, v3
	s_wait_dscnt 0x1
	v_dual_add_f32 v2, v2, v14 :: v_dual_add_f32 v3, v3, v15
	s_delay_alu instid0(VALU_DEP_1) | instskip(SKIP_1) | instid1(VALU_DEP_1)
	v_dual_add_f32 v2, v2, v16 :: v_dual_add_f32 v3, v3, v17
	s_wait_dscnt 0x0
	v_dual_add_f32 v2, v2, v18 :: v_dual_add_f32 v3, v3, v19
	s_delay_alu instid0(VALU_DEP_1) | instskip(NEXT) | instid1(VALU_DEP_1)
	v_dual_add_f32 v2, v2, v20 :: v_dual_add_f32 v3, v3, v21
	v_dual_add_f32 v69, v2, v4 :: v_dual_add_f32 v70, v3, v5
.LBB38_51:                              ;   in Loop: Header=BB38_4 Depth=1
	s_wait_alu 0xfffe
	s_or_b32 exec_lo, exec_lo, s22
	v_add_co_u32 v4, vcc_lo, v0, s52
	s_wait_alu 0xfffd
	v_add_co_ci_u32_e64 v5, null, s53, v1, vcc_lo
	s_mov_b32 s22, -1
	v_add_co_u32 v2, vcc_lo, 0x100, v4
	s_wait_alu 0xfffd
	v_add_co_ci_u32_e64 v3, null, 0, v5, vcc_lo
	s_and_b32 vcc_lo, exec_lo, s37
	s_wait_loadcnt 0x0
	s_barrier_signal -1
	s_barrier_wait -1
	global_inv scope:SCOPE_SE
                                        ; implicit-def: $vgpr0_vgpr1
	s_wait_alu 0xfffe
	s_cbranch_vccz .LBB38_63
; %bb.52:                               ;   in Loop: Header=BB38_4 Depth=1
	s_and_saveexec_b32 s22, s16
	s_wait_alu 0xfffe
	s_xor_b32 s22, exec_lo, s22
; %bb.53:                               ;   in Loop: Header=BB38_4 Depth=1
	v_mov_b32_e32 v68, v67
	ds_store_b64 v180, v[67:68]
; %bb.54:                               ;   in Loop: Header=BB38_4 Depth=1
	s_wait_alu 0xfffe
	s_or_saveexec_b32 s22, s22
	v_add_co_u32 v0, vcc_lo, v4, v63
	s_wait_alu 0xfffd
	v_add_co_ci_u32_e64 v1, null, v5, v64, vcc_lo
	s_lshl_b64 s[64:65], s[38:39], 3
	s_wait_alu 0xfffe
	v_add_co_u32 v0, vcc_lo, v0, s64
	s_wait_alu 0xfffd
	v_add_co_ci_u32_e64 v1, null, s65, v1, vcc_lo
	s_delay_alu instid0(VALU_DEP_2) | instskip(SKIP_1) | instid1(VALU_DEP_2)
	v_add_co_u32 v0, vcc_lo, v0, -8
	s_wait_alu 0xfffd
	v_add_co_ci_u32_e64 v1, null, -1, v1, vcc_lo
	s_delay_alu instid0(VALU_DEP_2) | instskip(NEXT) | instid1(VALU_DEP_2)
	v_cndmask_b32_e64 v0, v0, v2, s15
	v_cndmask_b32_e64 v1, v1, v3, s15
	s_xor_b32 exec_lo, exec_lo, s22
	s_cbranch_execnz .LBB38_177
; %bb.55:                               ;   in Loop: Header=BB38_4 Depth=1
	s_or_b32 exec_lo, exec_lo, s22
	s_and_saveexec_b32 s22, s17
	s_wait_alu 0xfffe
	s_xor_b32 s22, exec_lo, s22
	s_cbranch_execnz .LBB38_178
.LBB38_56:                              ;   in Loop: Header=BB38_4 Depth=1
	s_wait_alu 0xfffe
	s_and_not1_saveexec_b32 s22, s22
	s_cbranch_execnz .LBB38_179
.LBB38_57:                              ;   in Loop: Header=BB38_4 Depth=1
	s_wait_alu 0xfffe
	s_or_b32 exec_lo, exec_lo, s22
	s_and_saveexec_b32 s22, s18
	s_wait_alu 0xfffe
	s_xor_b32 s22, exec_lo, s22
	s_cbranch_execnz .LBB38_180
.LBB38_58:                              ;   in Loop: Header=BB38_4 Depth=1
	s_wait_alu 0xfffe
	s_and_not1_saveexec_b32 s22, s22
	s_cbranch_execnz .LBB38_181
.LBB38_59:                              ;   in Loop: Header=BB38_4 Depth=1
	s_wait_alu 0xfffe
	s_or_b32 exec_lo, exec_lo, s22
	s_and_saveexec_b32 s22, s19
	s_wait_alu 0xfffe
	s_xor_b32 s22, exec_lo, s22
	s_cbranch_execnz .LBB38_182
.LBB38_60:                              ;   in Loop: Header=BB38_4 Depth=1
	s_wait_alu 0xfffe
	s_and_not1_saveexec_b32 s22, s22
	s_cbranch_execz .LBB38_62
.LBB38_61:                              ;   in Loop: Header=BB38_4 Depth=1
	s_lshl_b64 s[64:65], s[46:47], 3
	s_wait_alu 0xfffe
	v_add_co_u32 v6, vcc_lo, v0, s64
	s_wait_alu 0xfffd
	v_add_co_ci_u32_e64 v7, null, s65, v1, vcc_lo
	flat_load_b64 v[6:7], v[6:7]
	s_wait_loadcnt_dscnt 0x0
	ds_store_b64 v180, v[6:7] offset:6336
.LBB38_62:                              ;   in Loop: Header=BB38_4 Depth=1
	s_wait_alu 0xfffe
	s_or_b32 exec_lo, exec_lo, s22
	v_add_co_u32 v0, vcc_lo, v0, v171
	s_wait_alu 0xfffd
	v_add_co_ci_u32_e64 v1, null, 0, v1, vcc_lo
	s_lshl_b64 s[22:23], s[48:49], 3
	s_wait_alu 0xfffe
	v_add_co_u32 v0, vcc_lo, v0, s22
	s_wait_alu 0xfffd
	v_add_co_ci_u32_e64 v1, null, s23, v1, vcc_lo
	s_mov_b32 s22, 0
	v_add_co_u32 v0, vcc_lo, 0x108, v0
	s_wait_alu 0xfffd
	v_add_co_ci_u32_e64 v1, null, 0, v1, vcc_lo
	s_delay_alu instid0(VALU_DEP_2) | instskip(NEXT) | instid1(VALU_DEP_2)
	v_cndmask_b32_e64 v0, v0, v2, s15
	v_cndmask_b32_e64 v1, v1, v3, s15
.LBB38_63:                              ;   in Loop: Header=BB38_4 Depth=1
	s_wait_alu 0xfffe
	s_and_b32 vcc_lo, exec_lo, s22
	s_wait_alu 0xfffe
	s_cbranch_vccz .LBB38_65
; %bb.64:                               ;   in Loop: Header=BB38_4 Depth=1
	s_lshl_b64 s[22:23], s[44:45], 3
	s_wait_alu 0xfffe
	v_add_co_u32 v0, vcc_lo, v4, s22
	s_wait_alu 0xfffd
	v_add_co_ci_u32_e64 v1, null, s23, v5, vcc_lo
	s_delay_alu instid0(VALU_DEP_2) | instskip(SKIP_1) | instid1(VALU_DEP_2)
	v_add_co_u32 v6, vcc_lo, v0, s50
	s_wait_alu 0xfffd
	v_add_co_ci_u32_e64 v7, null, s51, v1, vcc_lo
	s_delay_alu instid0(VALU_DEP_2) | instskip(SKIP_1) | instid1(VALU_DEP_2)
	v_add_co_u32 v8, vcc_lo, v6, s50
	s_wait_alu 0xfffd
	v_add_co_ci_u32_e64 v9, null, s51, v7, vcc_lo
	s_clause 0x3
	flat_load_b64 v[4:5], v[4:5] offset:256
	flat_load_b64 v[10:11], v[0:1] offset:256
	;; [unrolled: 1-line block ×4, first 2 shown]
	v_dual_mov_b32 v0, v2 :: v_dual_mov_b32 v1, v3
	s_wait_loadcnt_dscnt 0x303
	ds_store_b64 v180, v[4:5]
	s_wait_loadcnt_dscnt 0x203
	ds_store_b64 v180, v[10:11] offset:2112
	s_wait_loadcnt_dscnt 0x103
	ds_store_b64 v180, v[6:7] offset:4224
	;; [unrolled: 2-line block ×3, first 2 shown]
.LBB38_65:                              ;   in Loop: Header=BB38_4 Depth=1
	s_mov_b32 s22, 0
	s_wait_loadcnt_dscnt 0x0
	s_barrier_signal -1
	s_barrier_wait -1
	global_inv scope:SCOPE_SE
	s_and_saveexec_b32 s23, s6
	s_wait_alu 0xfffe
	s_xor_b32 s23, exec_lo, s23
; %bb.66:                               ;   in Loop: Header=BB38_4 Depth=1
	s_and_b32 s22, s7, exec_lo
; %bb.67:                               ;   in Loop: Header=BB38_4 Depth=1
	s_wait_alu 0xfffe
	s_or_saveexec_b32 s23, s23
	v_dual_mov_b32 v2, 0 :: v_dual_mov_b32 v3, v107
	s_wait_alu 0xfffe
	s_xor_b32 exec_lo, exec_lo, s23
	s_cbranch_execz .LBB38_69
; %bb.68:                               ;   in Loop: Header=BB38_4 Depth=1
	ds_load_b64 v[4:5], v182
	v_mov_b32_e32 v3, v108
	s_or_b32 s22, s22, exec_lo
	s_wait_dscnt 0x0
	v_xor_b32_e32 v2, 0x80000000, v5
	ds_store_b32 v108, v4
.LBB38_69:                              ;   in Loop: Header=BB38_4 Depth=1
	s_or_b32 exec_lo, exec_lo, s23
	s_wait_alu 0xfffe
	s_and_saveexec_b32 s23, s22
; %bb.70:                               ;   in Loop: Header=BB38_4 Depth=1
	ds_store_b32 v3, v2 offset:4
; %bb.71:                               ;   in Loop: Header=BB38_4 Depth=1
	s_wait_alu 0xfffe
	s_or_b32 exec_lo, exec_lo, s23
	s_mov_b32 s22, 0
                                        ; implicit-def: $vgpr2
	s_and_saveexec_b32 s23, s8
	s_wait_alu 0xfffe
	s_xor_b32 s23, exec_lo, s23
	s_cbranch_execnz .LBB38_169
; %bb.72:                               ;   in Loop: Header=BB38_4 Depth=1
	s_wait_alu 0xfffe
	s_or_saveexec_b32 s23, s23
	v_mov_b32_e32 v3, v109
	s_wait_alu 0xfffe
	s_xor_b32 exec_lo, exec_lo, s23
	s_cbranch_execnz .LBB38_170
.LBB38_73:                              ;   in Loop: Header=BB38_4 Depth=1
	s_or_b32 exec_lo, exec_lo, s23
	s_and_saveexec_b32 s23, s22
.LBB38_74:                              ;   in Loop: Header=BB38_4 Depth=1
	ds_store_b32 v3, v2 offset:4
.LBB38_75:                              ;   in Loop: Header=BB38_4 Depth=1
	s_wait_alu 0xfffe
	s_or_b32 exec_lo, exec_lo, s23
	s_mov_b32 s22, 0
	s_and_saveexec_b32 s23, s10
	s_wait_alu 0xfffe
	s_xor_b32 s23, exec_lo, s23
; %bb.76:                               ;   in Loop: Header=BB38_4 Depth=1
	s_and_b32 s22, s11, exec_lo
; %bb.77:                               ;   in Loop: Header=BB38_4 Depth=1
	s_wait_alu 0xfffe
	s_or_saveexec_b32 s23, s23
	v_dual_mov_b32 v2, 0 :: v_dual_mov_b32 v3, v107
	s_wait_alu 0xfffe
	s_xor_b32 exec_lo, exec_lo, s23
	s_cbranch_execz .LBB38_79
; %bb.78:                               ;   in Loop: Header=BB38_4 Depth=1
	ds_load_b64 v[4:5], v183 offset:264
	v_mov_b32_e32 v3, v110
	s_or_b32 s22, s22, exec_lo
	s_wait_dscnt 0x0
	v_xor_b32_e32 v2, 0x80000000, v5
	ds_store_b32 v110, v4
.LBB38_79:                              ;   in Loop: Header=BB38_4 Depth=1
	s_or_b32 exec_lo, exec_lo, s23
	s_wait_alu 0xfffe
	s_and_saveexec_b32 s23, s22
; %bb.80:                               ;   in Loop: Header=BB38_4 Depth=1
	ds_store_b32 v3, v2 offset:4
; %bb.81:                               ;   in Loop: Header=BB38_4 Depth=1
	s_wait_alu 0xfffe
	s_or_b32 exec_lo, exec_lo, s23
	s_mov_b32 s22, 0
	s_and_saveexec_b32 s23, s12
	s_wait_alu 0xfffe
	s_xor_b32 s23, exec_lo, s23
; %bb.82:                               ;   in Loop: Header=BB38_4 Depth=1
	s_and_b32 s22, s13, exec_lo
; %bb.83:                               ;   in Loop: Header=BB38_4 Depth=1
	s_wait_alu 0xfffe
	s_or_saveexec_b32 s23, s23
	v_dual_mov_b32 v2, 0 :: v_dual_mov_b32 v3, v107
	s_wait_alu 0xfffe
	s_xor_b32 exec_lo, exec_lo, s23
	s_cbranch_execz .LBB38_85
; %bb.84:                               ;   in Loop: Header=BB38_4 Depth=1
	ds_load_b64 v[4:5], v183 offset:528
	v_mov_b32_e32 v3, v112
	s_or_b32 s22, s22, exec_lo
	s_wait_dscnt 0x0
	v_xor_b32_e32 v2, 0x80000000, v5
	ds_store_b32 v112, v4
.LBB38_85:                              ;   in Loop: Header=BB38_4 Depth=1
	s_or_b32 exec_lo, exec_lo, s23
	s_wait_alu 0xfffe
	s_and_saveexec_b32 s23, s22
; %bb.86:                               ;   in Loop: Header=BB38_4 Depth=1
	ds_store_b32 v3, v2 offset:4
; %bb.87:                               ;   in Loop: Header=BB38_4 Depth=1
	s_wait_alu 0xfffe
	s_or_b32 exec_lo, exec_lo, s23
	s_wait_loadcnt_dscnt 0x0
	s_barrier_signal -1
	s_barrier_wait -1
	global_inv scope:SCOPE_SE
	ds_load_b64 v[10:11], v182
	ds_load_b128 v[2:5], v113 offset:256
	ds_load_2addr_b64 v[6:9], v183 offset1:33
	ds_load_b128 v[14:17], v113 offset:272
	ds_load_b64 v[18:19], v183 offset:528
	s_wait_loadcnt_dscnt 0x0
	s_barrier_signal -1
	s_barrier_wait -1
	global_inv scope:SCOPE_SE
	v_mul_f32_e32 v20, v3, v11
	v_dual_mul_f32 v11, v2, v11 :: v_dual_mul_f32 v22, v15, v9
	v_mul_f32_e32 v9, v14, v9
	s_delay_alu instid0(VALU_DEP_3) | instskip(SKIP_1) | instid1(VALU_DEP_4)
	v_fma_f32 v2, v2, v10, -v20
	v_mul_f32_e32 v21, v5, v7
	v_fmac_f32_e32 v11, v3, v10
	s_delay_alu instid0(VALU_DEP_4) | instskip(SKIP_3) | instid1(VALU_DEP_1)
	v_fmac_f32_e32 v9, v15, v8
	v_fma_f32 v10, v14, v8, -v22
	v_dual_add_f32 v2, 0, v2 :: v_dual_mul_f32 v7, v4, v7
	v_fma_f32 v4, v4, v6, -v21
	v_dual_add_f32 v2, v2, v4 :: v_dual_fmac_f32 v7, v5, v6
	v_mul_f32_e32 v6, v16, v19
	v_add_f32_e32 v5, 0, v11
	s_delay_alu instid0(VALU_DEP_3) | instskip(NEXT) | instid1(VALU_DEP_3)
	v_dual_mul_f32 v3, v17, v19 :: v_dual_add_f32 v2, v2, v10
	v_fmac_f32_e32 v6, v17, v18
	s_delay_alu instid0(VALU_DEP_3) | instskip(NEXT) | instid1(VALU_DEP_3)
	v_add_f32_e32 v4, v5, v7
	v_fma_f32 v3, v16, v18, -v3
	s_delay_alu instid0(VALU_DEP_2) | instskip(NEXT) | instid1(VALU_DEP_1)
	v_add_f32_e32 v4, v4, v9
	v_dual_add_f32 v2, v2, v3 :: v_dual_add_f32 v3, v4, v6
	ds_store_b64 v114, v[2:3]
	s_wait_loadcnt_dscnt 0x0
	s_barrier_signal -1
	s_barrier_wait -1
	global_inv scope:SCOPE_SE
	s_and_saveexec_b32 s22, s20
	s_cbranch_execz .LBB38_89
; %bb.88:                               ;   in Loop: Header=BB38_4 Depth=1
	ds_load_2addr_b64 v[2:5], v111 offset1:7
	ds_load_2addr_b64 v[6:9], v111 offset0:1 offset1:2
	ds_load_2addr_b64 v[14:17], v111 offset0:3 offset1:4
	;; [unrolled: 1-line block ×3, first 2 shown]
	s_wait_dscnt 0x2
	v_dual_add_f32 v2, v6, v2 :: v_dual_add_f32 v3, v7, v3
	s_delay_alu instid0(VALU_DEP_1) | instskip(SKIP_1) | instid1(VALU_DEP_1)
	v_dual_add_f32 v2, v8, v2 :: v_dual_add_f32 v3, v9, v3
	s_wait_dscnt 0x1
	v_dual_add_f32 v2, v2, v14 :: v_dual_add_f32 v3, v3, v15
	s_delay_alu instid0(VALU_DEP_1) | instskip(SKIP_1) | instid1(VALU_DEP_1)
	v_dual_add_f32 v2, v2, v16 :: v_dual_add_f32 v3, v3, v17
	s_wait_dscnt 0x0
	v_dual_add_f32 v2, v2, v18 :: v_dual_add_f32 v3, v3, v19
	s_delay_alu instid0(VALU_DEP_1) | instskip(NEXT) | instid1(VALU_DEP_1)
	v_dual_add_f32 v2, v2, v20 :: v_dual_add_f32 v3, v3, v21
	v_dual_add_f32 v69, v2, v4 :: v_dual_add_f32 v70, v3, v5
.LBB38_89:                              ;   in Loop: Header=BB38_4 Depth=1
	s_wait_alu 0xfffe
	s_or_b32 exec_lo, exec_lo, s22
	v_add_co_u32 v2, vcc_lo, 0xffffff00, v0
	s_wait_alu 0xfffd
	v_add_co_ci_u32_e64 v3, null, -1, v1, vcc_lo
	s_and_b32 vcc_lo, exec_lo, s37
	s_mov_b32 s22, -1
	s_wait_loadcnt 0x0
	s_barrier_signal -1
	s_barrier_wait -1
	global_inv scope:SCOPE_SE
                                        ; implicit-def: $vgpr14_vgpr15
	s_wait_alu 0xfffe
	s_cbranch_vccz .LBB38_101
; %bb.90:                               ;   in Loop: Header=BB38_4 Depth=1
	s_and_saveexec_b32 s22, s16
	s_wait_alu 0xfffe
	s_xor_b32 s22, exec_lo, s22
; %bb.91:                               ;   in Loop: Header=BB38_4 Depth=1
	v_mov_b32_e32 v68, v67
	ds_store_b64 v180, v[67:68]
; %bb.92:                               ;   in Loop: Header=BB38_4 Depth=1
	s_wait_alu 0xfffe
	s_or_saveexec_b32 s22, s22
	v_add_co_u32 v4, vcc_lo, v0, v63
	s_wait_alu 0xfffd
	v_add_co_ci_u32_e64 v5, null, v1, v64, vcc_lo
	s_lshl_b64 s[64:65], s[38:39], 3
	s_wait_alu 0xfffe
	v_add_co_u32 v4, vcc_lo, v4, s64
	s_wait_alu 0xfffd
	v_add_co_ci_u32_e64 v5, null, s65, v5, vcc_lo
	s_delay_alu instid0(VALU_DEP_2) | instskip(SKIP_1) | instid1(VALU_DEP_2)
	v_add_co_u32 v4, vcc_lo, 0xfffffef8, v4
	s_wait_alu 0xfffd
	v_add_co_ci_u32_e64 v5, null, -1, v5, vcc_lo
	s_delay_alu instid0(VALU_DEP_2) | instskip(NEXT) | instid1(VALU_DEP_2)
	v_cndmask_b32_e64 v4, v4, v2, s1
	v_cndmask_b32_e64 v5, v5, v3, s1
	s_xor_b32 exec_lo, exec_lo, s22
	s_cbranch_execnz .LBB38_183
; %bb.93:                               ;   in Loop: Header=BB38_4 Depth=1
	s_or_b32 exec_lo, exec_lo, s22
	s_and_saveexec_b32 s22, s17
	s_wait_alu 0xfffe
	s_xor_b32 s22, exec_lo, s22
	s_cbranch_execnz .LBB38_184
.LBB38_94:                              ;   in Loop: Header=BB38_4 Depth=1
	s_wait_alu 0xfffe
	s_and_not1_saveexec_b32 s22, s22
	s_cbranch_execnz .LBB38_185
.LBB38_95:                              ;   in Loop: Header=BB38_4 Depth=1
	s_wait_alu 0xfffe
	s_or_b32 exec_lo, exec_lo, s22
	s_and_saveexec_b32 s22, s18
	s_wait_alu 0xfffe
	s_xor_b32 s22, exec_lo, s22
	s_cbranch_execnz .LBB38_186
.LBB38_96:                              ;   in Loop: Header=BB38_4 Depth=1
	s_wait_alu 0xfffe
	s_and_not1_saveexec_b32 s22, s22
	s_cbranch_execnz .LBB38_187
.LBB38_97:                              ;   in Loop: Header=BB38_4 Depth=1
	s_wait_alu 0xfffe
	s_or_b32 exec_lo, exec_lo, s22
	s_and_saveexec_b32 s22, s19
	s_wait_alu 0xfffe
	s_xor_b32 s22, exec_lo, s22
	s_cbranch_execnz .LBB38_188
.LBB38_98:                              ;   in Loop: Header=BB38_4 Depth=1
	s_wait_alu 0xfffe
	s_and_not1_saveexec_b32 s22, s22
	s_cbranch_execz .LBB38_100
.LBB38_99:                              ;   in Loop: Header=BB38_4 Depth=1
	s_lshl_b64 s[64:65], s[46:47], 3
	s_wait_alu 0xfffe
	v_add_co_u32 v6, vcc_lo, v4, s64
	s_wait_alu 0xfffd
	v_add_co_ci_u32_e64 v7, null, s65, v5, vcc_lo
	flat_load_b64 v[6:7], v[6:7]
	s_wait_loadcnt_dscnt 0x0
	ds_store_b64 v180, v[6:7] offset:6336
.LBB38_100:                             ;   in Loop: Header=BB38_4 Depth=1
	s_wait_alu 0xfffe
	s_or_b32 exec_lo, exec_lo, s22
	v_add_co_u32 v4, vcc_lo, v4, v171
	s_wait_alu 0xfffd
	v_add_co_ci_u32_e64 v5, null, 0, v5, vcc_lo
	s_lshl_b64 s[22:23], s[48:49], 3
	s_wait_alu 0xfffe
	v_add_co_u32 v4, vcc_lo, v4, s22
	s_wait_alu 0xfffd
	v_add_co_ci_u32_e64 v5, null, s23, v5, vcc_lo
	s_mov_b32 s22, 0
	v_add_co_u32 v4, vcc_lo, v4, 8
	s_wait_alu 0xfffd
	v_add_co_ci_u32_e64 v5, null, 0, v5, vcc_lo
	s_delay_alu instid0(VALU_DEP_2) | instskip(NEXT) | instid1(VALU_DEP_2)
	v_cndmask_b32_e64 v14, v4, v2, s1
	v_cndmask_b32_e64 v15, v5, v3, s1
.LBB38_101:                             ;   in Loop: Header=BB38_4 Depth=1
	s_wait_alu 0xfffe
	s_and_b32 vcc_lo, exec_lo, s22
	s_wait_alu 0xfffe
	s_cbranch_vccz .LBB38_103
; %bb.102:                              ;   in Loop: Header=BB38_4 Depth=1
	s_lshl_b64 s[22:23], s[44:45], 3
	v_dual_mov_b32 v15, v3 :: v_dual_mov_b32 v14, v2
	s_wait_alu 0xfffe
	v_add_co_u32 v4, vcc_lo, v0, s22
	s_wait_alu 0xfffd
	v_add_co_ci_u32_e64 v5, null, s23, v1, vcc_lo
	s_delay_alu instid0(VALU_DEP_2) | instskip(SKIP_1) | instid1(VALU_DEP_2)
	v_add_co_u32 v6, vcc_lo, v4, s50
	s_wait_alu 0xfffd
	v_add_co_ci_u32_e64 v7, null, s51, v5, vcc_lo
	s_delay_alu instid0(VALU_DEP_2) | instskip(SKIP_1) | instid1(VALU_DEP_2)
	v_add_co_u32 v8, vcc_lo, v6, s50
	s_wait_alu 0xfffd
	v_add_co_ci_u32_e64 v9, null, s51, v7, vcc_lo
	s_clause 0x3
	flat_load_b64 v[0:1], v[0:1] offset:-256
	flat_load_b64 v[4:5], v[4:5] offset:-256
	flat_load_b64 v[6:7], v[6:7] offset:-256
	flat_load_b64 v[8:9], v[8:9] offset:-256
	s_wait_loadcnt_dscnt 0x303
	ds_store_b64 v180, v[0:1]
	s_wait_loadcnt_dscnt 0x203
	ds_store_b64 v180, v[4:5] offset:2112
	s_wait_loadcnt_dscnt 0x103
	ds_store_b64 v180, v[6:7] offset:4224
	;; [unrolled: 2-line block ×3, first 2 shown]
.LBB38_103:                             ;   in Loop: Header=BB38_4 Depth=1
	v_add_nc_u32_e32 v0, v108, v116
	v_add_nc_u32_e32 v1, v113, v116
	s_wait_loadcnt_dscnt 0x0
	s_barrier_signal -1
	s_barrier_wait -1
	global_inv scope:SCOPE_SE
	ds_load_2addr_b64 v[20:23], v114 offset0:8 offset1:16
	ds_load_2addr_b64 v[24:27], v139 offset0:8 offset1:16
	ds_load_b64 v[28:29], v0
	ds_load_b64 v[30:31], v1
	ds_load_b64 v[32:33], v114 offset:192
	ds_load_b64 v[34:35], v139 offset:192
	ds_load_b128 v[8:11], v113 offset:256
	ds_load_b128 v[0:3], v113 offset:272
	ds_load_2addr_b64 v[4:7], v183 offset1:33
	ds_load_b64 v[18:19], v182
	ds_load_b64 v[16:17], v183 offset:528
	s_wait_loadcnt_dscnt 0x0
	s_barrier_signal -1
	s_barrier_wait -1
	global_inv scope:SCOPE_SE
	v_mul_f32_e32 v36, v21, v25
	v_mul_f32_e32 v38, v23, v27
	;; [unrolled: 1-line block ×4, first 2 shown]
	s_delay_alu instid0(VALU_DEP_4) | instskip(NEXT) | instid1(VALU_DEP_4)
	v_dual_mul_f32 v29, v29, v30 :: v_dual_fmac_f32 v36, v20, v24
	v_dual_mul_f32 v21, v21, v24 :: v_dual_fmac_f32 v38, v22, v26
	s_delay_alu instid0(VALU_DEP_4) | instskip(NEXT) | instid1(VALU_DEP_3)
	v_fmac_f32_e32 v37, v28, v30
	v_fma_f32 v28, v28, v31, -v29
	v_mul_f32_e32 v26, v33, v34
	s_delay_alu instid0(VALU_DEP_4) | instskip(SKIP_1) | instid1(VALU_DEP_4)
	v_fma_f32 v20, v20, v25, -v21
	v_fma_f32 v22, v22, v27, -v23
	v_dual_add_f32 v24, 0, v28 :: v_dual_add_f32 v21, 0, v37
	v_mul_f32_e32 v25, v33, v35
	v_fma_f32 v23, v32, v35, -v26
	s_delay_alu instid0(VALU_DEP_3) | instskip(NEXT) | instid1(VALU_DEP_4)
	v_add_f32_e32 v20, v24, v20
	v_add_f32_e32 v21, v21, v36
	s_delay_alu instid0(VALU_DEP_4) | instskip(NEXT) | instid1(VALU_DEP_3)
	v_fmac_f32_e32 v25, v32, v34
	v_add_f32_e32 v22, v20, v22
	s_delay_alu instid0(VALU_DEP_3) | instskip(NEXT) | instid1(VALU_DEP_1)
	v_add_f32_e32 v21, v21, v38
	v_dual_add_f32 v20, v21, v25 :: v_dual_add_f32 v21, v22, v23
	ds_store_b64 v114, v[20:21]
	s_wait_loadcnt_dscnt 0x0
	s_barrier_signal -1
	s_barrier_wait -1
	global_inv scope:SCOPE_SE
	s_and_saveexec_b32 s22, s20
	s_cbranch_execz .LBB38_105
; %bb.104:                              ;   in Loop: Header=BB38_4 Depth=1
	ds_load_2addr_b64 v[20:23], v111 offset1:1
	ds_load_2addr_b64 v[24:27], v111 offset0:2 offset1:3
	ds_load_2addr_b64 v[28:31], v111 offset0:4 offset1:5
	s_wait_dscnt 0x2
	v_dual_add_f32 v20, v69, v20 :: v_dual_add_f32 v21, v70, v21
	s_delay_alu instid0(VALU_DEP_1) | instskip(SKIP_3) | instid1(VALU_DEP_1)
	v_dual_add_f32 v32, v20, v22 :: v_dual_add_f32 v33, v21, v23
	ds_load_2addr_b64 v[20:23], v111 offset0:6 offset1:7
	s_wait_dscnt 0x2
	v_dual_add_f32 v24, v32, v24 :: v_dual_add_f32 v25, v33, v25
	v_dual_add_f32 v24, v24, v26 :: v_dual_add_f32 v25, v25, v27
	s_wait_dscnt 0x1
	s_delay_alu instid0(VALU_DEP_1) | instskip(NEXT) | instid1(VALU_DEP_1)
	v_dual_add_f32 v24, v24, v28 :: v_dual_add_f32 v25, v25, v29
	v_dual_add_f32 v24, v24, v30 :: v_dual_add_f32 v25, v25, v31
	s_wait_dscnt 0x0
	s_delay_alu instid0(VALU_DEP_1) | instskip(NEXT) | instid1(VALU_DEP_1)
	v_dual_add_f32 v20, v24, v20 :: v_dual_add_f32 v21, v25, v21
	v_dual_add_f32 v69, v20, v22 :: v_dual_add_f32 v70, v21, v23
.LBB38_105:                             ;   in Loop: Header=BB38_4 Depth=1
	s_wait_alu 0xfffe
	s_or_b32 exec_lo, exec_lo, s22
	v_dual_mul_f32 v20, v9, v19 :: v_dual_mul_f32 v21, v11, v5
	v_mul_f32_e32 v19, v8, v19
	v_dual_mul_f32 v5, v10, v5 :: v_dual_mul_f32 v22, v1, v7
	s_delay_alu instid0(VALU_DEP_3) | instskip(NEXT) | instid1(VALU_DEP_4)
	v_fma_f32 v8, v8, v18, -v20
	v_fma_f32 v10, v10, v4, -v21
	v_mul_f32_e32 v7, v0, v7
	s_wait_loadcnt 0x0
	v_fma_f32 v0, v0, v6, -v22
	v_add_f32_e32 v8, 0, v8
	v_fmac_f32_e32 v5, v11, v4
	v_fmac_f32_e32 v7, v1, v6
	s_barrier_signal -1
	s_barrier_wait -1
	v_add_f32_e32 v8, v8, v10
	v_fmac_f32_e32 v19, v9, v18
	global_inv scope:SCOPE_SE
	v_dual_add_f32 v0, v8, v0 :: v_dual_mul_f32 v9, v3, v17
	v_dual_add_f32 v4, 0, v19 :: v_dual_mul_f32 v11, v2, v17
	s_delay_alu instid0(VALU_DEP_2) | instskip(NEXT) | instid1(VALU_DEP_2)
	v_fma_f32 v2, v2, v16, -v9
	v_add_f32_e32 v1, v4, v5
	s_delay_alu instid0(VALU_DEP_2) | instskip(NEXT) | instid1(VALU_DEP_2)
	v_dual_add_f32 v0, v0, v2 :: v_dual_fmac_f32 v11, v3, v16
	v_add_f32_e32 v1, v1, v7
	s_delay_alu instid0(VALU_DEP_1)
	v_add_f32_e32 v1, v1, v11
	ds_store_b64 v114, v[0:1]
	s_wait_loadcnt_dscnt 0x0
	s_barrier_signal -1
	s_barrier_wait -1
	global_inv scope:SCOPE_SE
	s_and_saveexec_b32 s22, s14
	s_cbranch_execz .LBB38_107
; %bb.106:                              ;   in Loop: Header=BB38_4 Depth=1
	ds_load_2addr_b64 v[0:3], v111 offset1:1
	ds_load_2addr_b64 v[4:7], v111 offset0:2 offset1:3
	ds_load_2addr_b64 v[8:11], v111 offset0:4 offset1:5
	s_wait_dscnt 0x2
	v_dual_add_f32 v0, v69, v0 :: v_dual_add_f32 v1, v70, v1
	s_delay_alu instid0(VALU_DEP_1) | instskip(SKIP_3) | instid1(VALU_DEP_1)
	v_dual_add_f32 v16, v0, v2 :: v_dual_add_f32 v17, v1, v3
	ds_load_2addr_b64 v[0:3], v111 offset0:6 offset1:7
	s_wait_dscnt 0x2
	v_dual_add_f32 v4, v16, v4 :: v_dual_add_f32 v5, v17, v5
	v_dual_add_f32 v4, v4, v6 :: v_dual_add_f32 v5, v5, v7
	s_wait_dscnt 0x1
	s_delay_alu instid0(VALU_DEP_1) | instskip(NEXT) | instid1(VALU_DEP_1)
	v_dual_add_f32 v4, v4, v8 :: v_dual_add_f32 v5, v5, v9
	v_dual_add_f32 v4, v4, v10 :: v_dual_add_f32 v5, v5, v11
	s_wait_dscnt 0x0
	s_delay_alu instid0(VALU_DEP_1) | instskip(NEXT) | instid1(VALU_DEP_1)
	v_dual_add_f32 v0, v4, v0 :: v_dual_add_f32 v1, v5, v1
	v_dual_add_f32 v69, v0, v2 :: v_dual_add_f32 v70, v1, v3
.LBB38_107:                             ;   in Loop: Header=BB38_4 Depth=1
	s_wait_alu 0xfffe
	s_or_b32 exec_lo, exec_lo, s22
	s_mul_u64 s[22:23], s[40:41], s[34:35]
	s_and_not1_b32 vcc_lo, exec_lo, s71
	s_wait_alu 0xfffe
	s_lshl_b64 s[22:23], s[22:23], 3
	s_wait_loadcnt 0x0
	s_wait_alu 0xfffe
	s_add_nc_u64 s[64:65], s[42:43], s[22:23]
	s_barrier_signal -1
	s_barrier_wait -1
	global_inv scope:SCOPE_SE
	s_cbranch_vccnz .LBB38_165
; %bb.108:                              ;   in Loop: Header=BB38_4 Depth=1
	v_add_co_u32 v186, vcc_lo, v12, s62
	s_wait_alu 0xfffd
	v_add_co_ci_u32_e64 v187, null, s63, v13, vcc_lo
	v_add_co_u32 v188, vcc_lo, v14, v144
	s_wait_alu 0xfffd
	v_add_co_ci_u32_e64 v189, null, v15, v143, vcc_lo
	;; [unrolled: 3-line block ×21, first 2 shown]
	v_mov_b32_e32 v71, v140
	s_mov_b32 s23, ttmp9
	s_mov_b32 s66, s75
	s_wait_alu 0xfffe
	s_cmp_eq_u32 s72, s23
	s_cselect_b32 s77, s69, 0
	s_and_saveexec_b32 s22, s0
	s_cbranch_execz .LBB38_113
.LBB38_109:                             ;   in Loop: Header=BB38_4 Depth=1
	s_wait_alu 0xfffe
	v_cmp_le_i32_e32 vcc_lo, s77, v56
	s_cmp_lg_u32 s77, 0
	s_cselect_b32 s67, -1, 0
	s_delay_alu instid0(SALU_CYCLE_1) | instskip(NEXT) | instid1(SALU_CYCLE_1)
	s_and_b32 s67, s67, vcc_lo
	s_and_saveexec_b32 s78, s67
	s_wait_alu 0xfffe
	s_xor_b32 s67, exec_lo, s78
; %bb.110:                              ;   in Loop: Header=BB38_4 Depth=1
	v_mov_b32_e32 v68, v67
	ds_store_b64 v117, v[67:68]
; %bb.111:                              ;   in Loop: Header=BB38_4 Depth=1
	s_and_not1_saveexec_b32 s67, s67
	s_cbranch_execz .LBB38_113
; %bb.112:                              ;   in Loop: Header=BB38_4 Depth=1
	s_ashr_i32 s67, s66, 31
	s_delay_alu instid0(SALU_CYCLE_1)
	s_lshl_b64 s[78:79], s[66:67], 3
	s_wait_alu 0xfffe
	v_add_co_u32 v0, vcc_lo, v186, s78
	s_wait_alu 0xfffd
	v_add_co_ci_u32_e64 v1, null, s79, v187, vcc_lo
	flat_load_b64 v[0:1], v[0:1]
	s_wait_loadcnt_dscnt 0x0
	ds_store_b64 v117, v[0:1]
.LBB38_113:                             ;   Parent Loop BB38_4 Depth=1
                                        ; =>  This Inner Loop Header: Depth=2
	s_wait_alu 0xfffe
	s_or_b32 exec_lo, exec_lo, s22
	s_cmp_eq_u32 s77, 0
	v_add_co_u32 v0, vcc_lo, v196, v141
	s_cselect_b32 s67, -1, 0
	s_cmp_lg_u32 s77, 0
	s_wait_alu 0xfffd
	v_add_co_ci_u32_e64 v1, null, v197, v142, vcc_lo
	s_cselect_b32 s22, -1, 0
	s_wait_loadcnt_dscnt 0x0
	s_wait_alu 0xfffe
	s_and_b32 vcc_lo, exec_lo, s22
	s_barrier_signal -1
	s_barrier_wait -1
	global_inv scope:SCOPE_SE
	s_wait_alu 0xfffe
	s_cbranch_vccz .LBB38_121
; %bb.114:                              ;   in Loop: Header=BB38_113 Depth=2
	v_dual_mov_b32 v75, 0 :: v_dual_mov_b32 v74, 0
	v_mov_b32_e32 v73, 0
	s_mov_b32 s78, exec_lo
	v_cmpx_gt_i32_e64 s77, v115
	s_cbranch_execz .LBB38_116
; %bb.115:                              ;   in Loop: Header=BB38_113 Depth=2
	flat_load_b64 v[73:74], v[0:1]
.LBB38_116:                             ;   in Loop: Header=BB38_113 Depth=2
	s_wait_alu 0xfffe
	s_or_b32 exec_lo, exec_lo, s78
	v_mov_b32_e32 v76, 0
	s_mov_b32 s78, exec_lo
	v_cmpx_gt_i32_e64 s77, v123
	s_cbranch_execz .LBB38_118
; %bb.117:                              ;   in Loop: Header=BB38_113 Depth=2
	v_add_co_u32 v2, vcc_lo, v192, v141
	s_wait_alu 0xfffd
	v_add_co_ci_u32_e64 v3, null, v193, v142, vcc_lo
	flat_load_b64 v[75:76], v[2:3]
.LBB38_118:                             ;   in Loop: Header=BB38_113 Depth=2
	s_wait_alu 0xfffe
	s_or_b32 exec_lo, exec_lo, s78
	v_dual_mov_b32 v77, 0 :: v_dual_mov_b32 v78, 0
	s_mov_b32 s78, exec_lo
	v_cmpx_gt_i32_e64 s77, v124
	s_cbranch_execz .LBB38_120
; %bb.119:                              ;   in Loop: Header=BB38_113 Depth=2
	v_add_co_u32 v2, vcc_lo, v200, v141
	s_wait_alu 0xfffd
	v_add_co_ci_u32_e64 v3, null, v201, v142, vcc_lo
	flat_load_b64 v[77:78], v[2:3]
.LBB38_120:                             ;   in Loop: Header=BB38_113 Depth=2
	s_wait_alu 0xfffe
	s_or_b32 exec_lo, exec_lo, s78
	v_cmp_gt_i32_e64 s78, s77, v125
	s_branch .LBB38_123
.LBB38_121:                             ;   in Loop: Header=BB38_113 Depth=2
	s_mov_b32 s78, 0
                                        ; implicit-def: $vgpr74
                                        ; implicit-def: $vgpr76
                                        ; implicit-def: $vgpr78
	s_cbranch_execz .LBB38_123
; %bb.122:                              ;   in Loop: Header=BB38_113 Depth=2
	v_add_co_u32 v2, vcc_lo, v192, v141
	s_wait_alu 0xfffd
	v_add_co_ci_u32_e64 v3, null, v193, v142, vcc_lo
	v_add_co_u32 v4, vcc_lo, v188, v141
	s_wait_alu 0xfffd
	v_add_co_ci_u32_e64 v5, null, v189, v142, vcc_lo
	s_wait_loadcnt_dscnt 0x0
	flat_load_b64 v[73:74], v[0:1]
	flat_load_b64 v[75:76], v[2:3]
	flat_load_b64 v[77:78], v[4:5] offset:-4
	s_wait_alu 0xfffe
	s_or_b32 s78, s78, exec_lo
.LBB38_123:                             ;   in Loop: Header=BB38_113 Depth=2
	v_dual_mov_b32 v79, 0 :: v_dual_mov_b32 v80, 0
	s_wait_alu 0xfffe
	s_delay_alu instid0(VALU_DEP_2)
	s_and_saveexec_b32 s79, s78
	s_cbranch_execz .LBB38_125
; %bb.124:                              ;   in Loop: Header=BB38_113 Depth=2
	v_add_co_u32 v0, vcc_lo, v204, v141
	s_wait_alu 0xfffd
	v_add_co_ci_u32_e64 v1, null, v205, v142, vcc_lo
	flat_load_b64 v[79:80], v[0:1]
.LBB38_125:                             ;   in Loop: Header=BB38_113 Depth=2
	s_wait_alu 0xfffe
	s_or_b32 exec_lo, exec_lo, s79
	ds_load_b64 v[4:5], v106
	ds_load_b128 v[0:3], v118
	v_cndmask_b32_e64 v40, 0, 1, s22
	s_wait_loadcnt_dscnt 0x1
	v_dual_mul_f32 v8, v74, v5 :: v_dual_mul_f32 v7, v76, v4
	v_mul_f32_e32 v6, v74, v4
	v_dual_mul_f32 v10, v76, v5 :: v_dual_mul_f32 v13, v78, v4
	v_dual_mul_f32 v12, v78, v5 :: v_dual_mul_f32 v15, v80, v4
	v_mul_f32_e32 v14, v80, v5
	v_fmac_f32_e32 v8, v73, v4
	v_fma_f32 v9, v73, v5, -v6
	v_fmac_f32_e32 v10, v75, v4
	v_fma_f32 v11, v75, v5, -v7
	v_fmac_f32_e32 v12, v77, v4
	v_fma_f32 v13, v77, v5, -v13
	v_fmac_f32_e32 v14, v79, v4
	v_fma_f32 v15, v79, v5, -v15
	ds_load_b128 v[4:7], v118 offset:16
	ds_store_2addr_b64 v119, v[8:9], v[10:11] offset1:67
	ds_store_2addr_b64 v119, v[12:13], v[14:15] offset0:134 offset1:201
	s_wait_dscnt 0x0
	s_barrier_signal -1
	s_barrier_wait -1
	global_inv scope:SCOPE_SE
	ds_load_2addr_b64 v[16:19], v120 offset1:1
	ds_load_2addr_b64 v[8:11], v120 offset0:2 offset1:3
	v_add_co_u32 v12, vcc_lo, v216, v141
	s_wait_alu 0xfffd
	v_add_co_ci_u32_e64 v13, null, v217, v142, vcc_lo
	s_and_not1_b32 vcc_lo, exec_lo, s22
	s_wait_loadcnt_dscnt 0x0
	s_barrier_signal -1
	s_barrier_wait -1
	global_inv scope:SCOPE_SE
	s_wait_alu 0xfffe
	s_cbranch_vccnz .LBB38_133
; %bb.126:                              ;   in Loop: Header=BB38_113 Depth=2
	v_dual_mov_b32 v81, 0 :: v_dual_mov_b32 v84, 0
	v_mov_b32_e32 v83, 0
	s_mov_b32 s22, exec_lo
	v_cmpx_gt_i32_e64 s77, v126
	s_cbranch_execz .LBB38_128
; %bb.127:                              ;   in Loop: Header=BB38_113 Depth=2
	flat_load_b64 v[83:84], v[12:13]
.LBB38_128:                             ;   in Loop: Header=BB38_113 Depth=2
	s_wait_alu 0xfffe
	s_or_b32 exec_lo, exec_lo, s22
	v_mov_b32_e32 v82, 0
	s_mov_b32 s22, exec_lo
	v_cmpx_gt_i32_e64 s77, v127
	s_cbranch_execz .LBB38_130
; %bb.129:                              ;   in Loop: Header=BB38_113 Depth=2
	v_add_co_u32 v14, vcc_lo, v212, v141
	s_wait_alu 0xfffd
	v_add_co_ci_u32_e64 v15, null, v213, v142, vcc_lo
	flat_load_b64 v[81:82], v[14:15]
.LBB38_130:                             ;   in Loop: Header=BB38_113 Depth=2
	s_wait_alu 0xfffe
	s_or_b32 exec_lo, exec_lo, s22
	v_dual_mov_b32 v85, 0 :: v_dual_mov_b32 v86, 0
	s_mov_b32 s22, exec_lo
	v_cmpx_gt_i32_e64 s77, v128
	s_cbranch_execz .LBB38_132
; %bb.131:                              ;   in Loop: Header=BB38_113 Depth=2
	v_add_co_u32 v14, vcc_lo, v220, v141
	s_wait_alu 0xfffd
	v_add_co_ci_u32_e64 v15, null, v221, v142, vcc_lo
	flat_load_b64 v[85:86], v[14:15]
.LBB38_132:                             ;   in Loop: Header=BB38_113 Depth=2
	s_wait_alu 0xfffe
	s_or_b32 exec_lo, exec_lo, s22
	v_cmp_gt_i32_e64 s22, s77, v129
	s_branch .LBB38_135
.LBB38_133:                             ;   in Loop: Header=BB38_113 Depth=2
	s_mov_b32 s22, 0
                                        ; implicit-def: $vgpr84
                                        ; implicit-def: $vgpr82
                                        ; implicit-def: $vgpr86
	s_cbranch_execz .LBB38_135
; %bb.134:                              ;   in Loop: Header=BB38_113 Depth=2
	v_add_co_u32 v14, vcc_lo, v212, v141
	s_wait_alu 0xfffd
	v_add_co_ci_u32_e64 v15, null, v213, v142, vcc_lo
	v_add_co_u32 v20, vcc_lo, v208, v141
	s_wait_alu 0xfffd
	v_add_co_ci_u32_e64 v21, null, v209, v142, vcc_lo
	s_wait_loadcnt_dscnt 0x0
	flat_load_b64 v[83:84], v[12:13]
	flat_load_b64 v[81:82], v[14:15]
	flat_load_b64 v[85:86], v[20:21] offset:-4
	s_wait_alu 0xfffe
	s_or_b32 s22, s22, exec_lo
.LBB38_135:                             ;   in Loop: Header=BB38_113 Depth=2
	v_dual_mov_b32 v87, 0 :: v_dual_mov_b32 v88, 0
	s_wait_alu 0xfffe
	s_delay_alu instid0(VALU_DEP_2)
	s_and_saveexec_b32 s78, s22
	s_cbranch_execz .LBB38_137
; %bb.136:                              ;   in Loop: Header=BB38_113 Depth=2
	v_add_co_u32 v12, vcc_lo, v224, v141
	s_wait_alu 0xfffd
	v_add_co_ci_u32_e64 v13, null, v225, v142, vcc_lo
	flat_load_b64 v[87:88], v[12:13]
.LBB38_137:                             ;   in Loop: Header=BB38_113 Depth=2
	s_wait_alu 0xfffe
	s_or_b32 exec_lo, exec_lo, s78
	ds_load_b64 v[20:21], v106
	ds_load_b128 v[12:15], v118 offset:128
	v_cmp_ne_u32_e32 vcc_lo, 1, v40
	s_and_b32 vcc_lo, exec_lo, vcc_lo
	s_wait_loadcnt_dscnt 0x1
	v_dual_mul_f32 v24, v84, v21 :: v_dual_mul_f32 v23, v82, v20
	v_mul_f32_e32 v22, v84, v20
	v_dual_mul_f32 v26, v82, v21 :: v_dual_mul_f32 v31, v88, v20
	v_mul_f32_e32 v28, v86, v21
	v_dual_mul_f32 v29, v86, v20 :: v_dual_mul_f32 v30, v88, v21
	v_fmac_f32_e32 v24, v83, v20
	v_fma_f32 v25, v83, v21, -v22
	v_fmac_f32_e32 v26, v81, v20
	v_fma_f32 v27, v81, v21, -v23
	;; [unrolled: 2-line block ×4, first 2 shown]
	ds_load_b128 v[20:23], v118 offset:144
	ds_store_2addr_b64 v119, v[24:25], v[26:27] offset1:67
	ds_store_2addr_b64 v119, v[28:29], v[30:31] offset0:134 offset1:201
	s_wait_dscnt 0x0
	s_barrier_signal -1
	s_barrier_wait -1
	global_inv scope:SCOPE_SE
	ds_load_2addr_b64 v[36:39], v120 offset1:1
	ds_load_2addr_b64 v[32:35], v120 offset0:2 offset1:3
	v_add_co_u32 v24, s22, v218, v141
	s_wait_alu 0xf1ff
	v_add_co_ci_u32_e64 v25, null, v219, v142, s22
	s_wait_loadcnt_dscnt 0x0
	s_barrier_signal -1
	s_barrier_wait -1
	global_inv scope:SCOPE_SE
	s_wait_alu 0xfffe
	s_cbranch_vccnz .LBB38_145
; %bb.138:                              ;   in Loop: Header=BB38_113 Depth=2
	v_dual_mov_b32 v89, 0 :: v_dual_mov_b32 v92, 0
	v_mov_b32_e32 v91, 0
	s_mov_b32 s22, exec_lo
	v_cmpx_gt_i32_e64 s77, v130
	s_cbranch_execz .LBB38_140
; %bb.139:                              ;   in Loop: Header=BB38_113 Depth=2
	flat_load_b64 v[91:92], v[24:25] offset:-4
.LBB38_140:                             ;   in Loop: Header=BB38_113 Depth=2
	s_wait_alu 0xfffe
	s_or_b32 exec_lo, exec_lo, s22
	v_mov_b32_e32 v90, 0
	s_mov_b32 s22, exec_lo
	v_cmpx_gt_i32_e64 s77, v131
	s_cbranch_execz .LBB38_142
; %bb.141:                              ;   in Loop: Header=BB38_113 Depth=2
	v_add_co_u32 v26, vcc_lo, v222, v141
	s_wait_alu 0xfffd
	v_add_co_ci_u32_e64 v27, null, v223, v142, vcc_lo
	flat_load_b64 v[89:90], v[26:27] offset:-4
.LBB38_142:                             ;   in Loop: Header=BB38_113 Depth=2
	s_wait_alu 0xfffe
	s_or_b32 exec_lo, exec_lo, s22
	v_dual_mov_b32 v93, 0 :: v_dual_mov_b32 v94, 0
	s_mov_b32 s22, exec_lo
	v_cmpx_gt_i32_e64 s77, v132
	s_cbranch_execz .LBB38_144
; %bb.143:                              ;   in Loop: Header=BB38_113 Depth=2
	v_add_co_u32 v26, vcc_lo, v214, v141
	s_wait_alu 0xfffd
	v_add_co_ci_u32_e64 v27, null, v215, v142, vcc_lo
	flat_load_b64 v[93:94], v[26:27] offset:-4
.LBB38_144:                             ;   in Loop: Header=BB38_113 Depth=2
	s_wait_alu 0xfffe
	s_or_b32 exec_lo, exec_lo, s22
	v_cmp_gt_i32_e64 s22, s77, v133
	s_branch .LBB38_147
.LBB38_145:                             ;   in Loop: Header=BB38_113 Depth=2
	s_mov_b32 s22, 0
                                        ; implicit-def: $vgpr92
                                        ; implicit-def: $vgpr90
                                        ; implicit-def: $vgpr94
	s_cbranch_execz .LBB38_147
; %bb.146:                              ;   in Loop: Header=BB38_113 Depth=2
	v_add_co_u32 v26, vcc_lo, v222, v141
	s_wait_alu 0xfffd
	v_add_co_ci_u32_e64 v27, null, v223, v142, vcc_lo
	v_add_co_u32 v28, vcc_lo, v226, v141
	s_wait_alu 0xfffd
	v_add_co_ci_u32_e64 v29, null, v227, v142, vcc_lo
	s_wait_loadcnt_dscnt 0x0
	flat_load_b64 v[91:92], v[24:25] offset:-4
	flat_load_b64 v[89:90], v[26:27] offset:-4
	;; [unrolled: 1-line block ×3, first 2 shown]
	s_wait_alu 0xfffe
	s_or_b32 s22, s22, exec_lo
.LBB38_147:                             ;   in Loop: Header=BB38_113 Depth=2
	v_dual_mov_b32 v95, 0 :: v_dual_mov_b32 v96, 0
	s_wait_alu 0xfffe
	s_delay_alu instid0(VALU_DEP_2)
	s_and_saveexec_b32 s78, s22
	s_cbranch_execz .LBB38_149
; %bb.148:                              ;   in Loop: Header=BB38_113 Depth=2
	v_add_co_u32 v24, vcc_lo, v210, v141
	s_wait_alu 0xfffd
	v_add_co_ci_u32_e64 v25, null, v211, v142, vcc_lo
	flat_load_b64 v[95:96], v[24:25] offset:-4
.LBB38_149:                             ;   in Loop: Header=BB38_113 Depth=2
	s_wait_alu 0xfffe
	s_or_b32 exec_lo, exec_lo, s78
	ds_load_b64 v[28:29], v106
	ds_load_b128 v[24:27], v118 offset:256
	v_cmp_ne_u32_e32 vcc_lo, 1, v40
	v_add_co_u32 v40, s22, v198, v141
	s_and_b32 vcc_lo, exec_lo, vcc_lo
	s_wait_loadcnt_dscnt 0x1
	v_dual_mul_f32 v41, v92, v29 :: v_dual_mul_f32 v46, v94, v28
	v_dual_mul_f32 v30, v92, v28 :: v_dual_mul_f32 v43, v90, v29
	v_mul_f32_e32 v31, v90, v28
	v_dual_mul_f32 v45, v94, v29 :: v_dual_mul_f32 v48, v96, v28
	v_mul_f32_e32 v47, v96, v29
	v_fmac_f32_e32 v41, v91, v28
	v_fma_f32 v42, v91, v29, -v30
	v_fmac_f32_e32 v43, v89, v28
	v_fma_f32 v44, v89, v29, -v31
	;; [unrolled: 2-line block ×4, first 2 shown]
	ds_load_b128 v[28:31], v118 offset:272
	ds_store_2addr_b64 v119, v[41:42], v[43:44] offset1:67
	ds_store_2addr_b64 v119, v[45:46], v[47:48] offset0:134 offset1:201
	s_wait_dscnt 0x0
	s_barrier_signal -1
	s_barrier_wait -1
	global_inv scope:SCOPE_SE
	ds_load_2addr_b64 v[52:55], v120 offset1:1
	ds_load_2addr_b64 v[48:51], v120 offset0:2 offset1:3
	s_wait_alu 0xf1ff
	v_add_co_ci_u32_e64 v41, null, v199, v142, s22
	s_wait_loadcnt_dscnt 0x0
	s_barrier_signal -1
	s_barrier_wait -1
	global_inv scope:SCOPE_SE
	s_wait_alu 0xfffe
	s_cbranch_vccnz .LBB38_157
; %bb.150:                              ;   in Loop: Header=BB38_113 Depth=2
	v_dual_mov_b32 v99, 0 :: v_dual_mov_b32 v98, 0
	v_mov_b32_e32 v97, 0
	s_mov_b32 s22, exec_lo
	v_cmpx_gt_i32_e64 s77, v134
	s_cbranch_execz .LBB38_152
; %bb.151:                              ;   in Loop: Header=BB38_113 Depth=2
	flat_load_b64 v[97:98], v[40:41] offset:-4
.LBB38_152:                             ;   in Loop: Header=BB38_113 Depth=2
	s_wait_alu 0xfffe
	s_or_b32 exec_lo, exec_lo, s22
	v_mov_b32_e32 v100, 0
	s_mov_b32 s22, exec_lo
	v_cmpx_gt_i32_e64 s77, v135
	s_cbranch_execz .LBB38_154
; %bb.153:                              ;   in Loop: Header=BB38_113 Depth=2
	v_add_co_u32 v42, vcc_lo, v202, v141
	s_wait_alu 0xfffd
	v_add_co_ci_u32_e64 v43, null, v203, v142, vcc_lo
	flat_load_b64 v[99:100], v[42:43] offset:-4
.LBB38_154:                             ;   in Loop: Header=BB38_113 Depth=2
	s_wait_alu 0xfffe
	s_or_b32 exec_lo, exec_lo, s22
	v_dual_mov_b32 v101, 0 :: v_dual_mov_b32 v102, 0
	s_mov_b32 s22, exec_lo
	v_cmpx_gt_i32_e64 s77, v136
	s_cbranch_execz .LBB38_156
; %bb.155:                              ;   in Loop: Header=BB38_113 Depth=2
	v_add_co_u32 v42, vcc_lo, v194, v141
	s_wait_alu 0xfffd
	v_add_co_ci_u32_e64 v43, null, v195, v142, vcc_lo
	flat_load_b64 v[101:102], v[42:43] offset:-4
.LBB38_156:                             ;   in Loop: Header=BB38_113 Depth=2
	s_wait_alu 0xfffe
	s_or_b32 exec_lo, exec_lo, s22
	v_cmp_gt_i32_e64 s22, s77, v137
	s_branch .LBB38_159
.LBB38_157:                             ;   in Loop: Header=BB38_113 Depth=2
	s_mov_b32 s22, 0
                                        ; implicit-def: $vgpr98
                                        ; implicit-def: $vgpr100
                                        ; implicit-def: $vgpr102
	s_cbranch_execz .LBB38_159
; %bb.158:                              ;   in Loop: Header=BB38_113 Depth=2
	v_add_co_u32 v42, vcc_lo, v202, v141
	s_wait_alu 0xfffd
	v_add_co_ci_u32_e64 v43, null, v203, v142, vcc_lo
	v_add_co_u32 v44, vcc_lo, v206, v141
	s_wait_alu 0xfffd
	v_add_co_ci_u32_e64 v45, null, v207, v142, vcc_lo
	s_wait_loadcnt_dscnt 0x0
	flat_load_b64 v[97:98], v[40:41] offset:-4
	flat_load_b64 v[99:100], v[42:43] offset:-4
	flat_load_b64 v[101:102], v[44:45]
	s_wait_alu 0xfffe
	s_or_b32 s22, s22, exec_lo
.LBB38_159:                             ;   in Loop: Header=BB38_113 Depth=2
	v_dual_mov_b32 v103, 0 :: v_dual_mov_b32 v104, 0
	s_wait_alu 0xfffe
	s_delay_alu instid0(VALU_DEP_2)
	s_and_saveexec_b32 s78, s22
	s_cbranch_execz .LBB38_161
; %bb.160:                              ;   in Loop: Header=BB38_113 Depth=2
	v_add_co_u32 v40, vcc_lo, v190, v141
	s_wait_alu 0xfffd
	v_add_co_ci_u32_e64 v41, null, v191, v142, vcc_lo
	flat_load_b64 v[103:104], v[40:41] offset:-4
.LBB38_161:                             ;   in Loop: Header=BB38_113 Depth=2
	s_wait_alu 0xfffe
	s_or_b32 exec_lo, exec_lo, s78
	ds_load_b64 v[44:45], v106
	ds_load_b128 v[40:43], v118 offset:384
	v_cmp_gt_i32_e32 vcc_lo, s77, v56
	v_add_f32_e32 v53, 0, v53
	v_add_f32_e32 v37, 0, v37
	;; [unrolled: 1-line block ×3, first 2 shown]
	s_or_b32 s22, s67, vcc_lo
	s_wait_alu 0xfffe
	s_and_b32 s67, s21, s22
	v_add_f32_e32 v37, v37, v39
	v_dual_add_f32 v17, v17, v19 :: v_dual_add_f32 v52, 0, v52
	s_delay_alu instid0(VALU_DEP_2) | instskip(NEXT) | instid1(VALU_DEP_2)
	v_add_f32_e32 v33, v37, v33
	v_dual_add_f32 v39, v17, v9 :: v_dual_add_f32 v36, 0, v36
	s_wait_loadcnt_dscnt 0x1
	v_mul_f32_e32 v46, v98, v44
	v_mul_f32_e32 v72, v104, v44
	;; [unrolled: 1-line block ×3, first 2 shown]
	v_dual_mul_f32 v228, v98, v45 :: v_dual_mul_f32 v47, v100, v44
	v_mul_f32_e32 v230, v100, v45
	s_delay_alu instid0(VALU_DEP_4) | instskip(SKIP_4) | instid1(VALU_DEP_4)
	v_fma_f32 v235, v103, v45, -v72
	v_add_f32_e32 v72, v53, v55
	v_mul_f32_e32 v232, v102, v45
	v_fmac_f32_e32 v228, v97, v44
	v_fma_f32 v229, v97, v45, -v46
	v_dual_fmac_f32 v230, v99, v44 :: v_dual_add_f32 v19, v72, v49
	v_mul_f32_e32 v234, v104, v45
	v_fma_f32 v231, v99, v45, -v47
	v_fmac_f32_e32 v232, v101, v44
	v_fma_f32 v233, v101, v45, -v68
	v_add_f32_e32 v9, v19, v51
	v_dual_fmac_f32 v234, v103, v44 :: v_dual_add_f32 v17, v33, v35
	ds_load_b128 v[44:47], v118 offset:400
	ds_store_2addr_b64 v119, v[228:229], v[230:231] offset1:67
	ds_store_2addr_b64 v119, v[232:233], v[234:235] offset0:134 offset1:201
	s_wait_dscnt 0x0
	s_barrier_signal -1
	s_barrier_wait -1
	global_inv scope:SCOPE_SE
	ds_load_2addr_b64 v[228:231], v120 offset1:1
	v_add_f32_e32 v68, v52, v54
	ds_load_2addr_b64 v[52:55], v120 offset0:2 offset1:3
	v_dual_add_f32 v16, 0, v16 :: v_dual_add_f32 v11, v39, v11
	v_add_f32_e32 v36, v36, v38
	s_wait_loadcnt_dscnt 0x0
	s_barrier_signal -1
	s_delay_alu instid0(VALU_DEP_2)
	v_add_f32_e32 v16, v16, v18
	v_add_f32_e32 v18, v68, v48
	;; [unrolled: 1-line block ×3, first 2 shown]
	s_barrier_wait -1
	global_inv scope:SCOPE_SE
	v_add_f32_e32 v38, v16, v8
	v_add_f32_e32 v8, v18, v50
	;; [unrolled: 1-line block ×3, first 2 shown]
	s_delay_alu instid0(VALU_DEP_3) | instskip(SKIP_1) | instid1(VALU_DEP_1)
	v_add_f32_e32 v10, v38, v10
	v_dual_add_f32 v36, 0, v228 :: v_dual_add_f32 v37, 0, v229
	v_add_f32_e32 v18, v36, v230
	s_delay_alu instid0(VALU_DEP_2) | instskip(NEXT) | instid1(VALU_DEP_1)
	v_add_f32_e32 v36, v37, v231
	v_dual_add_f32 v18, v18, v52 :: v_dual_add_f32 v19, v36, v53
	s_delay_alu instid0(VALU_DEP_1)
	v_dual_add_f32 v18, v18, v54 :: v_dual_add_f32 v19, v19, v55
	ds_store_2addr_b64 v181, v[10:11], v[16:17] offset1:16
	ds_store_2addr_b64 v181, v[8:9], v[18:19] offset0:32 offset1:48
	s_wait_loadcnt_dscnt 0x0
	s_barrier_signal -1
	s_barrier_wait -1
	global_inv scope:SCOPE_SE
	s_and_saveexec_b32 s22, s67
	s_cbranch_execz .LBB38_163
; %bb.162:                              ;   in Loop: Header=BB38_113 Depth=2
	ds_load_b64 v[36:37], v121
	ds_load_2addr_b64 v[8:11], v121 offset0:1 offset1:2
	ds_load_2addr_b64 v[16:19], v121 offset0:3 offset1:4
	;; [unrolled: 1-line block ×3, first 2 shown]
	v_ashrrev_i32_e32 v72, 31, v71
	s_wait_dscnt 0x2
	v_dual_add_f32 v8, v8, v36 :: v_dual_add_f32 v9, v9, v37
	s_delay_alu instid0(VALU_DEP_1) | instskip(SKIP_3) | instid1(VALU_DEP_1)
	v_dual_add_f32 v36, v10, v8 :: v_dual_add_f32 v37, v11, v9
	ds_load_2addr_b64 v[8:11], v121 offset0:7 offset1:8
	s_wait_dscnt 0x2
	v_dual_add_f32 v16, v36, v16 :: v_dual_add_f32 v17, v37, v17
	v_dual_add_f32 v36, v16, v18 :: v_dual_add_f32 v37, v17, v19
	ds_load_2addr_b64 v[16:19], v121 offset0:9 offset1:10
	s_wait_dscnt 0x2
	v_dual_add_f32 v32, v36, v32 :: v_dual_add_f32 v33, v37, v33
	s_delay_alu instid0(VALU_DEP_1) | instskip(SKIP_3) | instid1(VALU_DEP_1)
	v_dual_add_f32 v36, v32, v34 :: v_dual_add_f32 v37, v33, v35
	ds_load_2addr_b64 v[32:35], v121 offset0:11 offset1:12
	s_wait_dscnt 0x2
	v_dual_add_f32 v8, v36, v8 :: v_dual_add_f32 v9, v37, v9
	v_dual_add_f32 v36, v8, v10 :: v_dual_add_f32 v37, v9, v11
	ds_load_2addr_b64 v[8:11], v121 offset0:13 offset1:14
	s_wait_dscnt 0x2
	v_dual_add_f32 v16, v36, v16 :: v_dual_add_f32 v17, v37, v17
	s_delay_alu instid0(VALU_DEP_1) | instskip(SKIP_3) | instid1(VALU_DEP_1)
	v_dual_add_f32 v18, v16, v18 :: v_dual_add_f32 v19, v17, v19
	ds_load_b64 v[16:17], v122
	s_wait_dscnt 0x2
	v_dual_add_f32 v18, v18, v32 :: v_dual_add_f32 v19, v19, v33
	v_dual_add_f32 v18, v18, v34 :: v_dual_add_f32 v19, v19, v35
	s_wait_dscnt 0x1
	s_delay_alu instid0(VALU_DEP_1) | instskip(NEXT) | instid1(VALU_DEP_1)
	v_dual_add_f32 v8, v18, v8 :: v_dual_add_f32 v9, v19, v9
	v_dual_add_f32 v10, v8, v10 :: v_dual_add_f32 v11, v9, v11
	v_lshlrev_b64_e32 v[8:9], 3, v[71:72]
	s_wait_dscnt 0x0
	s_delay_alu instid0(VALU_DEP_2) | instskip(NEXT) | instid1(VALU_DEP_2)
	v_dual_add_f32 v10, v10, v16 :: v_dual_add_f32 v11, v11, v17
	v_add_co_u32 v8, vcc_lo, s64, v8
	s_wait_alu 0xfffd
	s_delay_alu instid0(VALU_DEP_3)
	v_add_co_ci_u32_e64 v9, null, s65, v9, vcc_lo
	global_store_b64 v[8:9], v[10:11], off
.LBB38_163:                             ;   in Loop: Header=BB38_113 Depth=2
	s_wait_alu 0xfffe
	s_or_b32 exec_lo, exec_lo, s22
	v_dual_mul_f32 v8, v74, v1 :: v_dual_mul_f32 v9, v76, v3
	v_dual_mul_f32 v3, v75, v3 :: v_dual_mul_f32 v10, v78, v5
	v_add_co_u32 v188, vcc_lo, v188, s54
	s_delay_alu instid0(VALU_DEP_3)
	v_fma_f32 v8, v73, v0, -v8
	v_mul_f32_e32 v11, v80, v7
	v_fma_f32 v9, v75, v2, -v9
	v_fmac_f32_e32 v3, v76, v2
	v_dual_mul_f32 v7, v79, v7 :: v_dual_mul_f32 v16, v84, v13
	v_add_f32_e32 v8, v69, v8
	v_fma_f32 v2, v79, v6, -v11
	v_mul_f32_e32 v13, v83, v13
	s_wait_alu 0xfffd
	v_add_co_ci_u32_e64 v189, null, s55, v189, vcc_lo
	v_dual_add_f32 v8, v8, v9 :: v_dual_mul_f32 v9, v82, v15
	v_mul_f32_e32 v1, v73, v1
	v_add_co_u32 v190, vcc_lo, v190, s54
	s_wait_alu 0xfffd
	v_add_co_ci_u32_e64 v191, null, s55, v191, vcc_lo
	s_delay_alu instid0(VALU_DEP_3) | instskip(SKIP_4) | instid1(VALU_DEP_3)
	v_fmac_f32_e32 v1, v74, v0
	v_fma_f32 v0, v77, v4, -v10
	v_add_co_u32 v192, vcc_lo, v192, s54
	s_wait_alu 0xfffd
	v_add_co_ci_u32_e64 v193, null, s55, v193, vcc_lo
	v_dual_add_f32 v0, v8, v0 :: v_dual_mul_f32 v5, v77, v5
	v_dual_mul_f32 v8, v81, v15 :: v_dual_fmac_f32 v13, v84, v12
	v_add_co_u32 v194, vcc_lo, v194, s54
	s_delay_alu instid0(VALU_DEP_3)
	v_dual_add_f32 v0, v0, v2 :: v_dual_fmac_f32 v5, v78, v4
	v_fma_f32 v4, v81, v14, -v9
	v_add_f32_e32 v1, v70, v1
	v_mul_f32_e32 v2, v86, v21
	v_fmac_f32_e32 v8, v82, v14
	s_wait_alu 0xfffd
	v_add_co_ci_u32_e64 v195, null, s55, v195, vcc_lo
	v_add_f32_e32 v1, v1, v3
	v_fma_f32 v3, v83, v12, -v16
	v_fma_f32 v2, v85, v20, -v2
	v_add_co_u32 v196, vcc_lo, v196, s54
	s_wait_alu 0xfffd
	v_add_co_ci_u32_e64 v197, null, s55, v197, vcc_lo
	v_add_f32_e32 v0, v0, v3
	v_mul_f32_e32 v3, v88, v23
	v_add_co_u32 v198, vcc_lo, v198, s54
	s_wait_alu 0xfffd
	v_add_co_ci_u32_e64 v199, null, s55, v199, vcc_lo
	v_add_f32_e32 v0, v0, v4
	v_dual_mul_f32 v4, v85, v21 :: v_dual_fmac_f32 v7, v80, v6
	v_add_f32_e32 v1, v1, v5
	v_add_co_u32 v200, vcc_lo, v200, s54
	s_delay_alu instid0(VALU_DEP_4) | instskip(NEXT) | instid1(VALU_DEP_3)
	v_add_f32_e32 v0, v0, v2
	v_dual_fmac_f32 v4, v86, v20 :: v_dual_add_f32 v1, v1, v7
	v_mul_f32_e32 v2, v92, v25
	s_wait_alu 0xfffd
	v_add_co_ci_u32_e64 v201, null, s55, v201, vcc_lo
	v_add_co_u32 v202, vcc_lo, v202, s54
	v_add_f32_e32 v1, v1, v13
	v_fma_f32 v2, v91, v24, -v2
	s_wait_alu 0xfffd
	v_add_co_ci_u32_e64 v203, null, s55, v203, vcc_lo
	v_add_co_u32 v204, vcc_lo, v204, s54
	v_add_f32_e32 v1, v1, v8
	s_wait_alu 0xfffd
	v_add_co_ci_u32_e64 v205, null, s55, v205, vcc_lo
	v_add_co_u32 v206, vcc_lo, v206, s54
	s_delay_alu instid0(VALU_DEP_3)
	v_dual_add_f32 v1, v1, v4 :: v_dual_mul_f32 v4, v91, v25
	v_fma_f32 v3, v87, v22, -v3
	v_mul_f32_e32 v5, v87, v23
	s_wait_alu 0xfffd
	v_add_co_ci_u32_e64 v207, null, s55, v207, vcc_lo
	v_fmac_f32_e32 v4, v92, v24
	v_add_f32_e32 v0, v0, v3
	v_fmac_f32_e32 v5, v88, v22
	v_add_co_u32 v208, vcc_lo, v208, s54
	s_wait_alu 0xfffd
	v_add_co_ci_u32_e64 v209, null, s55, v209, vcc_lo
	v_dual_add_f32 v0, v0, v2 :: v_dual_mul_f32 v3, v90, v27
	v_add_co_u32 v210, vcc_lo, v210, s54
	s_wait_alu 0xfffd
	v_add_co_ci_u32_e64 v211, null, s55, v211, vcc_lo
	s_delay_alu instid0(VALU_DEP_3) | instskip(SKIP_3) | instid1(VALU_DEP_4)
	v_fma_f32 v2, v89, v26, -v3
	v_mul_f32_e32 v3, v94, v29
	v_add_co_u32 v212, vcc_lo, v212, s54
	v_mul_f32_e32 v6, v103, v47
	v_add_f32_e32 v0, v0, v2
	s_delay_alu instid0(VALU_DEP_4)
	v_fma_f32 v2, v93, v28, -v3
	v_mul_f32_e32 v3, v96, v31
	s_wait_alu 0xfffd
	v_add_co_ci_u32_e64 v213, null, s55, v213, vcc_lo
	v_fmac_f32_e32 v6, v104, v46
	v_add_f32_e32 v0, v0, v2
	v_fma_f32 v2, v95, v30, -v3
	v_mul_f32_e32 v3, v98, v41
	v_add_co_u32 v214, vcc_lo, v214, s54
	s_wait_alu 0xfffd
	v_add_co_ci_u32_e64 v215, null, s55, v215, vcc_lo
	v_add_f32_e32 v0, v0, v2
	v_fma_f32 v2, v97, v40, -v3
	v_add_f32_e32 v1, v1, v5
	v_mul_f32_e32 v5, v89, v27
	v_mul_f32_e32 v3, v100, v43
	v_add_co_u32 v216, vcc_lo, v216, s54
	v_add_f32_e32 v0, v0, v2
	s_delay_alu instid0(VALU_DEP_4) | instskip(NEXT) | instid1(VALU_DEP_4)
	v_fmac_f32_e32 v5, v90, v26
	v_fma_f32 v2, v99, v42, -v3
	v_add_f32_e32 v1, v1, v4
	v_dual_mul_f32 v4, v93, v29 :: v_dual_mul_f32 v3, v99, v43
	s_wait_alu 0xfffd
	v_add_co_ci_u32_e64 v217, null, s55, v217, vcc_lo
	v_add_f32_e32 v0, v0, v2
	s_delay_alu instid0(VALU_DEP_3)
	v_fmac_f32_e32 v4, v94, v28
	v_mul_f32_e32 v2, v101, v45
	v_add_f32_e32 v1, v1, v5
	v_mul_f32_e32 v5, v95, v31
	v_fmac_f32_e32 v3, v100, v42
	v_add_co_u32 v218, vcc_lo, v218, s54
	s_delay_alu instid0(VALU_DEP_4) | instskip(SKIP_4) | instid1(VALU_DEP_3)
	v_add_f32_e32 v1, v1, v4
	v_mul_f32_e32 v4, v97, v41
	v_dual_fmac_f32 v2, v102, v44 :: v_dual_fmac_f32 v5, v96, v30
	s_wait_alu 0xfffd
	v_add_co_ci_u32_e64 v219, null, s55, v219, vcc_lo
	v_fmac_f32_e32 v4, v98, v40
	v_add_co_u32 v220, vcc_lo, v220, s54
	v_add_f32_e32 v1, v1, v5
	v_mul_f32_e32 v5, v102, v45
	s_wait_alu 0xfffd
	v_add_co_ci_u32_e64 v221, null, s55, v221, vcc_lo
	v_add_co_u32 v222, vcc_lo, v222, s54
	v_add_f32_e32 v1, v1, v4
	v_fma_f32 v4, v101, v44, -v5
	v_mul_f32_e32 v5, v104, v47
	s_wait_alu 0xfffd
	v_add_co_ci_u32_e64 v223, null, s55, v223, vcc_lo
	s_delay_alu instid0(VALU_DEP_3) | instskip(NEXT) | instid1(VALU_DEP_3)
	v_dual_add_f32 v1, v1, v3 :: v_dual_add_f32 v0, v0, v4
	v_fma_f32 v3, v103, v46, -v5
	v_add_co_u32 v224, vcc_lo, v224, s54
	s_delay_alu instid0(VALU_DEP_3) | instskip(SKIP_3) | instid1(VALU_DEP_3)
	v_add_f32_e32 v1, v1, v2
	s_wait_alu 0xfffd
	v_add_co_ci_u32_e64 v225, null, s55, v225, vcc_lo
	v_add_co_u32 v226, vcc_lo, v226, s54
	v_dual_add_f32 v69, v0, v3 :: v_dual_add_f32 v70, v1, v6
	v_add_nc_u32_e32 v71, 64, v71
	s_wait_alu 0xfffd
	v_add_co_ci_u32_e64 v227, null, s55, v227, vcc_lo
	s_add_co_i32 s22, s23, 1
	s_add_co_i32 s23, s23, 2
	;; [unrolled: 1-line block ×3, first 2 shown]
	s_wait_alu 0xfffe
	s_cmp_ge_u32 s23, s36
	s_wait_loadcnt 0x0
	s_wait_storecnt 0x0
	s_barrier_signal -1
	s_barrier_wait -1
	global_inv scope:SCOPE_SE
	s_cbranch_scc1 .LBB38_165
; %bb.164:                              ;   in Loop: Header=BB38_113 Depth=2
	s_mov_b32 s23, s22
	s_wait_alu 0xfffe
	s_cmp_eq_u32 s72, s23
	s_cselect_b32 s77, s69, 0
	s_and_saveexec_b32 s22, s0
	s_cbranch_execnz .LBB38_109
	s_branch .LBB38_113
.LBB38_165:                             ;   in Loop: Header=BB38_4 Depth=1
	ds_store_b64 v138, v[69:70]
	s_wait_loadcnt_dscnt 0x0
	s_barrier_signal -1
	s_barrier_wait -1
	global_inv scope:SCOPE_SE
	s_and_saveexec_b32 s22, s74
	s_cbranch_execz .LBB38_2
; %bb.166:                              ;   in Loop: Header=BB38_4 Depth=1
	ds_load_2addr_b64 v[0:3], v105 offset1:67
	ds_load_2addr_b64 v[4:7], v105 offset0:134 offset1:201
	s_wait_dscnt 0x1
	v_dual_add_f32 v0, v2, v0 :: v_dual_add_f32 v1, v3, v1
	s_wait_alu 0xfffe
	v_add_co_u32 v2, vcc_lo, s64, v65
	s_wait_alu 0xfffd
	v_add_co_ci_u32_e64 v3, null, s65, v66, vcc_lo
	s_wait_dscnt 0x0
	v_dual_add_f32 v0, v4, v0 :: v_dual_add_f32 v1, v5, v1
	s_delay_alu instid0(VALU_DEP_1)
	v_dual_add_f32 v0, v0, v6 :: v_dual_add_f32 v1, v1, v7
	global_store_b64 v[2:3], v[0:1], off
	s_branch .LBB38_2
.LBB38_167:                             ;   in Loop: Header=BB38_4 Depth=1
	ds_load_b64 v[3:4], v183
	s_mov_b32 s22, exec_lo
	s_wait_dscnt 0x0
	v_xor_b32_e32 v2, 0x80000000, v4
	ds_store_b32 v109, v3
	s_wait_alu 0xfffe
	s_or_saveexec_b32 s23, s23
	v_mov_b32_e32 v3, v109
	s_wait_alu 0xfffe
	s_xor_b32 exec_lo, exec_lo, s23
	s_cbranch_execz .LBB38_35
.LBB38_168:                             ;   in Loop: Header=BB38_4 Depth=1
	v_dual_mov_b32 v2, 0 :: v_dual_mov_b32 v3, v107
	s_and_not1_b32 s22, s22, exec_lo
	s_and_b32 s64, s9, exec_lo
	s_wait_alu 0xfffe
	s_or_b32 s22, s22, s64
	s_or_b32 exec_lo, exec_lo, s23
	s_wait_alu 0xfffe
	s_and_saveexec_b32 s23, s22
	s_cbranch_execnz .LBB38_36
	s_branch .LBB38_37
.LBB38_169:                             ;   in Loop: Header=BB38_4 Depth=1
	ds_load_b64 v[3:4], v183
	s_mov_b32 s22, exec_lo
	s_wait_dscnt 0x0
	v_xor_b32_e32 v2, 0x80000000, v4
	ds_store_b32 v109, v3
	s_wait_alu 0xfffe
	s_or_saveexec_b32 s23, s23
	v_mov_b32_e32 v3, v109
	s_wait_alu 0xfffe
	s_xor_b32 exec_lo, exec_lo, s23
	s_cbranch_execz .LBB38_73
.LBB38_170:                             ;   in Loop: Header=BB38_4 Depth=1
	v_dual_mov_b32 v2, 0 :: v_dual_mov_b32 v3, v107
	s_and_not1_b32 s22, s22, exec_lo
	s_and_b32 s64, s9, exec_lo
	s_wait_alu 0xfffe
	s_or_b32 s22, s22, s64
	s_or_b32 exec_lo, exec_lo, s23
	s_wait_alu 0xfffe
	s_and_saveexec_b32 s23, s22
	s_cbranch_execnz .LBB38_74
	s_branch .LBB38_75
.LBB38_171:                             ;   in Loop: Header=BB38_4 Depth=1
	flat_load_b64 v[4:5], v[0:1]
	s_wait_loadcnt_dscnt 0x0
	ds_store_b64 v180, v[4:5]
	s_or_b32 exec_lo, exec_lo, s22
	s_and_saveexec_b32 s22, s3
	s_wait_alu 0xfffe
	s_xor_b32 s22, exec_lo, s22
	s_cbranch_execz .LBB38_18
.LBB38_172:                             ;   in Loop: Header=BB38_4 Depth=1
	v_mov_b32_e32 v68, v67
	ds_store_b64 v180, v[67:68] offset:2112
	s_wait_alu 0xfffe
	s_and_not1_saveexec_b32 s22, s22
	s_cbranch_execz .LBB38_19
.LBB38_173:                             ;   in Loop: Header=BB38_4 Depth=1
	s_lshl_b64 s[64:65], s[44:45], 3
	s_wait_alu 0xfffe
	v_add_co_u32 v4, vcc_lo, v0, s64
	s_wait_alu 0xfffd
	v_add_co_ci_u32_e64 v5, null, s65, v1, vcc_lo
	flat_load_b64 v[4:5], v[4:5]
	s_wait_loadcnt_dscnt 0x0
	ds_store_b64 v180, v[4:5] offset:2112
	s_or_b32 exec_lo, exec_lo, s22
	s_and_saveexec_b32 s22, s4
	s_wait_alu 0xfffe
	s_xor_b32 s22, exec_lo, s22
	s_cbranch_execz .LBB38_20
.LBB38_174:                             ;   in Loop: Header=BB38_4 Depth=1
	v_mov_b32_e32 v68, v67
	ds_store_b64 v180, v[67:68] offset:4224
	s_wait_alu 0xfffe
	s_and_not1_saveexec_b32 s22, s22
	s_cbranch_execz .LBB38_21
.LBB38_175:                             ;   in Loop: Header=BB38_4 Depth=1
	v_add_co_u32 v4, vcc_lo, v0, s56
	s_wait_alu 0xfffd
	v_add_co_ci_u32_e64 v5, null, s57, v1, vcc_lo
	flat_load_b64 v[4:5], v[4:5]
	s_wait_loadcnt_dscnt 0x0
	ds_store_b64 v180, v[4:5] offset:4224
	s_wait_alu 0xfffe
	s_or_b32 exec_lo, exec_lo, s22
	s_and_saveexec_b32 s22, s5
	s_wait_alu 0xfffe
	s_xor_b32 s22, exec_lo, s22
	s_cbranch_execz .LBB38_22
.LBB38_176:                             ;   in Loop: Header=BB38_4 Depth=1
	v_mov_b32_e32 v68, v67
	ds_store_b64 v180, v[67:68] offset:6336
	s_wait_alu 0xfffe
	s_and_not1_saveexec_b32 s22, s22
	s_cbranch_execnz .LBB38_23
	s_branch .LBB38_24
.LBB38_177:                             ;   in Loop: Header=BB38_4 Depth=1
	flat_load_b64 v[6:7], v[0:1]
	s_wait_loadcnt_dscnt 0x0
	ds_store_b64 v180, v[6:7]
	s_or_b32 exec_lo, exec_lo, s22
	s_and_saveexec_b32 s22, s17
	s_wait_alu 0xfffe
	s_xor_b32 s22, exec_lo, s22
	s_cbranch_execz .LBB38_56
.LBB38_178:                             ;   in Loop: Header=BB38_4 Depth=1
	v_mov_b32_e32 v68, v67
	ds_store_b64 v180, v[67:68] offset:2112
	s_wait_alu 0xfffe
	s_and_not1_saveexec_b32 s22, s22
	s_cbranch_execz .LBB38_57
.LBB38_179:                             ;   in Loop: Header=BB38_4 Depth=1
	s_lshl_b64 s[64:65], s[44:45], 3
	s_wait_alu 0xfffe
	v_add_co_u32 v6, vcc_lo, v0, s64
	s_wait_alu 0xfffd
	v_add_co_ci_u32_e64 v7, null, s65, v1, vcc_lo
	flat_load_b64 v[6:7], v[6:7]
	s_wait_loadcnt_dscnt 0x0
	ds_store_b64 v180, v[6:7] offset:2112
	s_or_b32 exec_lo, exec_lo, s22
	s_and_saveexec_b32 s22, s18
	s_wait_alu 0xfffe
	s_xor_b32 s22, exec_lo, s22
	s_cbranch_execz .LBB38_58
.LBB38_180:                             ;   in Loop: Header=BB38_4 Depth=1
	v_mov_b32_e32 v68, v67
	ds_store_b64 v180, v[67:68] offset:4224
	s_wait_alu 0xfffe
	s_and_not1_saveexec_b32 s22, s22
	s_cbranch_execz .LBB38_59
.LBB38_181:                             ;   in Loop: Header=BB38_4 Depth=1
	v_add_co_u32 v6, vcc_lo, v0, s56
	s_wait_alu 0xfffd
	v_add_co_ci_u32_e64 v7, null, s57, v1, vcc_lo
	flat_load_b64 v[6:7], v[6:7]
	s_wait_loadcnt_dscnt 0x0
	ds_store_b64 v180, v[6:7] offset:4224
	s_wait_alu 0xfffe
	s_or_b32 exec_lo, exec_lo, s22
	s_and_saveexec_b32 s22, s19
	s_wait_alu 0xfffe
	s_xor_b32 s22, exec_lo, s22
	s_cbranch_execz .LBB38_60
.LBB38_182:                             ;   in Loop: Header=BB38_4 Depth=1
	v_mov_b32_e32 v68, v67
	ds_store_b64 v180, v[67:68] offset:6336
	s_wait_alu 0xfffe
	s_and_not1_saveexec_b32 s22, s22
	s_cbranch_execnz .LBB38_61
	s_branch .LBB38_62
.LBB38_183:                             ;   in Loop: Header=BB38_4 Depth=1
	flat_load_b64 v[6:7], v[4:5]
	s_wait_loadcnt_dscnt 0x0
	ds_store_b64 v180, v[6:7]
	s_or_b32 exec_lo, exec_lo, s22
	s_and_saveexec_b32 s22, s17
	s_wait_alu 0xfffe
	s_xor_b32 s22, exec_lo, s22
	s_cbranch_execz .LBB38_94
.LBB38_184:                             ;   in Loop: Header=BB38_4 Depth=1
	v_mov_b32_e32 v68, v67
	ds_store_b64 v180, v[67:68] offset:2112
	s_wait_alu 0xfffe
	s_and_not1_saveexec_b32 s22, s22
	s_cbranch_execz .LBB38_95
.LBB38_185:                             ;   in Loop: Header=BB38_4 Depth=1
	s_lshl_b64 s[64:65], s[44:45], 3
	s_wait_alu 0xfffe
	v_add_co_u32 v6, vcc_lo, v4, s64
	s_wait_alu 0xfffd
	v_add_co_ci_u32_e64 v7, null, s65, v5, vcc_lo
	flat_load_b64 v[6:7], v[6:7]
	s_wait_loadcnt_dscnt 0x0
	ds_store_b64 v180, v[6:7] offset:2112
	s_or_b32 exec_lo, exec_lo, s22
	s_and_saveexec_b32 s22, s18
	s_wait_alu 0xfffe
	s_xor_b32 s22, exec_lo, s22
	s_cbranch_execz .LBB38_96
.LBB38_186:                             ;   in Loop: Header=BB38_4 Depth=1
	v_mov_b32_e32 v68, v67
	ds_store_b64 v180, v[67:68] offset:4224
	s_wait_alu 0xfffe
	s_and_not1_saveexec_b32 s22, s22
	s_cbranch_execz .LBB38_97
.LBB38_187:                             ;   in Loop: Header=BB38_4 Depth=1
	v_add_co_u32 v6, vcc_lo, v4, s56
	s_wait_alu 0xfffd
	v_add_co_ci_u32_e64 v7, null, s57, v5, vcc_lo
	flat_load_b64 v[6:7], v[6:7]
	s_wait_loadcnt_dscnt 0x0
	ds_store_b64 v180, v[6:7] offset:4224
	s_wait_alu 0xfffe
	s_or_b32 exec_lo, exec_lo, s22
	s_and_saveexec_b32 s22, s19
	s_wait_alu 0xfffe
	s_xor_b32 s22, exec_lo, s22
	s_cbranch_execz .LBB38_98
.LBB38_188:                             ;   in Loop: Header=BB38_4 Depth=1
	v_mov_b32_e32 v68, v67
	ds_store_b64 v180, v[67:68] offset:6336
	s_wait_alu 0xfffe
	s_and_not1_saveexec_b32 s22, s22
	s_cbranch_execnz .LBB38_99
	s_branch .LBB38_100
.LBB38_189:
	s_nop 0
	s_sendmsg sendmsg(MSG_DEALLOC_VGPRS)
	s_endpgm
	.section	.rodata,"a",@progbits
	.p2align	6, 0x0
	.amdhsa_kernel _ZL26rocblas_hemvn_kernel_upperILb1ELi64ELi4ELi33ELi32ELi16Ei19rocblas_complex_numIfEPKPKS1_PS1_EviT6_lT7_lT5_lS8_lS9_lS7_lT8_i
		.amdhsa_group_segment_fixed_size 9600
		.amdhsa_private_segment_fixed_size 0
		.amdhsa_kernarg_size 376
		.amdhsa_user_sgpr_count 2
		.amdhsa_user_sgpr_dispatch_ptr 0
		.amdhsa_user_sgpr_queue_ptr 0
		.amdhsa_user_sgpr_kernarg_segment_ptr 1
		.amdhsa_user_sgpr_dispatch_id 0
		.amdhsa_user_sgpr_private_segment_size 0
		.amdhsa_wavefront_size32 1
		.amdhsa_uses_dynamic_stack 0
		.amdhsa_enable_private_segment 0
		.amdhsa_system_sgpr_workgroup_id_x 1
		.amdhsa_system_sgpr_workgroup_id_y 0
		.amdhsa_system_sgpr_workgroup_id_z 1
		.amdhsa_system_sgpr_workgroup_info 0
		.amdhsa_system_vgpr_workitem_id 1
		.amdhsa_next_free_vgpr 236
		.amdhsa_next_free_sgpr 88
		.amdhsa_reserve_vcc 1
		.amdhsa_float_round_mode_32 0
		.amdhsa_float_round_mode_16_64 0
		.amdhsa_float_denorm_mode_32 3
		.amdhsa_float_denorm_mode_16_64 3
		.amdhsa_fp16_overflow 0
		.amdhsa_workgroup_processor_mode 1
		.amdhsa_memory_ordered 1
		.amdhsa_forward_progress 1
		.amdhsa_inst_pref_size 94
		.amdhsa_round_robin_scheduling 0
		.amdhsa_exception_fp_ieee_invalid_op 0
		.amdhsa_exception_fp_denorm_src 0
		.amdhsa_exception_fp_ieee_div_zero 0
		.amdhsa_exception_fp_ieee_overflow 0
		.amdhsa_exception_fp_ieee_underflow 0
		.amdhsa_exception_fp_ieee_inexact 0
		.amdhsa_exception_int_div_zero 0
	.end_amdhsa_kernel
	.section	.text._ZL26rocblas_hemvn_kernel_upperILb1ELi64ELi4ELi33ELi32ELi16Ei19rocblas_complex_numIfEPKPKS1_PS1_EviT6_lT7_lT5_lS8_lS9_lS7_lT8_i,"axG",@progbits,_ZL26rocblas_hemvn_kernel_upperILb1ELi64ELi4ELi33ELi32ELi16Ei19rocblas_complex_numIfEPKPKS1_PS1_EviT6_lT7_lT5_lS8_lS9_lS7_lT8_i,comdat
.Lfunc_end38:
	.size	_ZL26rocblas_hemvn_kernel_upperILb1ELi64ELi4ELi33ELi32ELi16Ei19rocblas_complex_numIfEPKPKS1_PS1_EviT6_lT7_lT5_lS8_lS9_lS7_lT8_i, .Lfunc_end38-_ZL26rocblas_hemvn_kernel_upperILb1ELi64ELi4ELi33ELi32ELi16Ei19rocblas_complex_numIfEPKPKS1_PS1_EviT6_lT7_lT5_lS8_lS9_lS7_lT8_i
                                        ; -- End function
	.set _ZL26rocblas_hemvn_kernel_upperILb1ELi64ELi4ELi33ELi32ELi16Ei19rocblas_complex_numIfEPKPKS1_PS1_EviT6_lT7_lT5_lS8_lS9_lS7_lT8_i.num_vgpr, 236
	.set _ZL26rocblas_hemvn_kernel_upperILb1ELi64ELi4ELi33ELi32ELi16Ei19rocblas_complex_numIfEPKPKS1_PS1_EviT6_lT7_lT5_lS8_lS9_lS7_lT8_i.num_agpr, 0
	.set _ZL26rocblas_hemvn_kernel_upperILb1ELi64ELi4ELi33ELi32ELi16Ei19rocblas_complex_numIfEPKPKS1_PS1_EviT6_lT7_lT5_lS8_lS9_lS7_lT8_i.numbered_sgpr, 88
	.set _ZL26rocblas_hemvn_kernel_upperILb1ELi64ELi4ELi33ELi32ELi16Ei19rocblas_complex_numIfEPKPKS1_PS1_EviT6_lT7_lT5_lS8_lS9_lS7_lT8_i.num_named_barrier, 0
	.set _ZL26rocblas_hemvn_kernel_upperILb1ELi64ELi4ELi33ELi32ELi16Ei19rocblas_complex_numIfEPKPKS1_PS1_EviT6_lT7_lT5_lS8_lS9_lS7_lT8_i.private_seg_size, 0
	.set _ZL26rocblas_hemvn_kernel_upperILb1ELi64ELi4ELi33ELi32ELi16Ei19rocblas_complex_numIfEPKPKS1_PS1_EviT6_lT7_lT5_lS8_lS9_lS7_lT8_i.uses_vcc, 1
	.set _ZL26rocblas_hemvn_kernel_upperILb1ELi64ELi4ELi33ELi32ELi16Ei19rocblas_complex_numIfEPKPKS1_PS1_EviT6_lT7_lT5_lS8_lS9_lS7_lT8_i.uses_flat_scratch, 1
	.set _ZL26rocblas_hemvn_kernel_upperILb1ELi64ELi4ELi33ELi32ELi16Ei19rocblas_complex_numIfEPKPKS1_PS1_EviT6_lT7_lT5_lS8_lS9_lS7_lT8_i.has_dyn_sized_stack, 0
	.set _ZL26rocblas_hemvn_kernel_upperILb1ELi64ELi4ELi33ELi32ELi16Ei19rocblas_complex_numIfEPKPKS1_PS1_EviT6_lT7_lT5_lS8_lS9_lS7_lT8_i.has_recursion, 0
	.set _ZL26rocblas_hemvn_kernel_upperILb1ELi64ELi4ELi33ELi32ELi16Ei19rocblas_complex_numIfEPKPKS1_PS1_EviT6_lT7_lT5_lS8_lS9_lS7_lT8_i.has_indirect_call, 0
	.section	.AMDGPU.csdata,"",@progbits
; Kernel info:
; codeLenInByte = 11980
; TotalNumSgprs: 90
; NumVgprs: 236
; ScratchSize: 0
; MemoryBound: 1
; FloatMode: 240
; IeeeMode: 1
; LDSByteSize: 9600 bytes/workgroup (compile time only)
; SGPRBlocks: 0
; VGPRBlocks: 29
; NumSGPRsForWavesPerEU: 90
; NumVGPRsForWavesPerEU: 236
; Occupancy: 6
; WaveLimiterHint : 1
; COMPUTE_PGM_RSRC2:SCRATCH_EN: 0
; COMPUTE_PGM_RSRC2:USER_SGPR: 2
; COMPUTE_PGM_RSRC2:TRAP_HANDLER: 0
; COMPUTE_PGM_RSRC2:TGID_X_EN: 1
; COMPUTE_PGM_RSRC2:TGID_Y_EN: 0
; COMPUTE_PGM_RSRC2:TGID_Z_EN: 1
; COMPUTE_PGM_RSRC2:TIDIG_COMP_CNT: 1
	.section	.text._ZL36rocblas_hemvn_kernel_upper_block_sumILi64Ei19rocblas_complex_numIfEPKPS1_S1_EviT1_lS5_lT2_lT0_lPT3_i,"axG",@progbits,_ZL36rocblas_hemvn_kernel_upper_block_sumILi64Ei19rocblas_complex_numIfEPKPS1_S1_EviT1_lS5_lT2_lT0_lPT3_i,comdat
	.globl	_ZL36rocblas_hemvn_kernel_upper_block_sumILi64Ei19rocblas_complex_numIfEPKPS1_S1_EviT1_lS5_lT2_lT0_lPT3_i ; -- Begin function _ZL36rocblas_hemvn_kernel_upper_block_sumILi64Ei19rocblas_complex_numIfEPKPS1_S1_EviT1_lS5_lT2_lT0_lPT3_i
	.p2align	8
	.type	_ZL36rocblas_hemvn_kernel_upper_block_sumILi64Ei19rocblas_complex_numIfEPKPS1_S1_EviT1_lS5_lT2_lT0_lPT3_i,@function
_ZL36rocblas_hemvn_kernel_upper_block_sumILi64Ei19rocblas_complex_numIfEPKPS1_S1_EviT1_lS5_lT2_lT0_lPT3_i: ; @_ZL36rocblas_hemvn_kernel_upper_block_sumILi64Ei19rocblas_complex_numIfEPKPS1_S1_EviT1_lS5_lT2_lT0_lPT3_i
; %bb.0:
	s_load_b32 s18, s[0:1], 0x50
	s_lshr_b32 s2, ttmp7, 16
	s_wait_kmcnt 0x0
	s_cmp_ge_u32 s2, s18
	s_cbranch_scc1 .LBB39_21
; %bb.1:
	s_clause 0x4
	s_load_b64 s[8:9], s[0:1], 0x4
	s_load_b64 s[10:11], s[0:1], 0x18
	s_load_b32 s14, s[0:1], 0x0
	s_load_b32 s15, s[0:1], 0x38
	s_load_b64 s[16:17], s[0:1], 0x48
	v_lshl_or_b32 v0, ttmp9, 6, v0
	s_load_b128 s[4:7], s[0:1], 0x28
	s_delay_alu instid0(VALU_DEP_1) | instskip(NEXT) | instid1(VALU_DEP_1)
	v_ashrrev_i32_e32 v1, 31, v0
	v_lshlrev_b64_e32 v[1:2], 3, v[0:1]
	s_wait_kmcnt 0x0
	s_or_b32 s3, s8, s9
	s_delay_alu instid0(SALU_CYCLE_1)
	s_and_b32 s12, s3, 0x7fffffff
	v_mul_lo_u32 v3, s15, v0
	s_cmp_eq_u32 s12, 0
	s_mov_b32 s3, 0
	s_cselect_b32 s19, -1, 0
	s_cmp_lg_u32 s12, 0
	s_add_nc_u64 s[12:13], s[0:1], 0x58
	s_cselect_b32 s21, -1, 0
	s_cmp_neq_f32 s10, 1.0
	v_cmp_gt_i32_e64 s0, s14, v0
	v_add_co_u32 v0, vcc_lo, s16, v1
	s_cselect_b32 s22, -1, 0
	s_cmp_neq_f32 s11, 0
	v_ashrrev_i32_e32 v4, 31, v3
	v_add_co_ci_u32_e64 v1, null, s17, v2, vcc_lo
	s_cselect_b32 s16, -1, 0
	s_cmp_neq_f32 s10, 0
	v_add_co_u32 v0, vcc_lo, v0, 4
	v_lshlrev_b64_e32 v[2:3], 3, v[3:4]
	s_cselect_b32 s1, -1, 0
	s_ashr_i32 s15, s14, 31
	s_wait_alu 0xfffe
	s_or_b32 s1, s1, s16
	s_wait_alu 0xfffd
	v_add_co_ci_u32_e64 v1, null, 0, v1, vcc_lo
	s_wait_alu 0xfffe
	v_cndmask_b32_e64 v6, 0, 1, s1
	s_xor_b32 s1, s1, -1
	s_cmp_gt_i32 ttmp9, -1
	s_cselect_b32 s20, -1, 0
	s_or_b32 s16, s22, s16
	s_add_co_i32 s22, ttmp9, 1
	s_wait_alu 0xfffe
	s_or_b32 s21, s16, s21
	s_lshl_b64 s[14:15], s[14:15], 3
	s_lshl_b64 s[6:7], s[6:7], 3
	s_branch .LBB39_5
.LBB39_2:                               ;   in Loop: Header=BB39_5 Depth=1
	v_add_co_u32 v7, vcc_lo, s16, v2
	s_wait_alu 0xfffd
	v_add_co_ci_u32_e64 v8, null, s17, v3, vcc_lo
	flat_store_b64 v[7:8], v[4:5]
.LBB39_3:                               ;   in Loop: Header=BB39_5 Depth=1
	s_or_b32 exec_lo, exec_lo, s23
.LBB39_4:                               ;   in Loop: Header=BB39_5 Depth=1
	s_add_co_i32 s2, s2, 0x10000
	s_wait_alu 0xfffe
	s_cmp_lt_u32 s2, s18
	s_cbranch_scc0 .LBB39_21
.LBB39_5:                               ; =>This Loop Header: Depth=1
                                        ;     Child Loop BB39_16 Depth 2
	s_and_not1_b32 vcc_lo, exec_lo, s21
	s_wait_alu 0xfffe
	s_cbranch_vccnz .LBB39_4
; %bb.6:                                ;   in Loop: Header=BB39_5 Depth=1
	s_lshl_b64 s[16:17], s[2:3], 3
	s_and_not1_b32 vcc_lo, exec_lo, s19
	s_wait_alu 0xfffe
	s_add_nc_u64 s[16:17], s[4:5], s[16:17]
	s_mov_b32 s23, -1
	s_load_b64 s[16:17], s[16:17], 0x0
	s_wait_kmcnt 0x0
	s_add_nc_u64 s[16:17], s[16:17], s[6:7]
	s_cbranch_vccnz .LBB39_12
; %bb.7:                                ;   in Loop: Header=BB39_5 Depth=1
	s_and_saveexec_b32 s23, s0
	s_cbranch_execz .LBB39_11
; %bb.8:                                ;   in Loop: Header=BB39_5 Depth=1
	v_cmp_ne_u32_e32 vcc_lo, 1, v6
	v_dual_mov_b32 v4, 0 :: v_dual_mov_b32 v5, 0
	s_cbranch_vccnz .LBB39_10
; %bb.9:                                ;   in Loop: Header=BB39_5 Depth=1
	s_wait_alu 0xfffe
	v_add_co_u32 v4, vcc_lo, s16, v2
	s_wait_alu 0xfffd
	v_add_co_ci_u32_e64 v5, null, s17, v3, vcc_lo
	flat_load_b64 v[7:8], v[4:5]
	s_wait_loadcnt_dscnt 0x0
	v_mul_f32_e32 v5, s10, v8
	s_delay_alu instid0(VALU_DEP_1) | instskip(NEXT) | instid1(VALU_DEP_1)
	v_dual_mul_f32 v4, s11, v8 :: v_dual_fmac_f32 v5, s11, v7
	v_fma_f32 v4, v7, s10, -v4
.LBB39_10:                              ;   in Loop: Header=BB39_5 Depth=1
	s_wait_alu 0xfffe
	v_add_co_u32 v7, vcc_lo, s16, v2
	s_wait_alu 0xfffd
	v_add_co_ci_u32_e64 v8, null, s17, v3, vcc_lo
	flat_store_b64 v[7:8], v[4:5]
.LBB39_11:                              ;   in Loop: Header=BB39_5 Depth=1
	s_or_b32 exec_lo, exec_lo, s23
	s_mov_b32 s23, 0
.LBB39_12:                              ;   in Loop: Header=BB39_5 Depth=1
	s_delay_alu instid0(SALU_CYCLE_1)
	s_and_not1_b32 vcc_lo, exec_lo, s23
	s_wait_alu 0xfffe
	s_cbranch_vccnz .LBB39_4
; %bb.13:                               ;   in Loop: Header=BB39_5 Depth=1
	s_and_saveexec_b32 s23, s0
	s_cbranch_execz .LBB39_3
; %bb.14:                               ;   in Loop: Header=BB39_5 Depth=1
	v_dual_mov_b32 v7, 0 :: v_dual_mov_b32 v8, 0
	s_and_not1_b32 vcc_lo, exec_lo, s20
	s_wait_alu 0xfffe
	s_cbranch_vccnz .LBB39_17
; %bb.15:                               ;   in Loop: Header=BB39_5 Depth=1
	s_load_b32 s24, s[12:13], 0x0
	s_mov_b32 s25, s3
	v_mov_b32_e32 v7, 0
	s_wait_kmcnt 0x0
	s_wait_alu 0xfffe
	s_mul_u64 s[24:25], s[14:15], s[24:25]
	s_wait_alu 0xfffe
	v_mad_co_u64_u32 v[4:5], null, s24, s2, v[0:1]
	s_mov_b32 s24, s22
	v_mad_co_u64_u32 v[8:9], null, s25, s2, v[5:6]
	s_delay_alu instid0(VALU_DEP_1)
	v_dual_mov_b32 v5, v8 :: v_dual_mov_b32 v8, 0
.LBB39_16:                              ;   Parent Loop BB39_5 Depth=1
                                        ; =>  This Inner Loop Header: Depth=2
	global_load_b64 v[9:10], v[4:5], off offset:-4
	v_add_co_u32 v4, vcc_lo, v4, s14
	s_wait_alu 0xfffd
	v_add_co_ci_u32_e64 v5, null, s15, v5, vcc_lo
	s_wait_alu 0xfffe
	s_add_co_i32 s24, s24, -1
	s_wait_alu 0xfffe
	s_cmp_eq_u32 s24, 0
	s_wait_loadcnt 0x0
	v_dual_add_f32 v8, v8, v9 :: v_dual_add_f32 v7, v7, v10
	s_cbranch_scc0 .LBB39_16
.LBB39_17:                              ;   in Loop: Header=BB39_5 Depth=1
	s_delay_alu instid0(VALU_DEP_1) | instskip(SKIP_3) | instid1(VALU_DEP_2)
	v_mul_f32_e32 v5, s8, v7
	v_mul_f32_e32 v4, s9, v7
	s_and_b32 vcc_lo, exec_lo, s1
	s_mov_b32 s24, -1
	v_fmac_f32_e32 v5, s9, v8
	s_delay_alu instid0(VALU_DEP_2)
	v_fma_f32 v4, v8, s8, -v4
	s_wait_alu 0xfffe
	s_cbranch_vccz .LBB39_19
; %bb.18:                               ;   in Loop: Header=BB39_5 Depth=1
	s_mov_b32 s24, 0
.LBB39_19:                              ;   in Loop: Header=BB39_5 Depth=1
	s_wait_alu 0xfffe
	s_and_not1_b32 vcc_lo, exec_lo, s24
	s_wait_alu 0xfffe
	s_cbranch_vccnz .LBB39_2
; %bb.20:                               ;   in Loop: Header=BB39_5 Depth=1
	v_add_co_u32 v7, vcc_lo, s16, v2
	s_wait_alu 0xfffd
	v_add_co_ci_u32_e64 v8, null, s17, v3, vcc_lo
	flat_load_b64 v[7:8], v[7:8]
	s_wait_loadcnt_dscnt 0x0
	v_mul_f32_e32 v9, s11, v8
	v_mul_f32_e32 v8, s10, v8
	s_delay_alu instid0(VALU_DEP_1) | instskip(NEXT) | instid1(VALU_DEP_3)
	v_fmac_f32_e32 v8, s11, v7
	v_fma_f32 v9, v7, s10, -v9
	s_delay_alu instid0(VALU_DEP_1)
	v_dual_add_f32 v5, v5, v8 :: v_dual_add_f32 v4, v4, v9
	s_branch .LBB39_2
.LBB39_21:
	s_endpgm
	.section	.rodata,"a",@progbits
	.p2align	6, 0x0
	.amdhsa_kernel _ZL36rocblas_hemvn_kernel_upper_block_sumILi64Ei19rocblas_complex_numIfEPKPS1_S1_EviT1_lS5_lT2_lT0_lPT3_i
		.amdhsa_group_segment_fixed_size 0
		.amdhsa_private_segment_fixed_size 0
		.amdhsa_kernarg_size 344
		.amdhsa_user_sgpr_count 2
		.amdhsa_user_sgpr_dispatch_ptr 0
		.amdhsa_user_sgpr_queue_ptr 0
		.amdhsa_user_sgpr_kernarg_segment_ptr 1
		.amdhsa_user_sgpr_dispatch_id 0
		.amdhsa_user_sgpr_private_segment_size 0
		.amdhsa_wavefront_size32 1
		.amdhsa_uses_dynamic_stack 0
		.amdhsa_enable_private_segment 0
		.amdhsa_system_sgpr_workgroup_id_x 1
		.amdhsa_system_sgpr_workgroup_id_y 0
		.amdhsa_system_sgpr_workgroup_id_z 1
		.amdhsa_system_sgpr_workgroup_info 0
		.amdhsa_system_vgpr_workitem_id 0
		.amdhsa_next_free_vgpr 11
		.amdhsa_next_free_sgpr 26
		.amdhsa_reserve_vcc 1
		.amdhsa_float_round_mode_32 0
		.amdhsa_float_round_mode_16_64 0
		.amdhsa_float_denorm_mode_32 3
		.amdhsa_float_denorm_mode_16_64 3
		.amdhsa_fp16_overflow 0
		.amdhsa_workgroup_processor_mode 1
		.amdhsa_memory_ordered 1
		.amdhsa_forward_progress 1
		.amdhsa_inst_pref_size 7
		.amdhsa_round_robin_scheduling 0
		.amdhsa_exception_fp_ieee_invalid_op 0
		.amdhsa_exception_fp_denorm_src 0
		.amdhsa_exception_fp_ieee_div_zero 0
		.amdhsa_exception_fp_ieee_overflow 0
		.amdhsa_exception_fp_ieee_underflow 0
		.amdhsa_exception_fp_ieee_inexact 0
		.amdhsa_exception_int_div_zero 0
	.end_amdhsa_kernel
	.section	.text._ZL36rocblas_hemvn_kernel_upper_block_sumILi64Ei19rocblas_complex_numIfEPKPS1_S1_EviT1_lS5_lT2_lT0_lPT3_i,"axG",@progbits,_ZL36rocblas_hemvn_kernel_upper_block_sumILi64Ei19rocblas_complex_numIfEPKPS1_S1_EviT1_lS5_lT2_lT0_lPT3_i,comdat
.Lfunc_end39:
	.size	_ZL36rocblas_hemvn_kernel_upper_block_sumILi64Ei19rocblas_complex_numIfEPKPS1_S1_EviT1_lS5_lT2_lT0_lPT3_i, .Lfunc_end39-_ZL36rocblas_hemvn_kernel_upper_block_sumILi64Ei19rocblas_complex_numIfEPKPS1_S1_EviT1_lS5_lT2_lT0_lPT3_i
                                        ; -- End function
	.set _ZL36rocblas_hemvn_kernel_upper_block_sumILi64Ei19rocblas_complex_numIfEPKPS1_S1_EviT1_lS5_lT2_lT0_lPT3_i.num_vgpr, 11
	.set _ZL36rocblas_hemvn_kernel_upper_block_sumILi64Ei19rocblas_complex_numIfEPKPS1_S1_EviT1_lS5_lT2_lT0_lPT3_i.num_agpr, 0
	.set _ZL36rocblas_hemvn_kernel_upper_block_sumILi64Ei19rocblas_complex_numIfEPKPS1_S1_EviT1_lS5_lT2_lT0_lPT3_i.numbered_sgpr, 26
	.set _ZL36rocblas_hemvn_kernel_upper_block_sumILi64Ei19rocblas_complex_numIfEPKPS1_S1_EviT1_lS5_lT2_lT0_lPT3_i.num_named_barrier, 0
	.set _ZL36rocblas_hemvn_kernel_upper_block_sumILi64Ei19rocblas_complex_numIfEPKPS1_S1_EviT1_lS5_lT2_lT0_lPT3_i.private_seg_size, 0
	.set _ZL36rocblas_hemvn_kernel_upper_block_sumILi64Ei19rocblas_complex_numIfEPKPS1_S1_EviT1_lS5_lT2_lT0_lPT3_i.uses_vcc, 1
	.set _ZL36rocblas_hemvn_kernel_upper_block_sumILi64Ei19rocblas_complex_numIfEPKPS1_S1_EviT1_lS5_lT2_lT0_lPT3_i.uses_flat_scratch, 0
	.set _ZL36rocblas_hemvn_kernel_upper_block_sumILi64Ei19rocblas_complex_numIfEPKPS1_S1_EviT1_lS5_lT2_lT0_lPT3_i.has_dyn_sized_stack, 0
	.set _ZL36rocblas_hemvn_kernel_upper_block_sumILi64Ei19rocblas_complex_numIfEPKPS1_S1_EviT1_lS5_lT2_lT0_lPT3_i.has_recursion, 0
	.set _ZL36rocblas_hemvn_kernel_upper_block_sumILi64Ei19rocblas_complex_numIfEPKPS1_S1_EviT1_lS5_lT2_lT0_lPT3_i.has_indirect_call, 0
	.section	.AMDGPU.csdata,"",@progbits
; Kernel info:
; codeLenInByte = 848
; TotalNumSgprs: 28
; NumVgprs: 11
; ScratchSize: 0
; MemoryBound: 0
; FloatMode: 240
; IeeeMode: 1
; LDSByteSize: 0 bytes/workgroup (compile time only)
; SGPRBlocks: 0
; VGPRBlocks: 1
; NumSGPRsForWavesPerEU: 28
; NumVGPRsForWavesPerEU: 11
; Occupancy: 16
; WaveLimiterHint : 1
; COMPUTE_PGM_RSRC2:SCRATCH_EN: 0
; COMPUTE_PGM_RSRC2:USER_SGPR: 2
; COMPUTE_PGM_RSRC2:TRAP_HANDLER: 0
; COMPUTE_PGM_RSRC2:TGID_X_EN: 1
; COMPUTE_PGM_RSRC2:TGID_Y_EN: 0
; COMPUTE_PGM_RSRC2:TGID_Z_EN: 1
; COMPUTE_PGM_RSRC2:TIDIG_COMP_CNT: 0
	.section	.text._ZL26rocblas_hemvn_kernel_lowerILb1ELi64ELi4ELi33ELi32ELi16ElPK19rocblas_complex_numIfEPKS3_PS1_EviT6_lT7_lT5_lS8_lS9_lS7_lT8_i,"axG",@progbits,_ZL26rocblas_hemvn_kernel_lowerILb1ELi64ELi4ELi33ELi32ELi16ElPK19rocblas_complex_numIfEPKS3_PS1_EviT6_lT7_lT5_lS8_lS9_lS7_lT8_i,comdat
	.globl	_ZL26rocblas_hemvn_kernel_lowerILb1ELi64ELi4ELi33ELi32ELi16ElPK19rocblas_complex_numIfEPKS3_PS1_EviT6_lT7_lT5_lS8_lS9_lS7_lT8_i ; -- Begin function _ZL26rocblas_hemvn_kernel_lowerILb1ELi64ELi4ELi33ELi32ELi16ElPK19rocblas_complex_numIfEPKS3_PS1_EviT6_lT7_lT5_lS8_lS9_lS7_lT8_i
	.p2align	8
	.type	_ZL26rocblas_hemvn_kernel_lowerILb1ELi64ELi4ELi33ELi32ELi16ElPK19rocblas_complex_numIfEPKS3_PS1_EviT6_lT7_lT5_lS8_lS9_lS7_lT8_i,@function
_ZL26rocblas_hemvn_kernel_lowerILb1ELi64ELi4ELi33ELi32ELi16ElPK19rocblas_complex_numIfEPKS3_PS1_EviT6_lT7_lT5_lS8_lS9_lS7_lT8_i: ; @_ZL26rocblas_hemvn_kernel_lowerILb1ELi64ELi4ELi33ELi32ELi16ElPK19rocblas_complex_numIfEPKS3_PS1_EviT6_lT7_lT5_lS8_lS9_lS7_lT8_i
; %bb.0:
	s_clause 0x1
	s_load_b64 s[2:3], s[0:1], 0x84
	s_load_b32 s33, s[0:1], 0x70
	s_lshr_b32 s34, ttmp7, 16
	s_wait_kmcnt 0x0
	s_lshr_b32 s4, s2, 16
	s_and_b32 s2, s2, 0xffff
	s_and_b32 s3, s3, 0xffff
	s_mul_i32 s2, s4, s2
	s_delay_alu instid0(SALU_CYCLE_1) | instskip(NEXT) | instid1(SALU_CYCLE_1)
	s_mul_i32 s2, s2, s3
	s_cmp_lg_u32 s2, 0x100
	s_cselect_b32 s2, -1, 0
	s_cmp_ge_u32 s34, s33
	s_cselect_b32 s3, -1, 0
	s_delay_alu instid0(SALU_CYCLE_1) | instskip(NEXT) | instid1(SALU_CYCLE_1)
	s_or_b32 s2, s2, s3
	s_and_b32 vcc_lo, exec_lo, s2
	s_cbranch_vccnz .LBB40_137
; %bb.1:
	s_clause 0x1
	s_load_b32 s2, s[0:1], 0x0
	s_load_b64 s[44:45], s[0:1], 0x48
	s_add_nc_u64 s[4:5], s[0:1], 0x78
	v_dual_mov_b32 v33, 0 :: v_dual_and_b32 v82, 0x3ff, v0
	s_load_b32 s46, s[4:5], 0x0
	v_bfe_u32 v14, v0, 10, 10
	s_clause 0x4
	s_load_b64 s[68:69], s[0:1], 0x28
	s_load_b128 s[36:39], s[0:1], 0x38
	s_load_b64 s[4:5], s[0:1], 0x68
	s_load_b256 s[24:31], s[0:1], 0x8
	s_load_b128 s[40:43], s[0:1], 0x58
	v_and_b32_e32 v32, 31, v0
	v_lshl_add_u32 v15, v14, 6, v82
	s_lshl_b32 s70, ttmp9, 6
	s_mov_b32 s47, 0
	v_add_nc_u32_e32 v1, s70, v82
	v_lshlrev_b32_e32 v16, 3, v32
	v_lshrrev_b32_e32 v12, 5, v15
	v_and_b32_e32 v20, 0x7fe0, v15
	v_mul_u32_u24_e32 v23, 33, v32
	v_ashrrev_i32_e32 v2, 31, v1
	s_wait_kmcnt 0x0
	s_ashr_i32 s3, s2, 31
	s_mul_i32 s6, s2, ttmp9
	s_lshr_b32 s0, s3, 26
	v_lshlrev_b32_e32 v18, 2, v12
	s_add_co_i32 s0, s2, s0
	s_add_co_i32 s1, s46, -1
	s_and_not1_b32 s0, s0, 63
	v_lshl_or_b32 v19, v32, 8, v16
	s_sub_co_i32 s0, s2, s0
	s_cmp_eq_u32 ttmp9, s1
	v_or_b32_e32 v21, 1, v18
	s_cselect_b32 s48, s0, 0
	v_cmp_eq_u32_e64 s8, v18, v32
	s_cmp_eq_u32 s48, 0
	v_add_nc_u32_e32 v86, v19, v20
	s_cselect_b32 s80, -1, 0
	s_cmp_lg_u32 s48, 0
	v_or_b32_e32 v19, 2, v18
	s_cselect_b32 s1, -1, 0
	s_ashr_i32 s7, s6, 31
	v_add_nc_u32_e32 v10, 8, v12
	s_lshl_b64 s[6:7], s[6:7], 3
	v_add_nc_u32_e32 v11, 16, v12
	s_add_nc_u64 s[52:53], s[4:5], s[6:7]
	v_cmp_ge_u32_e64 s7, v18, v32
	v_or_b32_e32 v18, 3, v18
	v_mul_lo_u32 v7, s44, v2
	v_mul_lo_u32 v8, s45, v1
	v_mad_co_u64_u32 v[3:4], null, s44, v1, 0
	s_delay_alu instid0(VALU_DEP_4)
	v_cmp_ge_u32_e64 s13, v18, v32
	v_cmp_eq_u32_e64 s14, v18, v32
	v_or_b32_e32 v18, 32, v32
	v_mad_co_u64_u32 v[5:6], null, s68, v12, v[32:33]
	v_cmp_ge_u32_e64 s11, v19, v32
	v_cmp_eq_u32_e64 s12, v19, v32
	s_delay_alu instid0(VALU_DEP_4)
	v_cmp_gt_i32_e64 s16, s48, v18
	v_lshlrev_b32_e32 v18, 2, v14
	v_lshlrev_b32_e32 v19, 3, v12
	;; [unrolled: 1-line block ×3, first 2 shown]
	s_sub_co_i32 s20, s48, 32
	v_cmp_le_i32_e64 s4, s48, v10
	v_cmp_le_i32_e64 s5, s48, v11
	;; [unrolled: 1-line block ×4, first 2 shown]
	v_mad_co_u64_u32 v[10:11], null, s68, v18, 0
	v_add_nc_u32_e32 v92, v89, v19
	v_add3_u32 v4, v4, v7, v8
	v_mad_co_u64_u32 v[7:8], null, s69, v12, v[6:7]
	v_cmp_le_i32_e32 vcc_lo, s48, v82
	s_mul_u64 s[50:51], s[46:47], s[2:3]
	v_sub_co_u32 v8, s3, 0, v32
	v_mul_u32_u24_e32 v17, 0x108, v12
	v_sub_co_ci_u32_e64 v9, null, 0, 0, s3
	v_add_nc_u32_e32 v13, 24, v12
	v_cmp_le_i32_e64 s3, s48, v12
	v_mul_u32_u24_e32 v22, 0x420, v12
	v_add_nc_u32_e32 v91, 0x2380, v20
	v_cmp_le_i32_e64 s17, s20, v12
	v_cmp_eq_u32_e64 s21, 1, v12
	v_mul_i32_i24_e32 v20, 0xffffffe8, v12
	v_mad_u32_u24 v93, v12, 24, v92
	v_mad_co_u64_u32 v[11:12], null, s69, v18, v[11:12]
	v_lshrrev_b32_e32 v18, 4, v15
	s_and_b32 s1, s1, vcc_lo
	v_sub_co_u32 v12, vcc_lo, 0, v5
	v_dual_mov_b32 v6, v7 :: v_dual_lshlrev_b32 v83, 3, v82
	v_cmp_le_i32_e64 s6, s48, v13
	v_cmp_le_i32_e64 s20, s20, v13
	v_and_b32_e32 v23, 15, v0
	v_sub_co_ci_u32_e64 v13, null, 0, v7, vcc_lo
	v_and_b32_e32 v0, 48, v0
	v_lshlrev_b32_e32 v7, 5, v18
	v_cmp_ge_u32_e64 s9, v21, v32
	v_cmp_eq_u32_e64 s10, v21, v32
	v_mul_u32_u24_e32 v21, 0x108, v21
	v_lshlrev_b32_e32 v0, 3, v0
	v_or_b32_e32 v24, 0x78, v83
	v_mad_u32_u24 v97, 0x218, v23, v7
	v_mul_i32_i24_e32 v7, 0xffffffe8, v18
	s_ashr_i32 s71, s70, 31
	v_cmp_eq_u32_e64 s0, 0, v14
	s_wait_alu 0xfffe
	s_mul_u64 s[22:23], s[44:45], s[70:71]
	s_mul_u64 s[54:55], s[68:69], s[70:71]
	s_lshl_b64 s[62:63], s[68:69], 5
	v_lshlrev_b64_e32 v[34:35], 3, v[3:4]
	v_lshlrev_b64_e32 v[36:37], 3, v[5:6]
	;; [unrolled: 1-line block ×6, first 2 shown]
	v_add_nc_u32_e32 v84, 0x2380, v83
	s_lshl_b64 s[56:57], s[68:69], 6
	s_lshl_b64 s[58:59], s[68:69], 7
	v_cmp_gt_i32_e64 s2, s48, v32
	s_ashr_i32 s49, s48, 31
	v_mad_u32_u24 v85, 0x108, v32, v16
	v_add_nc_u32_e32 v87, 8, v86
	v_add_nc_u32_e32 v88, 16, v86
	;; [unrolled: 1-line block ×3, first 2 shown]
	v_cmp_gt_u32_e64 s15, 32, v15
	s_xor_b32 s35, s1, -1
	s_sub_nc_u64 s[74:75], 0, s[22:23]
	v_add_nc_u32_e32 v94, 0x2180, v83
	v_lshl_add_u32 v95, v14, 5, 0x2180
	v_mad_u32_u24 v96, 0x860, v14, v83
	v_cmp_gt_u32_e64 s22, 64, v15
	v_mad_u32_u24 v98, 0x218, v23, v0
	v_mad_u32_u24 v99, 0x218, v23, v24
	;; [unrolled: 1-line block ×3, first 2 shown]
	v_add_nc_u32_e32 v101, 0x2380, v19
	v_add_nc_u32_e32 v102, v16, v17
	;; [unrolled: 1-line block ×6, first 2 shown]
	v_lshlrev_b32_e32 v107, 3, v32
	s_sub_nc_u64 s[72:73], 0, s[62:63]
	s_cmp_gt_i32 ttmp9, 0
	s_sub_nc_u64 s[76:77], 0, s[54:55]
	s_mul_u64 s[60:61], s[68:69], 0xc0
	s_cselect_b32 s81, -1, 0
	s_and_b32 s82, s0, s35
	s_wait_alu 0xfffe
	s_sub_nc_u64 s[64:65], 0, s[48:49]
	s_lshl_b64 s[66:67], s[68:69], 3
	s_mul_u64 s[68:69], s[68:69], 0x68
	s_lshl_b64 s[38:39], s[38:39], 3
	s_lshl_b64 s[30:31], s[30:31], 3
	;; [unrolled: 1-line block ×6, first 2 shown]
	s_branch .LBB40_4
.LBB40_2:                               ;   in Loop: Header=BB40_4 Depth=1
	s_or_b32 exec_lo, exec_lo, s23
.LBB40_3:                               ;   in Loop: Header=BB40_4 Depth=1
	s_add_co_i32 s34, s34, 0x10000
	s_delay_alu instid0(SALU_CYCLE_1)
	s_cmp_lt_u32 s34, s33
	s_cbranch_scc0 .LBB40_137
.LBB40_4:                               ; =>This Loop Header: Depth=1
                                        ;     Child Loop BB40_113 Depth 2
	s_mov_b32 s35, s47
	s_mov_b32 s23, -1
	s_mul_u64 s[78:79], s[26:27], s[34:35]
	s_wait_alu 0xfffe
	s_lshl_b64 s[78:79], s[78:79], 3
	s_wait_alu 0xfffe
	s_add_nc_u64 s[78:79], s[24:25], s[78:79]
	global_load_b64 v[0:1], v33, s[78:79]
	s_wait_loadcnt 0x0
	v_or_b32_e32 v0, v0, v1
	s_delay_alu instid0(VALU_DEP_1) | instskip(NEXT) | instid1(VALU_DEP_1)
	v_and_b32_e32 v0, 0x7fffffff, v0
	v_cmp_ne_u32_e32 vcc_lo, 0, v0
	s_cbranch_vccz .LBB40_6
; %bb.5:                                ;   in Loop: Header=BB40_4 Depth=1
	s_and_not1_b32 vcc_lo, exec_lo, s23
	s_wait_alu 0xfffe
	s_cbranch_vccnz .LBB40_3
	s_branch .LBB40_7
.LBB40_6:                               ;   in Loop: Header=BB40_4 Depth=1
	s_mul_u64 s[78:79], s[42:43], s[34:35]
	s_wait_alu 0xfffe
	s_lshl_b64 s[78:79], s[78:79], 3
	s_wait_alu 0xfffe
	s_add_nc_u64 s[78:79], s[40:41], s[78:79]
	global_load_b64 v[0:1], v33, s[78:79]
	s_wait_loadcnt 0x0
	v_cmp_eq_f32_e32 vcc_lo, 1.0, v0
	v_cmp_eq_f32_e64 s23, 0, v1
	s_and_b32 s23, vcc_lo, s23
	s_delay_alu instid0(SALU_CYCLE_1)
	s_and_not1_b32 vcc_lo, exec_lo, s23
	s_cbranch_execnz .LBB40_3
.LBB40_7:                               ;   in Loop: Header=BB40_4 Depth=1
	s_lshl_b64 s[78:79], s[34:35], 3
	s_wait_alu 0xfffe
	s_add_nc_u64 s[84:85], s[36:37], s[78:79]
	s_add_nc_u64 s[78:79], s[28:29], s[78:79]
	s_clause 0x1
	global_load_b64 v[2:3], v33, s[84:85]
	global_load_b64 v[0:1], v33, s[78:79]
	s_wait_loadcnt 0x1
	v_add_co_u32 v2, vcc_lo, v2, s38
	s_wait_alu 0xfffd
	v_add_co_ci_u32_e64 v3, null, s39, v3, vcc_lo
	s_delay_alu instid0(VALU_DEP_2) | instskip(SKIP_1) | instid1(VALU_DEP_2)
	v_add_co_u32 v16, vcc_lo, v2, v34
	s_wait_alu 0xfffd
	v_add_co_ci_u32_e64 v17, null, v3, v35, vcc_lo
	s_and_saveexec_b32 s23, s0
	s_cbranch_execz .LBB40_12
; %bb.8:                                ;   in Loop: Header=BB40_4 Depth=1
	s_and_saveexec_b32 s46, s1
	s_wait_alu 0xfffe
	s_xor_b32 s46, exec_lo, s46
; %bb.9:                                ;   in Loop: Header=BB40_4 Depth=1
	v_mov_b32_e32 v32, v33
	ds_store_b64 v84, v[32:33]
; %bb.10:                               ;   in Loop: Header=BB40_4 Depth=1
	s_wait_alu 0xfffe
	s_and_not1_saveexec_b32 s46, s46
	s_cbranch_execz .LBB40_12
; %bb.11:                               ;   in Loop: Header=BB40_4 Depth=1
	flat_load_b64 v[2:3], v[16:17]
	s_wait_loadcnt_dscnt 0x0
	ds_store_b64 v84, v[2:3]
.LBB40_12:                              ;   in Loop: Header=BB40_4 Depth=1
	s_or_b32 exec_lo, exec_lo, s23
	s_wait_loadcnt 0x0
	v_add_co_u32 v0, vcc_lo, v0, s30
	s_wait_alu 0xfffd
	v_add_co_ci_u32_e64 v1, null, s31, v1, vcc_lo
	s_lshl_b64 s[78:79], s[54:55], 3
	s_wait_alu 0xfffe
	v_add_co_u32 v0, vcc_lo, v0, s70
	s_wait_alu 0xfffd
	v_add_co_ci_u32_e64 v1, null, s71, v1, vcc_lo
	s_mov_b32 s23, -1
	v_add_co_u32 v0, vcc_lo, v0, v36
	s_wait_alu 0xfffd
	v_add_co_ci_u32_e64 v1, null, v1, v37, vcc_lo
	s_delay_alu instid0(VALU_DEP_2) | instskip(SKIP_1) | instid1(VALU_DEP_2)
	v_add_co_u32 v0, vcc_lo, v0, s78
	s_wait_alu 0xfffd
	v_add_co_ci_u32_e64 v1, null, s79, v1, vcc_lo
	s_and_not1_b32 vcc_lo, exec_lo, s80
	s_wait_alu 0xfffe
	s_cbranch_vccnz .LBB40_14
; %bb.13:                               ;   in Loop: Header=BB40_4 Depth=1
	v_add_co_u32 v2, vcc_lo, v0, s56
	s_wait_alu 0xfffd
	v_add_co_ci_u32_e64 v3, null, s57, v1, vcc_lo
	s_mov_b32 s23, 0
	v_add_co_u32 v4, vcc_lo, v2, s56
	s_wait_alu 0xfffd
	v_add_co_ci_u32_e64 v5, null, s57, v3, vcc_lo
	s_delay_alu instid0(VALU_DEP_2) | instskip(SKIP_1) | instid1(VALU_DEP_2)
	v_add_co_u32 v6, vcc_lo, v4, s56
	s_wait_alu 0xfffd
	v_add_co_ci_u32_e64 v7, null, s57, v5, vcc_lo
	s_clause 0x3
	flat_load_b64 v[8:9], v[0:1]
	flat_load_b64 v[2:3], v[2:3]
	;; [unrolled: 1-line block ×4, first 2 shown]
	s_wait_loadcnt_dscnt 0x303
	ds_store_b64 v102, v[8:9]
	s_wait_loadcnt_dscnt 0x203
	ds_store_b64 v102, v[2:3] offset:2112
	s_wait_loadcnt_dscnt 0x103
	ds_store_b64 v102, v[4:5] offset:4224
	;; [unrolled: 2-line block ×3, first 2 shown]
.LBB40_14:                              ;   in Loop: Header=BB40_4 Depth=1
	s_and_not1_b32 vcc_lo, exec_lo, s23
	s_wait_alu 0xfffe
	s_cbranch_vccnz .LBB40_26
; %bb.15:                               ;   in Loop: Header=BB40_4 Depth=1
	s_and_saveexec_b32 s23, s3
	s_delay_alu instid0(SALU_CYCLE_1)
	s_xor_b32 s23, exec_lo, s23
; %bb.16:                               ;   in Loop: Header=BB40_4 Depth=1
	v_mov_b32_e32 v32, v33
	ds_store_b64 v102, v[32:33]
; %bb.17:                               ;   in Loop: Header=BB40_4 Depth=1
	s_or_saveexec_b32 s23, s23
	v_add_co_u32 v2, vcc_lo, v0, v38
	s_wait_alu 0xfffd
	v_add_co_ci_u32_e64 v3, null, v1, v39, vcc_lo
	s_lshl_b64 s[78:79], s[48:49], 3
	s_wait_alu 0xfffe
	v_add_co_u32 v2, vcc_lo, v2, s78
	s_wait_alu 0xfffd
	v_add_co_ci_u32_e64 v3, null, s79, v3, vcc_lo
	s_delay_alu instid0(VALU_DEP_2) | instskip(SKIP_1) | instid1(VALU_DEP_2)
	v_add_co_u32 v2, vcc_lo, v2, -8
	s_wait_alu 0xfffd
	v_add_co_ci_u32_e64 v3, null, -1, v3, vcc_lo
	s_delay_alu instid0(VALU_DEP_2) | instskip(NEXT) | instid1(VALU_DEP_2)
	v_cndmask_b32_e64 v2, v2, v0, s2
	v_cndmask_b32_e64 v3, v3, v1, s2
	s_xor_b32 exec_lo, exec_lo, s23
	s_cbranch_execnz .LBB40_119
; %bb.18:                               ;   in Loop: Header=BB40_4 Depth=1
	s_or_b32 exec_lo, exec_lo, s23
	s_and_saveexec_b32 s23, s4
	s_delay_alu instid0(SALU_CYCLE_1)
	s_xor_b32 s23, exec_lo, s23
	s_cbranch_execnz .LBB40_120
.LBB40_19:                              ;   in Loop: Header=BB40_4 Depth=1
	s_and_not1_saveexec_b32 s23, s23
	s_cbranch_execnz .LBB40_121
.LBB40_20:                              ;   in Loop: Header=BB40_4 Depth=1
	s_or_b32 exec_lo, exec_lo, s23
	s_and_saveexec_b32 s23, s5
	s_delay_alu instid0(SALU_CYCLE_1)
	s_xor_b32 s23, exec_lo, s23
	s_cbranch_execnz .LBB40_122
.LBB40_21:                              ;   in Loop: Header=BB40_4 Depth=1
	s_and_not1_saveexec_b32 s23, s23
	s_cbranch_execnz .LBB40_123
.LBB40_22:                              ;   in Loop: Header=BB40_4 Depth=1
	s_or_b32 exec_lo, exec_lo, s23
	s_and_saveexec_b32 s23, s6
	s_delay_alu instid0(SALU_CYCLE_1)
	s_xor_b32 s23, exec_lo, s23
	s_cbranch_execnz .LBB40_124
.LBB40_23:                              ;   in Loop: Header=BB40_4 Depth=1
	s_and_not1_saveexec_b32 s23, s23
	s_cbranch_execz .LBB40_25
.LBB40_24:                              ;   in Loop: Header=BB40_4 Depth=1
	v_add_co_u32 v4, vcc_lo, v2, s60
	s_wait_alu 0xfffd
	v_add_co_ci_u32_e64 v5, null, s61, v3, vcc_lo
	flat_load_b64 v[4:5], v[4:5]
	s_wait_loadcnt_dscnt 0x0
	ds_store_b64 v102, v[4:5] offset:6336
.LBB40_25:                              ;   in Loop: Header=BB40_4 Depth=1
	s_or_b32 exec_lo, exec_lo, s23
	v_add_co_u32 v2, vcc_lo, v2, v107
	s_wait_alu 0xfffd
	v_add_co_ci_u32_e64 v3, null, 0, v3, vcc_lo
	s_lshl_b64 s[78:79], s[64:65], 3
	s_wait_alu 0xfffe
	v_add_co_u32 v2, vcc_lo, v2, s78
	s_wait_alu 0xfffd
	v_add_co_ci_u32_e64 v3, null, s79, v3, vcc_lo
	s_delay_alu instid0(VALU_DEP_2) | instskip(SKIP_1) | instid1(VALU_DEP_2)
	v_add_co_u32 v2, vcc_lo, v2, 8
	s_wait_alu 0xfffd
	v_add_co_ci_u32_e64 v3, null, 0, v3, vcc_lo
	s_delay_alu instid0(VALU_DEP_2) | instskip(NEXT) | instid1(VALU_DEP_2)
	v_cndmask_b32_e64 v0, v2, v0, s2
	v_cndmask_b32_e64 v1, v3, v1, s2
.LBB40_26:                              ;   in Loop: Header=BB40_4 Depth=1
	s_mov_b32 s23, 0
	s_wait_dscnt 0x0
	s_barrier_signal -1
	s_barrier_wait -1
	global_inv scope:SCOPE_SE
	s_and_saveexec_b32 s46, s7
	s_wait_alu 0xfffe
	s_xor_b32 s46, exec_lo, s46
; %bb.27:                               ;   in Loop: Header=BB40_4 Depth=1
	s_and_b32 s23, s8, exec_lo
; %bb.28:                               ;   in Loop: Header=BB40_4 Depth=1
	s_wait_alu 0xfffe
	s_or_saveexec_b32 s46, s46
	v_dual_mov_b32 v2, 0 :: v_dual_mov_b32 v3, v85
	s_wait_alu 0xfffe
	s_xor_b32 exec_lo, exec_lo, s46
	s_cbranch_execz .LBB40_30
; %bb.29:                               ;   in Loop: Header=BB40_4 Depth=1
	ds_load_b64 v[4:5], v103
	v_mov_b32_e32 v3, v86
	s_or_b32 s23, s23, exec_lo
	s_wait_dscnt 0x0
	v_xor_b32_e32 v2, 0x80000000, v5
	ds_store_b32 v86, v4
.LBB40_30:                              ;   in Loop: Header=BB40_4 Depth=1
	s_or_b32 exec_lo, exec_lo, s46
	s_and_saveexec_b32 s46, s23
; %bb.31:                               ;   in Loop: Header=BB40_4 Depth=1
	ds_store_b32 v3, v2 offset:4
; %bb.32:                               ;   in Loop: Header=BB40_4 Depth=1
	s_wait_alu 0xfffe
	s_or_b32 exec_lo, exec_lo, s46
	s_mov_b32 s23, 0
	s_and_saveexec_b32 s46, s9
	s_wait_alu 0xfffe
	s_xor_b32 s46, exec_lo, s46
; %bb.33:                               ;   in Loop: Header=BB40_4 Depth=1
	s_and_b32 s23, s10, exec_lo
; %bb.34:                               ;   in Loop: Header=BB40_4 Depth=1
	s_wait_alu 0xfffe
	s_or_saveexec_b32 s46, s46
	v_dual_mov_b32 v2, 0 :: v_dual_mov_b32 v3, v85
	s_wait_alu 0xfffe
	s_xor_b32 exec_lo, exec_lo, s46
	s_cbranch_execz .LBB40_36
; %bb.35:                               ;   in Loop: Header=BB40_4 Depth=1
	ds_load_b64 v[4:5], v104
	v_mov_b32_e32 v3, v87
	s_or_b32 s23, s23, exec_lo
	s_wait_dscnt 0x0
	v_xor_b32_e32 v2, 0x80000000, v5
	ds_store_b32 v87, v4
.LBB40_36:                              ;   in Loop: Header=BB40_4 Depth=1
	s_or_b32 exec_lo, exec_lo, s46
	s_and_saveexec_b32 s46, s23
; %bb.37:                               ;   in Loop: Header=BB40_4 Depth=1
	ds_store_b32 v3, v2 offset:4
; %bb.38:                               ;   in Loop: Header=BB40_4 Depth=1
	s_wait_alu 0xfffe
	s_or_b32 exec_lo, exec_lo, s46
	s_mov_b32 s23, 0
	s_and_saveexec_b32 s46, s11
	s_wait_alu 0xfffe
	s_xor_b32 s46, exec_lo, s46
; %bb.39:                               ;   in Loop: Header=BB40_4 Depth=1
	s_and_b32 s23, s12, exec_lo
; %bb.40:                               ;   in Loop: Header=BB40_4 Depth=1
	s_wait_alu 0xfffe
	s_or_saveexec_b32 s46, s46
	v_dual_mov_b32 v2, 0 :: v_dual_mov_b32 v3, v85
	s_wait_alu 0xfffe
	s_xor_b32 exec_lo, exec_lo, s46
	s_cbranch_execz .LBB40_42
; %bb.41:                               ;   in Loop: Header=BB40_4 Depth=1
	ds_load_b64 v[4:5], v104 offset:264
	v_mov_b32_e32 v3, v88
	s_or_b32 s23, s23, exec_lo
	s_wait_dscnt 0x0
	v_xor_b32_e32 v2, 0x80000000, v5
	ds_store_b32 v88, v4
.LBB40_42:                              ;   in Loop: Header=BB40_4 Depth=1
	s_or_b32 exec_lo, exec_lo, s46
	s_and_saveexec_b32 s46, s23
; %bb.43:                               ;   in Loop: Header=BB40_4 Depth=1
	ds_store_b32 v3, v2 offset:4
; %bb.44:                               ;   in Loop: Header=BB40_4 Depth=1
	s_wait_alu 0xfffe
	s_or_b32 exec_lo, exec_lo, s46
	s_mov_b32 s23, 0
	s_and_saveexec_b32 s46, s13
	s_wait_alu 0xfffe
	s_xor_b32 s46, exec_lo, s46
; %bb.45:                               ;   in Loop: Header=BB40_4 Depth=1
	s_and_b32 s23, s14, exec_lo
; %bb.46:                               ;   in Loop: Header=BB40_4 Depth=1
	s_wait_alu 0xfffe
	s_or_saveexec_b32 s46, s46
	v_dual_mov_b32 v2, 0 :: v_dual_mov_b32 v3, v85
	s_wait_alu 0xfffe
	s_xor_b32 exec_lo, exec_lo, s46
	s_cbranch_execz .LBB40_48
; %bb.47:                               ;   in Loop: Header=BB40_4 Depth=1
	ds_load_b64 v[4:5], v104 offset:528
	v_mov_b32_e32 v3, v90
	s_or_b32 s23, s23, exec_lo
	s_wait_dscnt 0x0
	v_xor_b32_e32 v2, 0x80000000, v5
	ds_store_b32 v90, v4
.LBB40_48:                              ;   in Loop: Header=BB40_4 Depth=1
	s_or_b32 exec_lo, exec_lo, s46
	s_and_saveexec_b32 s46, s23
; %bb.49:                               ;   in Loop: Header=BB40_4 Depth=1
	ds_store_b32 v3, v2 offset:4
; %bb.50:                               ;   in Loop: Header=BB40_4 Depth=1
	s_wait_alu 0xfffe
	s_or_b32 exec_lo, exec_lo, s46
	s_wait_loadcnt_dscnt 0x0
	s_barrier_signal -1
	s_barrier_wait -1
	global_inv scope:SCOPE_SE
	ds_load_b64 v[14:15], v103
	ds_load_b128 v[2:5], v91
	ds_load_2addr_b64 v[6:9], v104 offset1:33
	ds_load_b128 v[10:13], v91 offset:16
	ds_load_b64 v[18:19], v104 offset:528
	s_wait_loadcnt_dscnt 0x0
	s_barrier_signal -1
	s_barrier_wait -1
	global_inv scope:SCOPE_SE
	v_dual_mov_b32 v47, 0 :: v_dual_mul_f32 v20, v3, v15
	v_dual_mul_f32 v15, v2, v15 :: v_dual_mul_f32 v22, v11, v9
	v_mul_f32_e32 v9, v10, v9
	s_delay_alu instid0(VALU_DEP_3) | instskip(SKIP_1) | instid1(VALU_DEP_4)
	v_fma_f32 v2, v2, v14, -v20
	v_mul_f32_e32 v21, v5, v7
	v_fmac_f32_e32 v15, v3, v14
	s_delay_alu instid0(VALU_DEP_4) | instskip(SKIP_3) | instid1(VALU_DEP_1)
	v_fmac_f32_e32 v9, v11, v8
	v_fma_f32 v10, v10, v8, -v22
	v_dual_add_f32 v2, 0, v2 :: v_dual_mul_f32 v7, v4, v7
	v_fma_f32 v4, v4, v6, -v21
	v_dual_add_f32 v2, v2, v4 :: v_dual_fmac_f32 v7, v5, v6
	v_mul_f32_e32 v6, v12, v19
	v_add_f32_e32 v5, 0, v15
	s_delay_alu instid0(VALU_DEP_3) | instskip(NEXT) | instid1(VALU_DEP_3)
	v_dual_mul_f32 v3, v13, v19 :: v_dual_add_f32 v2, v2, v10
	v_fmac_f32_e32 v6, v13, v18
	s_delay_alu instid0(VALU_DEP_3) | instskip(NEXT) | instid1(VALU_DEP_3)
	v_add_f32_e32 v4, v5, v7
	v_fma_f32 v3, v12, v18, -v3
	s_delay_alu instid0(VALU_DEP_2) | instskip(SKIP_1) | instid1(VALU_DEP_2)
	v_add_f32_e32 v4, v4, v9
	v_mov_b32_e32 v46, 0
	v_dual_add_f32 v2, v2, v3 :: v_dual_add_f32 v3, v4, v6
	ds_store_b64 v92, v[2:3]
	s_wait_loadcnt_dscnt 0x0
	s_barrier_signal -1
	s_barrier_wait -1
	global_inv scope:SCOPE_SE
	s_and_saveexec_b32 s23, s15
	s_cbranch_execz .LBB40_52
; %bb.51:                               ;   in Loop: Header=BB40_4 Depth=1
	ds_load_2addr_b64 v[2:5], v89 offset1:7
	ds_load_2addr_b64 v[6:9], v89 offset0:1 offset1:2
	ds_load_2addr_b64 v[10:13], v89 offset0:3 offset1:4
	;; [unrolled: 1-line block ×3, first 2 shown]
	s_wait_dscnt 0x2
	v_dual_add_f32 v2, v6, v2 :: v_dual_add_f32 v3, v7, v3
	s_delay_alu instid0(VALU_DEP_1) | instskip(SKIP_1) | instid1(VALU_DEP_1)
	v_dual_add_f32 v2, v8, v2 :: v_dual_add_f32 v3, v9, v3
	s_wait_dscnt 0x1
	v_dual_add_f32 v2, v2, v10 :: v_dual_add_f32 v3, v3, v11
	s_delay_alu instid0(VALU_DEP_1) | instskip(SKIP_1) | instid1(VALU_DEP_1)
	v_dual_add_f32 v2, v2, v12 :: v_dual_add_f32 v3, v3, v13
	s_wait_dscnt 0x0
	v_dual_add_f32 v2, v2, v18 :: v_dual_add_f32 v3, v3, v19
	s_delay_alu instid0(VALU_DEP_1) | instskip(NEXT) | instid1(VALU_DEP_1)
	v_dual_add_f32 v2, v2, v20 :: v_dual_add_f32 v3, v3, v21
	v_dual_add_f32 v46, v2, v4 :: v_dual_add_f32 v47, v3, v5
.LBB40_52:                              ;   in Loop: Header=BB40_4 Depth=1
	s_or_b32 exec_lo, exec_lo, s23
	s_lshl_b64 s[78:79], s[62:63], 3
	s_mov_b32 s23, -1
	s_wait_alu 0xfffe
	v_add_co_u32 v0, vcc_lo, v0, s78
	s_wait_alu 0xfffd
	v_add_co_ci_u32_e64 v1, null, s79, v1, vcc_lo
	s_and_not1_b32 vcc_lo, exec_lo, s80
	s_wait_loadcnt 0x0
	s_barrier_signal -1
	s_barrier_wait -1
	global_inv scope:SCOPE_SE
	s_wait_alu 0xfffe
	s_cbranch_vccnz .LBB40_54
; %bb.53:                               ;   in Loop: Header=BB40_4 Depth=1
	v_add_co_u32 v2, vcc_lo, v0, s56
	s_wait_alu 0xfffd
	v_add_co_ci_u32_e64 v3, null, s57, v1, vcc_lo
	s_mov_b32 s23, 0
	v_add_co_u32 v4, vcc_lo, v2, s56
	s_wait_alu 0xfffd
	v_add_co_ci_u32_e64 v5, null, s57, v3, vcc_lo
	s_delay_alu instid0(VALU_DEP_2) | instskip(SKIP_1) | instid1(VALU_DEP_2)
	v_add_co_u32 v6, vcc_lo, v4, s56
	s_wait_alu 0xfffd
	v_add_co_ci_u32_e64 v7, null, s57, v5, vcc_lo
	s_clause 0x3
	flat_load_b64 v[8:9], v[0:1] offset:256
	flat_load_b64 v[2:3], v[2:3] offset:256
	flat_load_b64 v[4:5], v[4:5] offset:256
	flat_load_b64 v[6:7], v[6:7] offset:256
	s_wait_loadcnt_dscnt 0x303
	ds_store_b64 v102, v[8:9]
	s_wait_loadcnt_dscnt 0x203
	ds_store_b64 v102, v[2:3] offset:2112
	s_wait_loadcnt_dscnt 0x103
	ds_store_b64 v102, v[4:5] offset:4224
	s_wait_loadcnt_dscnt 0x3
	ds_store_b64 v102, v[6:7] offset:6336
.LBB40_54:                              ;   in Loop: Header=BB40_4 Depth=1
	v_add_co_u32 v2, vcc_lo, 0x100, v0
	s_wait_alu 0xfffd
	v_add_co_ci_u32_e64 v3, null, 0, v1, vcc_lo
	s_and_not1_b32 vcc_lo, exec_lo, s23
	s_wait_alu 0xfffe
	s_cbranch_vccnz .LBB40_66
; %bb.55:                               ;   in Loop: Header=BB40_4 Depth=1
	s_and_saveexec_b32 s23, s17
	s_delay_alu instid0(SALU_CYCLE_1)
	s_xor_b32 s23, exec_lo, s23
; %bb.56:                               ;   in Loop: Header=BB40_4 Depth=1
	v_mov_b32_e32 v32, v33
	ds_store_b64 v102, v[32:33]
; %bb.57:                               ;   in Loop: Header=BB40_4 Depth=1
	s_or_saveexec_b32 s23, s23
	v_add_co_u32 v0, vcc_lo, v0, v38
	s_wait_alu 0xfffd
	v_add_co_ci_u32_e64 v1, null, v1, v39, vcc_lo
	s_lshl_b64 s[78:79], s[48:49], 3
	s_wait_alu 0xfffe
	v_add_co_u32 v0, vcc_lo, v0, s78
	s_wait_alu 0xfffd
	v_add_co_ci_u32_e64 v1, null, s79, v1, vcc_lo
	s_delay_alu instid0(VALU_DEP_2) | instskip(SKIP_1) | instid1(VALU_DEP_2)
	v_add_co_u32 v0, vcc_lo, v0, -8
	s_wait_alu 0xfffd
	v_add_co_ci_u32_e64 v1, null, -1, v1, vcc_lo
	s_delay_alu instid0(VALU_DEP_2) | instskip(NEXT) | instid1(VALU_DEP_2)
	v_cndmask_b32_e64 v0, v0, v2, s16
	v_cndmask_b32_e64 v1, v1, v3, s16
	s_xor_b32 exec_lo, exec_lo, s23
	s_cbranch_execnz .LBB40_125
; %bb.58:                               ;   in Loop: Header=BB40_4 Depth=1
	s_or_b32 exec_lo, exec_lo, s23
	s_and_saveexec_b32 s23, s18
	s_delay_alu instid0(SALU_CYCLE_1)
	s_xor_b32 s23, exec_lo, s23
	s_cbranch_execnz .LBB40_126
.LBB40_59:                              ;   in Loop: Header=BB40_4 Depth=1
	s_and_not1_saveexec_b32 s23, s23
	s_cbranch_execnz .LBB40_127
.LBB40_60:                              ;   in Loop: Header=BB40_4 Depth=1
	s_or_b32 exec_lo, exec_lo, s23
	s_and_saveexec_b32 s23, s19
	s_delay_alu instid0(SALU_CYCLE_1)
	s_xor_b32 s23, exec_lo, s23
	s_cbranch_execnz .LBB40_128
.LBB40_61:                              ;   in Loop: Header=BB40_4 Depth=1
	s_and_not1_saveexec_b32 s23, s23
	s_cbranch_execnz .LBB40_129
.LBB40_62:                              ;   in Loop: Header=BB40_4 Depth=1
	s_or_b32 exec_lo, exec_lo, s23
	s_and_saveexec_b32 s23, s20
	s_delay_alu instid0(SALU_CYCLE_1)
	s_xor_b32 s23, exec_lo, s23
	s_cbranch_execnz .LBB40_130
.LBB40_63:                              ;   in Loop: Header=BB40_4 Depth=1
	s_and_not1_saveexec_b32 s23, s23
	s_cbranch_execz .LBB40_65
.LBB40_64:                              ;   in Loop: Header=BB40_4 Depth=1
	v_add_co_u32 v4, vcc_lo, v0, s60
	s_wait_alu 0xfffd
	v_add_co_ci_u32_e64 v5, null, s61, v1, vcc_lo
	flat_load_b64 v[4:5], v[4:5]
	s_wait_loadcnt_dscnt 0x0
	ds_store_b64 v102, v[4:5] offset:6336
.LBB40_65:                              ;   in Loop: Header=BB40_4 Depth=1
	s_or_b32 exec_lo, exec_lo, s23
	v_add_co_u32 v0, vcc_lo, v0, v107
	s_wait_alu 0xfffd
	v_add_co_ci_u32_e64 v1, null, 0, v1, vcc_lo
	s_lshl_b64 s[78:79], s[64:65], 3
	s_wait_alu 0xfffe
	v_add_co_u32 v0, vcc_lo, v0, s78
	s_wait_alu 0xfffd
	v_add_co_ci_u32_e64 v1, null, s79, v1, vcc_lo
	s_delay_alu instid0(VALU_DEP_2) | instskip(SKIP_1) | instid1(VALU_DEP_2)
	v_add_co_u32 v0, vcc_lo, 0x108, v0
	s_wait_alu 0xfffd
	v_add_co_ci_u32_e64 v1, null, 0, v1, vcc_lo
	s_delay_alu instid0(VALU_DEP_2) | instskip(NEXT) | instid1(VALU_DEP_2)
	v_cndmask_b32_e64 v2, v0, v2, s16
	v_cndmask_b32_e64 v3, v1, v3, s16
.LBB40_66:                              ;   in Loop: Header=BB40_4 Depth=1
	s_mov_b32 s23, 0
	s_wait_loadcnt_dscnt 0x0
	s_barrier_signal -1
	s_barrier_wait -1
	global_inv scope:SCOPE_SE
	s_and_saveexec_b32 s46, s7
	s_wait_alu 0xfffe
	s_xor_b32 s46, exec_lo, s46
; %bb.67:                               ;   in Loop: Header=BB40_4 Depth=1
	s_and_b32 s23, s8, exec_lo
; %bb.68:                               ;   in Loop: Header=BB40_4 Depth=1
	s_wait_alu 0xfffe
	s_or_saveexec_b32 s46, s46
	v_dual_mov_b32 v0, 0 :: v_dual_mov_b32 v1, v85
	s_wait_alu 0xfffe
	s_xor_b32 exec_lo, exec_lo, s46
	s_cbranch_execz .LBB40_70
; %bb.69:                               ;   in Loop: Header=BB40_4 Depth=1
	ds_load_b64 v[4:5], v103
	v_mov_b32_e32 v1, v86
	s_or_b32 s23, s23, exec_lo
	s_wait_dscnt 0x0
	v_xor_b32_e32 v0, 0x80000000, v5
	ds_store_b32 v86, v4
.LBB40_70:                              ;   in Loop: Header=BB40_4 Depth=1
	s_or_b32 exec_lo, exec_lo, s46
	s_and_saveexec_b32 s46, s23
; %bb.71:                               ;   in Loop: Header=BB40_4 Depth=1
	ds_store_b32 v1, v0 offset:4
; %bb.72:                               ;   in Loop: Header=BB40_4 Depth=1
	s_wait_alu 0xfffe
	s_or_b32 exec_lo, exec_lo, s46
	s_mov_b32 s23, 0
	s_and_saveexec_b32 s46, s9
	s_wait_alu 0xfffe
	s_xor_b32 s46, exec_lo, s46
; %bb.73:                               ;   in Loop: Header=BB40_4 Depth=1
	s_and_b32 s23, s10, exec_lo
; %bb.74:                               ;   in Loop: Header=BB40_4 Depth=1
	s_wait_alu 0xfffe
	s_or_saveexec_b32 s46, s46
	v_dual_mov_b32 v0, 0 :: v_dual_mov_b32 v1, v85
	s_wait_alu 0xfffe
	s_xor_b32 exec_lo, exec_lo, s46
	s_cbranch_execz .LBB40_76
; %bb.75:                               ;   in Loop: Header=BB40_4 Depth=1
	ds_load_b64 v[4:5], v104
	v_mov_b32_e32 v1, v87
	s_or_b32 s23, s23, exec_lo
	s_wait_dscnt 0x0
	v_xor_b32_e32 v0, 0x80000000, v5
	ds_store_b32 v87, v4
.LBB40_76:                              ;   in Loop: Header=BB40_4 Depth=1
	s_or_b32 exec_lo, exec_lo, s46
	s_and_saveexec_b32 s46, s23
; %bb.77:                               ;   in Loop: Header=BB40_4 Depth=1
	ds_store_b32 v1, v0 offset:4
; %bb.78:                               ;   in Loop: Header=BB40_4 Depth=1
	s_wait_alu 0xfffe
	s_or_b32 exec_lo, exec_lo, s46
	s_mov_b32 s23, 0
	s_and_saveexec_b32 s46, s11
	s_wait_alu 0xfffe
	s_xor_b32 s46, exec_lo, s46
; %bb.79:                               ;   in Loop: Header=BB40_4 Depth=1
	s_and_b32 s23, s12, exec_lo
; %bb.80:                               ;   in Loop: Header=BB40_4 Depth=1
	s_wait_alu 0xfffe
	s_or_saveexec_b32 s46, s46
	v_dual_mov_b32 v0, 0 :: v_dual_mov_b32 v1, v85
	s_wait_alu 0xfffe
	s_xor_b32 exec_lo, exec_lo, s46
	s_cbranch_execz .LBB40_82
; %bb.81:                               ;   in Loop: Header=BB40_4 Depth=1
	ds_load_b64 v[4:5], v104 offset:264
	v_mov_b32_e32 v1, v88
	s_or_b32 s23, s23, exec_lo
	s_wait_dscnt 0x0
	v_xor_b32_e32 v0, 0x80000000, v5
	ds_store_b32 v88, v4
.LBB40_82:                              ;   in Loop: Header=BB40_4 Depth=1
	s_or_b32 exec_lo, exec_lo, s46
	s_and_saveexec_b32 s46, s23
; %bb.83:                               ;   in Loop: Header=BB40_4 Depth=1
	ds_store_b32 v1, v0 offset:4
; %bb.84:                               ;   in Loop: Header=BB40_4 Depth=1
	s_wait_alu 0xfffe
	s_or_b32 exec_lo, exec_lo, s46
	s_mov_b32 s23, 0
	s_and_saveexec_b32 s46, s13
	s_wait_alu 0xfffe
	s_xor_b32 s46, exec_lo, s46
; %bb.85:                               ;   in Loop: Header=BB40_4 Depth=1
	s_and_b32 s23, s14, exec_lo
; %bb.86:                               ;   in Loop: Header=BB40_4 Depth=1
	s_wait_alu 0xfffe
	s_or_saveexec_b32 s46, s46
	v_dual_mov_b32 v0, 0 :: v_dual_mov_b32 v1, v85
	s_wait_alu 0xfffe
	s_xor_b32 exec_lo, exec_lo, s46
	s_cbranch_execz .LBB40_88
; %bb.87:                               ;   in Loop: Header=BB40_4 Depth=1
	ds_load_b64 v[4:5], v104 offset:528
	v_mov_b32_e32 v1, v90
	s_or_b32 s23, s23, exec_lo
	s_wait_dscnt 0x0
	v_xor_b32_e32 v0, 0x80000000, v5
	ds_store_b32 v90, v4
.LBB40_88:                              ;   in Loop: Header=BB40_4 Depth=1
	s_or_b32 exec_lo, exec_lo, s46
	s_and_saveexec_b32 s46, s23
; %bb.89:                               ;   in Loop: Header=BB40_4 Depth=1
	ds_store_b32 v1, v0 offset:4
; %bb.90:                               ;   in Loop: Header=BB40_4 Depth=1
	s_wait_alu 0xfffe
	s_or_b32 exec_lo, exec_lo, s46
	s_wait_loadcnt_dscnt 0x0
	s_barrier_signal -1
	s_barrier_wait -1
	global_inv scope:SCOPE_SE
	ds_load_b64 v[0:1], v103
	ds_load_b128 v[4:7], v91 offset:256
	ds_load_2addr_b64 v[8:11], v104 offset1:33
	ds_load_b128 v[12:15], v91 offset:272
	ds_load_b64 v[18:19], v104 offset:528
	s_wait_loadcnt_dscnt 0x0
	s_barrier_signal -1
	s_barrier_wait -1
	global_inv scope:SCOPE_SE
	v_mul_f32_e32 v20, v5, v1
	v_dual_mul_f32 v1, v4, v1 :: v_dual_mul_f32 v22, v13, v11
	v_mul_f32_e32 v11, v12, v11
	s_delay_alu instid0(VALU_DEP_3) | instskip(SKIP_3) | instid1(VALU_DEP_4)
	v_fma_f32 v4, v4, v0, -v20
	v_mul_f32_e32 v21, v7, v9
	v_mul_f32_e32 v9, v6, v9
	v_dual_fmac_f32 v1, v5, v0 :: v_dual_mul_f32 v0, v15, v19
	v_add_f32_e32 v4, 0, v4
	s_delay_alu instid0(VALU_DEP_4) | instskip(NEXT) | instid1(VALU_DEP_4)
	v_fma_f32 v5, v6, v8, -v21
	v_dual_fmac_f32 v9, v7, v8 :: v_dual_mul_f32 v6, v14, v19
	s_delay_alu instid0(VALU_DEP_4) | instskip(SKIP_1) | instid1(VALU_DEP_4)
	v_add_f32_e32 v1, 0, v1
	v_fma_f32 v7, v12, v10, -v22
	v_dual_add_f32 v4, v4, v5 :: v_dual_fmac_f32 v11, v13, v10
	v_fma_f32 v0, v14, v18, -v0
	v_fmac_f32_e32 v6, v15, v18
	s_delay_alu instid0(VALU_DEP_3) | instskip(NEXT) | instid1(VALU_DEP_1)
	v_dual_add_f32 v4, v4, v7 :: v_dual_add_f32 v1, v1, v9
	v_dual_add_f32 v0, v4, v0 :: v_dual_add_f32 v1, v1, v11
	s_delay_alu instid0(VALU_DEP_1)
	v_add_f32_e32 v1, v1, v6
	ds_store_b64 v92, v[0:1]
	s_wait_loadcnt_dscnt 0x0
	s_barrier_signal -1
	s_barrier_wait -1
	global_inv scope:SCOPE_SE
	s_and_saveexec_b32 s23, s21
	s_cbranch_execz .LBB40_92
; %bb.91:                               ;   in Loop: Header=BB40_4 Depth=1
	ds_load_2addr_b64 v[4:7], v89 offset1:7
	ds_load_2addr_b64 v[8:11], v89 offset0:1 offset1:2
	ds_load_2addr_b64 v[12:15], v89 offset0:3 offset1:4
	;; [unrolled: 1-line block ×3, first 2 shown]
	s_wait_dscnt 0x2
	v_dual_add_f32 v0, v8, v4 :: v_dual_add_f32 v1, v9, v5
	s_delay_alu instid0(VALU_DEP_1) | instskip(SKIP_1) | instid1(VALU_DEP_1)
	v_dual_add_f32 v0, v10, v0 :: v_dual_add_f32 v1, v11, v1
	s_wait_dscnt 0x1
	v_dual_add_f32 v0, v0, v12 :: v_dual_add_f32 v1, v1, v13
	s_delay_alu instid0(VALU_DEP_1) | instskip(SKIP_1) | instid1(VALU_DEP_1)
	v_dual_add_f32 v0, v0, v14 :: v_dual_add_f32 v1, v1, v15
	s_wait_dscnt 0x0
	v_dual_add_f32 v0, v0, v18 :: v_dual_add_f32 v1, v1, v19
	s_delay_alu instid0(VALU_DEP_1) | instskip(NEXT) | instid1(VALU_DEP_1)
	v_dual_add_f32 v0, v0, v20 :: v_dual_add_f32 v1, v1, v21
	v_dual_add_f32 v46, v0, v6 :: v_dual_add_f32 v47, v1, v7
.LBB40_92:                              ;   in Loop: Header=BB40_4 Depth=1
	s_or_b32 exec_lo, exec_lo, s23
	v_add_co_u32 v18, vcc_lo, v2, s72
	s_wait_alu 0xfffd
	v_add_co_ci_u32_e64 v19, null, s73, v3, vcc_lo
	s_and_not1_b32 vcc_lo, exec_lo, s80
	s_mov_b32 s23, -1
	s_wait_loadcnt 0x0
	s_barrier_signal -1
	s_barrier_wait -1
	global_inv scope:SCOPE_SE
	s_wait_alu 0xfffe
	s_cbranch_vccnz .LBB40_94
; %bb.93:                               ;   in Loop: Header=BB40_4 Depth=1
	v_add_co_u32 v0, vcc_lo, v18, s56
	s_wait_alu 0xfffd
	v_add_co_ci_u32_e64 v1, null, s57, v19, vcc_lo
	s_mov_b32 s23, 0
	v_add_co_u32 v2, vcc_lo, v0, s56
	s_wait_alu 0xfffd
	v_add_co_ci_u32_e64 v3, null, s57, v1, vcc_lo
	s_delay_alu instid0(VALU_DEP_2) | instskip(SKIP_1) | instid1(VALU_DEP_2)
	v_add_co_u32 v4, vcc_lo, v2, s56
	s_wait_alu 0xfffd
	v_add_co_ci_u32_e64 v5, null, s57, v3, vcc_lo
	s_clause 0x3
	flat_load_b64 v[6:7], v[18:19]
	flat_load_b64 v[0:1], v[0:1]
	;; [unrolled: 1-line block ×4, first 2 shown]
	s_wait_loadcnt_dscnt 0x303
	ds_store_b64 v102, v[6:7]
	s_wait_loadcnt_dscnt 0x203
	ds_store_b64 v102, v[0:1] offset:2112
	s_wait_loadcnt_dscnt 0x103
	ds_store_b64 v102, v[2:3] offset:4224
	;; [unrolled: 2-line block ×3, first 2 shown]
.LBB40_94:                              ;   in Loop: Header=BB40_4 Depth=1
	s_and_not1_b32 vcc_lo, exec_lo, s23
	s_wait_alu 0xfffe
	s_cbranch_vccnz .LBB40_106
; %bb.95:                               ;   in Loop: Header=BB40_4 Depth=1
	s_and_saveexec_b32 s23, s3
	s_delay_alu instid0(SALU_CYCLE_1)
	s_xor_b32 s23, exec_lo, s23
; %bb.96:                               ;   in Loop: Header=BB40_4 Depth=1
	v_mov_b32_e32 v32, v33
	ds_store_b64 v102, v[32:33]
; %bb.97:                               ;   in Loop: Header=BB40_4 Depth=1
	s_or_saveexec_b32 s23, s23
	v_add_co_u32 v0, vcc_lo, v18, v38
	s_wait_alu 0xfffd
	v_add_co_ci_u32_e64 v1, null, v19, v39, vcc_lo
	s_lshl_b64 s[78:79], s[48:49], 3
	s_wait_alu 0xfffe
	v_add_co_u32 v0, vcc_lo, v0, s78
	s_wait_alu 0xfffd
	v_add_co_ci_u32_e64 v1, null, s79, v1, vcc_lo
	s_delay_alu instid0(VALU_DEP_2) | instskip(SKIP_1) | instid1(VALU_DEP_2)
	v_add_co_u32 v0, vcc_lo, 0xfffffef8, v0
	s_wait_alu 0xfffd
	v_add_co_ci_u32_e64 v1, null, -1, v1, vcc_lo
	s_delay_alu instid0(VALU_DEP_2) | instskip(NEXT) | instid1(VALU_DEP_2)
	v_cndmask_b32_e64 v0, v0, v18, s16
	v_cndmask_b32_e64 v1, v1, v19, s16
	s_xor_b32 exec_lo, exec_lo, s23
	s_cbranch_execnz .LBB40_131
; %bb.98:                               ;   in Loop: Header=BB40_4 Depth=1
	s_or_b32 exec_lo, exec_lo, s23
	s_and_saveexec_b32 s23, s4
	s_delay_alu instid0(SALU_CYCLE_1)
	s_xor_b32 s23, exec_lo, s23
	s_cbranch_execnz .LBB40_132
.LBB40_99:                              ;   in Loop: Header=BB40_4 Depth=1
	s_and_not1_saveexec_b32 s23, s23
	s_cbranch_execnz .LBB40_133
.LBB40_100:                             ;   in Loop: Header=BB40_4 Depth=1
	s_or_b32 exec_lo, exec_lo, s23
	s_and_saveexec_b32 s23, s5
	s_delay_alu instid0(SALU_CYCLE_1)
	s_xor_b32 s23, exec_lo, s23
	s_cbranch_execnz .LBB40_134
.LBB40_101:                             ;   in Loop: Header=BB40_4 Depth=1
	s_and_not1_saveexec_b32 s23, s23
	s_cbranch_execnz .LBB40_135
.LBB40_102:                             ;   in Loop: Header=BB40_4 Depth=1
	s_or_b32 exec_lo, exec_lo, s23
	s_and_saveexec_b32 s23, s6
	s_delay_alu instid0(SALU_CYCLE_1)
	s_xor_b32 s23, exec_lo, s23
	s_cbranch_execnz .LBB40_136
.LBB40_103:                             ;   in Loop: Header=BB40_4 Depth=1
	s_and_not1_saveexec_b32 s23, s23
	s_cbranch_execz .LBB40_105
.LBB40_104:                             ;   in Loop: Header=BB40_4 Depth=1
	v_add_co_u32 v2, vcc_lo, v0, s60
	s_wait_alu 0xfffd
	v_add_co_ci_u32_e64 v3, null, s61, v1, vcc_lo
	flat_load_b64 v[2:3], v[2:3]
	s_wait_loadcnt_dscnt 0x0
	ds_store_b64 v102, v[2:3] offset:6336
.LBB40_105:                             ;   in Loop: Header=BB40_4 Depth=1
	s_or_b32 exec_lo, exec_lo, s23
	v_add_co_u32 v0, vcc_lo, v0, v107
	s_wait_alu 0xfffd
	v_add_co_ci_u32_e64 v1, null, 0, v1, vcc_lo
	s_lshl_b64 s[78:79], s[64:65], 3
	s_wait_alu 0xfffe
	v_add_co_u32 v0, vcc_lo, v0, s78
	s_wait_alu 0xfffd
	v_add_co_ci_u32_e64 v1, null, s79, v1, vcc_lo
	s_delay_alu instid0(VALU_DEP_2) | instskip(SKIP_1) | instid1(VALU_DEP_2)
	v_add_co_u32 v0, vcc_lo, 0x108, v0
	s_wait_alu 0xfffd
	v_add_co_ci_u32_e64 v1, null, 0, v1, vcc_lo
	s_delay_alu instid0(VALU_DEP_2) | instskip(NEXT) | instid1(VALU_DEP_2)
	v_cndmask_b32_e64 v18, v0, v18, s16
	v_cndmask_b32_e64 v19, v1, v19, s16
.LBB40_106:                             ;   in Loop: Header=BB40_4 Depth=1
	s_wait_loadcnt_dscnt 0x0
	s_barrier_signal -1
	s_barrier_wait -1
	global_inv scope:SCOPE_SE
	ds_load_b64 v[24:25], v105
	ds_load_b64 v[26:27], v102
	ds_load_b64 v[28:29], v102 offset:2112
	ds_load_2addr_b64 v[20:23], v101 offset0:8 offset1:16
	ds_load_b64 v[30:31], v102 offset:6336
	ds_load_b64 v[48:49], v102 offset:4224
	;; [unrolled: 1-line block ×3, first 2 shown]
	ds_load_b128 v[8:11], v91 offset:256
	ds_load_b128 v[0:3], v91 offset:272
	ds_load_2addr_b64 v[12:15], v93 offset1:1
	ds_load_2addr_b64 v[4:7], v93 offset0:2 offset1:3
	s_wait_loadcnt_dscnt 0x0
	s_barrier_signal -1
	s_barrier_wait -1
	global_inv scope:SCOPE_SE
	v_mul_f32_e32 v32, v25, v27
	v_dual_mul_f32 v27, v24, v27 :: v_dual_mul_f32 v52, v21, v29
	v_mul_f32_e32 v29, v20, v29
	v_mul_f32_e32 v53, v23, v49
	;; [unrolled: 1-line block ×3, first 2 shown]
	v_fma_f32 v24, v24, v26, -v32
	v_dual_fmac_f32 v27, v25, v26 :: v_dual_mul_f32 v26, v50, v31
	v_mul_f32_e32 v25, v22, v49
	v_fma_f32 v20, v20, v28, -v52
	v_fmac_f32_e32 v29, v21, v28
	v_fma_f32 v22, v22, v48, -v53
	v_dual_add_f32 v21, 0, v24 :: v_dual_add_f32 v24, 0, v27
	v_fmac_f32_e32 v26, v51, v30
	s_delay_alu instid0(VALU_DEP_2) | instskip(NEXT) | instid1(VALU_DEP_1)
	v_dual_add_f32 v20, v21, v20 :: v_dual_add_f32 v21, v24, v29
	v_dual_add_f32 v20, v20, v22 :: v_dual_fmac_f32 v25, v23, v48
	v_fma_f32 v23, v50, v30, -v54
	s_delay_alu instid0(VALU_DEP_1) | instskip(NEXT) | instid1(VALU_DEP_1)
	v_dual_add_f32 v20, v20, v23 :: v_dual_add_f32 v21, v21, v25
	v_add_f32_e32 v21, v21, v26
	ds_store_b64 v92, v[20:21]
	s_wait_loadcnt_dscnt 0x0
	s_barrier_signal -1
	s_barrier_wait -1
	global_inv scope:SCOPE_SE
	s_and_saveexec_b32 s23, s21
	s_cbranch_execz .LBB40_108
; %bb.107:                              ;   in Loop: Header=BB40_4 Depth=1
	ds_load_2addr_b64 v[20:23], v89 offset1:1
	ds_load_2addr_b64 v[24:27], v89 offset0:2 offset1:3
	ds_load_2addr_b64 v[28:31], v89 offset0:4 offset1:5
	s_wait_dscnt 0x2
	v_dual_add_f32 v20, v46, v20 :: v_dual_add_f32 v21, v47, v21
	s_delay_alu instid0(VALU_DEP_1) | instskip(NEXT) | instid1(VALU_DEP_2)
	v_add_f32_e32 v46, v21, v23
	v_add_f32_e32 v32, v20, v22
	ds_load_2addr_b64 v[20:23], v89 offset0:6 offset1:7
	s_wait_dscnt 0x2
	v_dual_add_f32 v25, v46, v25 :: v_dual_add_f32 v24, v32, v24
	s_delay_alu instid0(VALU_DEP_1) | instskip(SKIP_1) | instid1(VALU_DEP_1)
	v_dual_add_f32 v25, v25, v27 :: v_dual_add_f32 v24, v24, v26
	s_wait_dscnt 0x1
	v_dual_add_f32 v25, v25, v29 :: v_dual_add_f32 v24, v24, v28
	s_delay_alu instid0(VALU_DEP_1) | instskip(SKIP_1) | instid1(VALU_DEP_1)
	v_dual_add_f32 v25, v25, v31 :: v_dual_add_f32 v24, v24, v30
	s_wait_dscnt 0x0
	v_dual_add_f32 v21, v25, v21 :: v_dual_add_f32 v20, v24, v20
	s_delay_alu instid0(VALU_DEP_1)
	v_dual_add_f32 v47, v21, v23 :: v_dual_add_f32 v46, v20, v22
.LBB40_108:                             ;   in Loop: Header=BB40_4 Depth=1
	s_or_b32 exec_lo, exec_lo, s23
	v_dual_mul_f32 v20, v13, v9 :: v_dual_mul_f32 v21, v15, v11
	v_dual_mul_f32 v15, v15, v10 :: v_dual_mul_f32 v22, v5, v1
	s_wait_loadcnt 0x0
	s_delay_alu instid0(VALU_DEP_2) | instskip(NEXT) | instid1(VALU_DEP_2)
	v_dual_fmac_f32 v20, v12, v8 :: v_dual_fmac_f32 v21, v14, v10
	v_fma_f32 v11, v14, v11, -v15
	v_mul_f32_e32 v5, v5, v0
	v_fmac_f32_e32 v22, v4, v0
	s_delay_alu instid0(VALU_DEP_4)
	v_add_f32_e32 v10, 0, v20
	v_mul_f32_e32 v13, v13, v8
	s_barrier_signal -1
	v_fma_f32 v1, v4, v1, -v5
	s_barrier_wait -1
	v_add_f32_e32 v0, v10, v21
	v_fma_f32 v8, v12, v9, -v13
	v_mul_f32_e32 v9, v7, v3
	global_inv scope:SCOPE_SE
	v_dual_mul_f32 v7, v7, v2 :: v_dual_add_f32 v8, 0, v8
	v_fmac_f32_e32 v9, v6, v2
	v_add_f32_e32 v0, v0, v22
	s_delay_alu instid0(VALU_DEP_3) | instskip(NEXT) | instid1(VALU_DEP_4)
	v_fma_f32 v2, v6, v3, -v7
	v_add_f32_e32 v4, v8, v11
	s_delay_alu instid0(VALU_DEP_1) | instskip(NEXT) | instid1(VALU_DEP_1)
	v_add_f32_e32 v1, v4, v1
	v_dual_add_f32 v0, v0, v9 :: v_dual_add_f32 v1, v1, v2
	ds_store_b64 v92, v[0:1]
	s_wait_loadcnt_dscnt 0x0
	s_barrier_signal -1
	s_barrier_wait -1
	global_inv scope:SCOPE_SE
	s_and_saveexec_b32 s23, s15
	s_cbranch_execz .LBB40_110
; %bb.109:                              ;   in Loop: Header=BB40_4 Depth=1
	ds_load_2addr_b64 v[0:3], v89 offset1:1
	ds_load_2addr_b64 v[4:7], v89 offset0:2 offset1:3
	ds_load_2addr_b64 v[8:11], v89 offset0:4 offset1:5
	s_wait_dscnt 0x2
	v_dual_add_f32 v0, v46, v0 :: v_dual_add_f32 v1, v47, v1
	s_delay_alu instid0(VALU_DEP_1) | instskip(SKIP_3) | instid1(VALU_DEP_1)
	v_dual_add_f32 v12, v0, v2 :: v_dual_add_f32 v13, v1, v3
	ds_load_2addr_b64 v[0:3], v89 offset0:6 offset1:7
	s_wait_dscnt 0x2
	v_dual_add_f32 v4, v12, v4 :: v_dual_add_f32 v5, v13, v5
	v_dual_add_f32 v4, v4, v6 :: v_dual_add_f32 v5, v5, v7
	s_wait_dscnt 0x1
	s_delay_alu instid0(VALU_DEP_1) | instskip(NEXT) | instid1(VALU_DEP_1)
	v_dual_add_f32 v4, v4, v8 :: v_dual_add_f32 v5, v5, v9
	v_dual_add_f32 v4, v4, v10 :: v_dual_add_f32 v5, v5, v11
	s_wait_dscnt 0x0
	s_delay_alu instid0(VALU_DEP_1) | instskip(NEXT) | instid1(VALU_DEP_1)
	v_dual_add_f32 v0, v4, v0 :: v_dual_add_f32 v1, v5, v1
	v_dual_add_f32 v46, v0, v2 :: v_dual_add_f32 v47, v1, v3
.LBB40_110:                             ;   in Loop: Header=BB40_4 Depth=1
	s_or_b32 exec_lo, exec_lo, s23
	s_mul_u64 s[78:79], s[50:51], s[34:35]
	s_and_not1_b32 vcc_lo, exec_lo, s81
	s_wait_alu 0xfffe
	s_lshl_b64 s[78:79], s[78:79], 3
	s_wait_loadcnt 0x0
	s_wait_alu 0xfffe
	s_add_nc_u64 s[78:79], s[52:53], s[78:79]
	s_barrier_signal -1
	s_barrier_wait -1
	global_inv scope:SCOPE_SE
	s_cbranch_vccnz .LBB40_117
; %bb.111:                              ;   in Loop: Header=BB40_4 Depth=1
	v_add_co_u32 v0, vcc_lo, v18, s76
	s_wait_alu 0xfffd
	v_add_co_ci_u32_e64 v1, null, s77, v19, vcc_lo
	v_lshlrev_b32_e32 v2, 3, v82
	s_delay_alu instid0(VALU_DEP_3) | instskip(SKIP_1) | instid1(VALU_DEP_3)
	v_add_co_u32 v0, vcc_lo, v0, v40
	s_wait_alu 0xfffd
	v_add_co_ci_u32_e64 v1, null, v1, v41, vcc_lo
	s_lshl_b64 s[84:85], s[48:49], 3
	v_add_co_u32 v0, vcc_lo, v0, v42
	s_wait_alu 0xfffd
	v_add_co_ci_u32_e64 v1, null, v1, v43, vcc_lo
	s_mov_b32 s23, ttmp9
	s_wait_alu 0xfffe
	v_add_co_u32 v3, vcc_lo, v0, s84
	s_wait_alu 0xfffd
	v_add_co_ci_u32_e64 v4, null, s85, v1, vcc_lo
	v_add_co_u32 v0, vcc_lo, v0, v2
	s_wait_alu 0xfffd
	v_add_co_ci_u32_e64 v1, null, 0, v1, vcc_lo
	v_add_co_u32 v2, vcc_lo, 0xfffffef8, v3
	s_wait_alu 0xfffd
	v_add_co_ci_u32_e64 v3, null, -1, v4, vcc_lo
	v_add_co_u32 v0, vcc_lo, 0xffffff00, v0
	s_wait_alu 0xfffd
	v_add_co_ci_u32_e64 v1, null, -1, v1, vcc_lo
	v_add_co_u32 v108, vcc_lo, v16, s74
	s_wait_alu 0xfffd
	v_add_co_ci_u32_e64 v109, null, s75, v17, vcc_lo
	s_delay_alu instid0(VALU_DEP_3)
	v_cndmask_b32_e64 v1, v1, v3, s1
	v_cndmask_b32_e64 v0, v0, v2, s1
	s_mov_b32 s46, 0
	s_branch .LBB40_113
.LBB40_112:                             ;   in Loop: Header=BB40_113 Depth=2
	s_or_b32 exec_lo, exec_lo, s35
	v_mul_f32_e32 v32, v49, v1
	v_dual_mul_f32 v1, v48, v1 :: v_dual_mul_f32 v110, v53, v3
	v_mul_f32_e32 v3, v52, v3
	s_add_co_i32 s23, s23, -1
	s_delay_alu instid0(VALU_DEP_3) | instskip(SKIP_3) | instid1(VALU_DEP_4)
	v_fma_f32 v32, v48, v0, -v32
	v_mul_f32_e32 v111, v55, v5
	v_dual_mul_f32 v5, v54, v5 :: v_dual_mul_f32 v48, v51, v7
	v_fma_f32 v52, v52, v2, -v110
	v_add_f32_e32 v32, v46, v32
	v_dual_mul_f32 v7, v50, v7 :: v_dual_mul_f32 v46, v63, v13
	v_mul_f32_e32 v13, v62, v13
	s_delay_alu instid0(VALU_DEP_3)
	v_dual_fmac_f32 v3, v53, v2 :: v_dual_add_f32 v32, v32, v52
	v_fma_f32 v2, v50, v6, -v48
	v_fmac_f32_e32 v1, v49, v0
	v_fma_f32 v0, v54, v4, -v111
	v_mul_f32_e32 v49, v61, v15
	v_mul_f32_e32 v15, v60, v15
	v_fmac_f32_e32 v13, v63, v12
	s_wait_alu 0xfffe
	s_add_co_i32 s46, s46, 64
	v_add_f32_e32 v0, v32, v0
	s_cmp_eq_u32 s23, 0
	s_wait_loadcnt 0x0
	s_wait_storecnt 0x0
	s_barrier_signal -1
	s_barrier_wait -1
	v_dual_add_f32 v0, v0, v2 :: v_dual_add_f32 v1, v47, v1
	v_mul_f32_e32 v2, v59, v9
	global_inv scope:SCOPE_SE
	v_fma_f32 v2, v58, v8, -v2
	v_fmac_f32_e32 v5, v55, v4
	v_fma_f32 v4, v60, v14, -v49
	v_add_f32_e32 v1, v1, v3
	v_fma_f32 v3, v62, v12, -v46
	s_delay_alu instid0(VALU_DEP_1) | instskip(NEXT) | instid1(VALU_DEP_1)
	v_add_f32_e32 v0, v0, v3
	v_dual_mul_f32 v3, v57, v11 :: v_dual_add_f32 v0, v0, v4
	v_dual_mul_f32 v4, v58, v9 :: v_dual_fmac_f32 v15, v61, v14
	s_delay_alu instid0(VALU_DEP_2) | instskip(SKIP_1) | instid1(VALU_DEP_4)
	v_add_f32_e32 v0, v0, v2
	v_mul_f32_e32 v2, v71, v17
	v_fma_f32 v3, v56, v10, -v3
	v_fmac_f32_e32 v7, v51, v6
	v_dual_add_f32 v1, v1, v5 :: v_dual_fmac_f32 v4, v59, v8
	s_delay_alu instid0(VALU_DEP_4) | instskip(NEXT) | instid1(VALU_DEP_4)
	v_fma_f32 v2, v70, v16, -v2
	v_add_f32_e32 v0, v0, v3
	v_mul_f32_e32 v3, v69, v19
	s_delay_alu instid0(VALU_DEP_4)
	v_add_f32_e32 v1, v1, v7
	v_mul_f32_e32 v5, v56, v11
	v_mul_f32_e32 v6, v74, v31
	v_add_f32_e32 v0, v0, v2
	v_fma_f32 v2, v68, v18, -v3
	v_mul_f32_e32 v3, v67, v21
	v_add_f32_e32 v1, v1, v13
	v_fmac_f32_e32 v5, v57, v10
	v_fmac_f32_e32 v6, v75, v30
	v_add_f32_e32 v0, v0, v2
	v_fma_f32 v2, v66, v20, -v3
	v_mul_f32_e32 v3, v65, v23
	s_delay_alu instid0(VALU_DEP_2) | instskip(NEXT) | instid1(VALU_DEP_2)
	v_dual_add_f32 v1, v1, v15 :: v_dual_add_f32 v0, v0, v2
	v_fma_f32 v2, v64, v22, -v3
	v_mul_f32_e32 v3, v81, v25
	s_delay_alu instid0(VALU_DEP_3) | instskip(NEXT) | instid1(VALU_DEP_3)
	v_dual_add_f32 v1, v1, v4 :: v_dual_mul_f32 v4, v70, v17
	v_add_f32_e32 v0, v0, v2
	s_delay_alu instid0(VALU_DEP_3) | instskip(SKIP_1) | instid1(VALU_DEP_4)
	v_fma_f32 v2, v80, v24, -v3
	v_mul_f32_e32 v3, v79, v27
	v_fmac_f32_e32 v4, v71, v16
	s_delay_alu instid0(VALU_DEP_3) | instskip(NEXT) | instid1(VALU_DEP_3)
	v_add_f32_e32 v0, v0, v2
	v_fma_f32 v2, v78, v26, -v3
	v_add_f32_e32 v1, v1, v5
	v_mul_f32_e32 v5, v68, v19
	s_delay_alu instid0(VALU_DEP_3) | instskip(NEXT) | instid1(VALU_DEP_3)
	v_dual_mul_f32 v3, v78, v27 :: v_dual_add_f32 v0, v0, v2
	v_add_f32_e32 v1, v1, v4
	s_delay_alu instid0(VALU_DEP_3) | instskip(NEXT) | instid1(VALU_DEP_3)
	v_dual_fmac_f32 v5, v69, v18 :: v_dual_mul_f32 v4, v66, v21
	v_dual_mul_f32 v2, v76, v29 :: v_dual_fmac_f32 v3, v79, v26
	s_delay_alu instid0(VALU_DEP_2) | instskip(NEXT) | instid1(VALU_DEP_2)
	v_dual_add_f32 v1, v1, v5 :: v_dual_fmac_f32 v4, v67, v20
	v_dual_mul_f32 v5, v64, v23 :: v_dual_fmac_f32 v2, v77, v28
	s_delay_alu instid0(VALU_DEP_2) | instskip(NEXT) | instid1(VALU_DEP_2)
	v_add_f32_e32 v1, v1, v4
	v_dual_fmac_f32 v5, v65, v22 :: v_dual_mul_f32 v4, v80, v25
	s_delay_alu instid0(VALU_DEP_1) | instskip(NEXT) | instid1(VALU_DEP_2)
	v_add_f32_e32 v1, v1, v5
	v_fmac_f32_e32 v4, v81, v24
	v_mul_f32_e32 v5, v77, v29
	s_delay_alu instid0(VALU_DEP_2) | instskip(NEXT) | instid1(VALU_DEP_2)
	v_add_f32_e32 v1, v1, v4
	v_fma_f32 v4, v76, v28, -v5
	v_mul_f32_e32 v5, v75, v31
	s_delay_alu instid0(VALU_DEP_2) | instskip(NEXT) | instid1(VALU_DEP_2)
	v_dual_add_f32 v1, v1, v3 :: v_dual_add_f32 v0, v0, v4
	v_fma_f32 v3, v74, v30, -v5
	s_delay_alu instid0(VALU_DEP_1) | instskip(SKIP_1) | instid1(VALU_DEP_2)
	v_dual_add_f32 v1, v1, v2 :: v_dual_add_f32 v46, v0, v3
	v_add_co_u32 v0, vcc_lo, v72, s68
	v_add_f32_e32 v47, v1, v6
	s_wait_alu 0xfffd
	v_add_co_ci_u32_e64 v1, null, s69, v73, vcc_lo
	s_cbranch_scc1 .LBB40_117
.LBB40_113:                             ;   Parent Loop BB40_4 Depth=1
                                        ; =>  This Inner Loop Header: Depth=2
	s_and_saveexec_b32 s35, s0
	s_cbranch_execz .LBB40_115
; %bb.114:                              ;   in Loop: Header=BB40_113 Depth=2
	s_wait_alu 0xfffe
	s_mul_u64 s[84:85], s[44:45], s[46:47]
	s_wait_alu 0xfffe
	s_lshl_b64 s[84:85], s[84:85], 3
	s_wait_alu 0xfffe
	v_add_co_u32 v2, vcc_lo, v108, s84
	s_wait_alu 0xfffd
	v_add_co_ci_u32_e64 v3, null, s85, v109, vcc_lo
	flat_load_b64 v[2:3], v[2:3]
	s_wait_loadcnt_dscnt 0x0
	ds_store_b64 v94, v[2:3]
.LBB40_115:                             ;   in Loop: Header=BB40_113 Depth=2
	s_or_b32 exec_lo, exec_lo, s35
	v_add_co_u32 v2, vcc_lo, v0, s66
	s_wait_alu 0xfffd
	v_add_co_ci_u32_e64 v3, null, s67, v1, vcc_lo
	s_wait_loadcnt_dscnt 0x0
	s_barrier_signal -1
	s_barrier_wait -1
	global_inv scope:SCOPE_SE
	s_clause 0x1
	flat_load_b64 v[48:49], v[0:1]
	flat_load_b64 v[52:53], v[2:3]
	v_add_co_u32 v0, vcc_lo, v2, s66
	s_wait_alu 0xfffd
	v_add_co_ci_u32_e64 v1, null, s67, v3, vcc_lo
	s_delay_alu instid0(VALU_DEP_2) | instskip(SKIP_1) | instid1(VALU_DEP_2)
	v_add_co_u32 v8, vcc_lo, v0, s66
	s_wait_alu 0xfffd
	v_add_co_ci_u32_e64 v9, null, s67, v1, vcc_lo
	s_clause 0x1
	flat_load_b64 v[54:55], v[0:1]
	flat_load_b64 v[50:51], v[8:9]
	ds_load_b64 v[10:11], v84
	ds_load_b128 v[0:3], v95
	ds_load_b128 v[4:7], v95 offset:16
	v_add_co_u32 v8, vcc_lo, v8, s68
	s_wait_alu 0xfffd
	v_add_co_ci_u32_e64 v9, null, s69, v9, vcc_lo
	s_delay_alu instid0(VALU_DEP_2) | instskip(SKIP_1) | instid1(VALU_DEP_2)
	v_add_co_u32 v16, vcc_lo, v8, s66
	s_wait_alu 0xfffd
	v_add_co_ci_u32_e64 v17, null, s67, v9, vcc_lo
	s_wait_loadcnt_dscnt 0x302
	v_mul_f32_e32 v12, v49, v11
	v_mul_f32_e32 v13, v49, v10
	s_wait_loadcnt 0x2
	v_mul_f32_e32 v14, v53, v11
	s_wait_loadcnt 0x1
	v_dual_mul_f32 v15, v53, v10 :: v_dual_mul_f32 v18, v55, v11
	s_wait_loadcnt 0x0
	v_mul_f32_e32 v20, v51, v11
	v_mul_f32_e32 v19, v55, v10
	;; [unrolled: 1-line block ×3, first 2 shown]
	v_fmac_f32_e32 v12, v48, v10
	v_fma_f32 v13, v48, v11, -v13
	v_fmac_f32_e32 v14, v52, v10
	v_fma_f32 v15, v52, v11, -v15
	v_fmac_f32_e32 v18, v54, v10
	v_fmac_f32_e32 v20, v50, v10
	v_add_co_u32 v10, vcc_lo, v16, s66
	v_fma_f32 v19, v54, v11, -v19
	v_fma_f32 v21, v50, v11, -v21
	s_wait_alu 0xfffd
	v_add_co_ci_u32_e64 v11, null, s67, v17, vcc_lo
	ds_store_2addr_b64 v96, v[12:13], v[14:15] offset1:67
	ds_store_2addr_b64 v96, v[18:19], v[20:21] offset0:134 offset1:201
	s_wait_dscnt 0x0
	s_barrier_signal -1
	s_barrier_wait -1
	global_inv scope:SCOPE_SE
	ds_load_2addr_b64 v[110:113], v97 offset1:1
	ds_load_2addr_b64 v[114:117], v97 offset0:2 offset1:3
	s_wait_loadcnt_dscnt 0x0
	s_barrier_signal -1
	s_barrier_wait -1
	global_inv scope:SCOPE_SE
	flat_load_b64 v[62:63], v[8:9]
	v_add_co_u32 v8, vcc_lo, v10, s66
	s_wait_alu 0xfffd
	v_add_co_ci_u32_e64 v9, null, s67, v11, vcc_lo
	s_clause 0x2
	flat_load_b64 v[60:61], v[16:17]
	flat_load_b64 v[58:59], v[10:11]
	flat_load_b64 v[56:57], v[8:9]
	ds_load_b64 v[10:11], v84
	ds_load_b128 v[12:15], v95 offset:128
	v_add_co_u32 v16, vcc_lo, v8, s68
	s_wait_alu 0xfffd
	v_add_co_ci_u32_e64 v17, null, s69, v9, vcc_lo
	s_delay_alu instid0(VALU_DEP_2) | instskip(SKIP_1) | instid1(VALU_DEP_2)
	v_add_co_u32 v18, vcc_lo, v16, s66
	s_wait_alu 0xfffd
	v_add_co_ci_u32_e64 v19, null, s67, v17, vcc_lo
	s_delay_alu instid0(VALU_DEP_2) | instskip(SKIP_1) | instid1(VALU_DEP_2)
	v_add_co_u32 v28, vcc_lo, v18, s66
	s_wait_alu 0xfffd
	v_add_co_ci_u32_e64 v29, null, s67, v19, vcc_lo
	s_wait_loadcnt_dscnt 0x301
	v_mul_f32_e32 v20, v63, v11
	v_mul_f32_e32 v8, v63, v10
	s_wait_loadcnt 0x1
	v_dual_mul_f32 v22, v61, v11 :: v_dual_mul_f32 v25, v59, v10
	v_dual_mul_f32 v9, v61, v10 :: v_dual_mul_f32 v24, v59, v11
	s_wait_loadcnt 0x0
	v_mul_f32_e32 v27, v57, v10
	v_mul_f32_e32 v26, v57, v11
	v_fmac_f32_e32 v20, v62, v10
	v_fma_f32 v21, v62, v11, -v8
	v_fmac_f32_e32 v22, v60, v10
	v_fma_f32 v23, v60, v11, -v9
	;; [unrolled: 2-line block ×4, first 2 shown]
	ds_load_b128 v[8:11], v95 offset:144
	ds_store_2addr_b64 v96, v[20:21], v[22:23] offset1:67
	ds_store_2addr_b64 v96, v[24:25], v[26:27] offset0:134 offset1:201
	s_wait_dscnt 0x0
	s_barrier_signal -1
	s_barrier_wait -1
	global_inv scope:SCOPE_SE
	ds_load_2addr_b64 v[118:121], v97 offset1:1
	ds_load_2addr_b64 v[122:125], v97 offset0:2 offset1:3
	s_wait_loadcnt_dscnt 0x0
	s_barrier_signal -1
	s_barrier_wait -1
	global_inv scope:SCOPE_SE
	flat_load_b64 v[70:71], v[16:17]
	v_add_co_u32 v16, vcc_lo, v28, s66
	s_wait_alu 0xfffd
	v_add_co_ci_u32_e64 v17, null, s67, v29, vcc_lo
	s_clause 0x1
	flat_load_b64 v[68:69], v[18:19]
	flat_load_b64 v[66:67], v[28:29]
	;; [unrolled: 1-line block ×3, first 2 shown]
	ds_load_b64 v[20:21], v84
	v_add_co_u32 v24, vcc_lo, v16, s68
	s_wait_alu 0xfffd
	v_add_co_ci_u32_e64 v25, null, s69, v17, vcc_lo
	ds_load_b128 v[16:19], v95 offset:256
	v_add_co_u32 v26, vcc_lo, v24, s66
	s_wait_alu 0xfffd
	v_add_co_ci_u32_e64 v27, null, s67, v25, vcc_lo
	v_add_f32_e32 v118, 0, v118
	s_delay_alu instid0(VALU_DEP_3) | instskip(SKIP_1) | instid1(VALU_DEP_3)
	v_add_co_u32 v76, vcc_lo, v26, s66
	s_wait_alu 0xfffd
	v_add_co_ci_u32_e64 v77, null, s67, v27, vcc_lo
	s_delay_alu instid0(VALU_DEP_3)
	v_dual_add_f32 v119, 0, v119 :: v_dual_add_f32 v118, v118, v120
	s_wait_loadcnt_dscnt 0x301
	v_mul_f32_e32 v28, v71, v21
	v_mul_f32_e32 v22, v71, v20
	s_wait_loadcnt 0x2
	v_mul_f32_e32 v30, v69, v21
	s_wait_loadcnt 0x1
	v_dual_mul_f32 v23, v69, v20 :: v_dual_mul_f32 v72, v67, v21
	v_mul_f32_e32 v32, v67, v20
	s_wait_loadcnt 0x0
	v_mul_f32_e32 v74, v65, v21
	v_mul_f32_e32 v75, v65, v20
	v_fmac_f32_e32 v28, v70, v20
	v_fma_f32 v29, v70, v21, -v22
	v_fmac_f32_e32 v30, v68, v20
	v_fma_f32 v31, v68, v21, -v23
	;; [unrolled: 2-line block ×4, first 2 shown]
	ds_load_b128 v[20:23], v95 offset:272
	ds_store_2addr_b64 v96, v[28:29], v[30:31] offset1:67
	ds_store_2addr_b64 v96, v[72:73], v[74:75] offset0:134 offset1:201
	v_add_co_u32 v72, vcc_lo, v76, s66
	s_wait_alu 0xfffd
	v_add_co_ci_u32_e64 v73, null, s67, v77, vcc_lo
	s_wait_dscnt 0x0
	s_barrier_signal -1
	s_barrier_wait -1
	global_inv scope:SCOPE_SE
	ds_load_2addr_b64 v[126:129], v97 offset1:1
	ds_load_2addr_b64 v[130:133], v97 offset0:2 offset1:3
	s_wait_loadcnt_dscnt 0x0
	s_barrier_signal -1
	s_barrier_wait -1
	global_inv scope:SCOPE_SE
	flat_load_b64 v[80:81], v[24:25]
	flat_load_b64 v[78:79], v[26:27]
	;; [unrolled: 1-line block ×4, first 2 shown]
	ds_load_b64 v[28:29], v84
	ds_load_b128 v[24:27], v95 offset:384
	s_wait_loadcnt_dscnt 0x201
	v_dual_mul_f32 v31, v79, v28 :: v_dual_mul_f32 v134, v81, v29
	v_mul_f32_e32 v30, v81, v28
	v_mul_f32_e32 v136, v79, v29
	s_wait_loadcnt 0x1
	v_mul_f32_e32 v32, v77, v28
	v_mul_f32_e32 v138, v77, v29
	s_wait_loadcnt 0x0
	v_mul_f32_e32 v140, v75, v29
	v_mul_f32_e32 v141, v75, v28
	v_fma_f32 v135, v80, v29, -v30
	v_fma_f32 v137, v78, v29, -v31
	v_fmac_f32_e32 v134, v80, v28
	v_fmac_f32_e32 v136, v78, v28
	v_fma_f32 v139, v76, v29, -v32
	v_fmac_f32_e32 v138, v76, v28
	v_fmac_f32_e32 v140, v74, v28
	v_fma_f32 v141, v74, v29, -v141
	v_add_f32_e32 v32, 0, v110
	v_add_f32_e32 v110, 0, v111
	ds_load_b128 v[28:31], v95 offset:400
	ds_store_2addr_b64 v96, v[134:135], v[136:137] offset1:67
	ds_store_2addr_b64 v96, v[138:139], v[140:141] offset0:134 offset1:201
	s_wait_dscnt 0x0
	s_barrier_signal -1
	s_barrier_wait -1
	global_inv scope:SCOPE_SE
	ds_load_2addr_b64 v[134:137], v97 offset1:1
	v_add_f32_e32 v110, v110, v113
	s_delay_alu instid0(VALU_DEP_1)
	v_dual_add_f32 v32, v32, v112 :: v_dual_add_f32 v115, v110, v115
	ds_load_2addr_b64 v[110:113], v97 offset0:2 offset1:3
	v_add_f32_e32 v32, v32, v114
	s_wait_loadcnt_dscnt 0x0
	s_barrier_signal -1
	v_add_f32_e32 v115, v115, v117
	s_delay_alu instid0(VALU_DEP_2) | instskip(SKIP_2) | instid1(VALU_DEP_3)
	v_dual_add_f32 v117, 0, v126 :: v_dual_add_f32 v114, v32, v116
	v_add_f32_e32 v32, v119, v121
	v_add_f32_e32 v116, v118, v122
	v_dual_add_f32 v118, 0, v127 :: v_dual_add_f32 v117, v117, v128
	s_barrier_wait -1
	s_delay_alu instid0(VALU_DEP_3) | instskip(SKIP_1) | instid1(VALU_DEP_3)
	v_dual_add_f32 v32, v32, v123 :: v_dual_add_f32 v119, 0, v134
	v_add_f32_e32 v120, 0, v135
	v_dual_add_f32 v118, v118, v129 :: v_dual_add_f32 v121, v117, v130
	s_delay_alu instid0(VALU_DEP_3) | instskip(NEXT) | instid1(VALU_DEP_3)
	v_add_f32_e32 v117, v32, v125
	v_dual_add_f32 v119, v119, v136 :: v_dual_add_f32 v120, v120, v137
	s_delay_alu instid0(VALU_DEP_3) | instskip(SKIP_4) | instid1(VALU_DEP_2)
	v_add_f32_e32 v118, v118, v131
	v_add_f32_e32 v116, v116, v124
	global_inv scope:SCOPE_SE
	v_dual_add_f32 v32, v119, v110 :: v_dual_add_f32 v119, v120, v111
	v_dual_add_f32 v110, v121, v132 :: v_dual_add_f32 v111, v118, v133
	;; [unrolled: 1-line block ×3, first 2 shown]
	ds_store_2addr_b64 v106, v[114:115], v[116:117] offset1:16
	ds_store_2addr_b64 v106, v[110:111], v[112:113] offset0:32 offset1:48
	s_wait_loadcnt_dscnt 0x0
	s_barrier_signal -1
	s_barrier_wait -1
	global_inv scope:SCOPE_SE
	s_and_saveexec_b32 s35, s22
	s_cbranch_execz .LBB40_112
; %bb.116:                              ;   in Loop: Header=BB40_113 Depth=2
	ds_load_b64 v[122:123], v98
	ds_load_2addr_b64 v[110:113], v98 offset0:1 offset1:2
	ds_load_2addr_b64 v[114:117], v98 offset0:3 offset1:4
	;; [unrolled: 1-line block ×3, first 2 shown]
	s_wait_dscnt 0x2
	v_add_f32_e32 v32, v110, v122
	v_add_f32_e32 v110, v111, v123
	s_delay_alu instid0(VALU_DEP_2) | instskip(NEXT) | instid1(VALU_DEP_2)
	v_add_f32_e32 v32, v112, v32
	v_add_f32_e32 v122, v113, v110
	ds_load_2addr_b64 v[110:113], v98 offset0:7 offset1:8
	s_wait_dscnt 0x2
	v_add_f32_e32 v32, v32, v114
	v_add_f32_e32 v114, v122, v115
	s_delay_alu instid0(VALU_DEP_2) | instskip(NEXT) | instid1(VALU_DEP_2)
	v_add_f32_e32 v32, v32, v116
	v_add_f32_e32 v122, v114, v117
	ds_load_2addr_b64 v[114:117], v98 offset0:9 offset1:10
	;; [unrolled: 7-line block ×4, first 2 shown]
	s_wait_dscnt 0x2
	v_add_f32_e32 v32, v32, v114
	v_add_f32_e32 v114, v122, v115
	s_delay_alu instid0(VALU_DEP_2) | instskip(NEXT) | instid1(VALU_DEP_2)
	v_add_f32_e32 v32, v32, v116
	v_add_f32_e32 v116, v114, v117
	ds_load_b64 v[114:115], v99
	s_wait_dscnt 0x2
	v_add_f32_e32 v32, v32, v118
	v_add_f32_e32 v116, v116, v119
	s_delay_alu instid0(VALU_DEP_2) | instskip(NEXT) | instid1(VALU_DEP_2)
	v_add_f32_e32 v32, v32, v120
	v_add_f32_e32 v116, v116, v121
	s_wait_dscnt 0x1
	s_delay_alu instid0(VALU_DEP_2) | instskip(SKIP_1) | instid1(VALU_DEP_2)
	v_add_f32_e32 v110, v32, v110
	s_wait_alu 0xfffe
	v_dual_add_f32 v111, v116, v111 :: v_dual_add_nc_u32 v32, s46, v82
	s_delay_alu instid0(VALU_DEP_1) | instskip(NEXT) | instid1(VALU_DEP_2)
	v_dual_add_f32 v112, v110, v112 :: v_dual_add_f32 v113, v111, v113
	v_lshlrev_b64_e32 v[110:111], 3, v[32:33]
	s_wait_dscnt 0x0
	s_delay_alu instid0(VALU_DEP_2) | instskip(NEXT) | instid1(VALU_DEP_2)
	v_dual_add_f32 v112, v112, v114 :: v_dual_add_f32 v113, v113, v115
	v_add_co_u32 v110, vcc_lo, s78, v110
	s_wait_alu 0xfffd
	s_delay_alu instid0(VALU_DEP_3)
	v_add_co_ci_u32_e64 v111, null, s79, v111, vcc_lo
	global_store_b64 v[110:111], v[112:113], off
	s_branch .LBB40_112
.LBB40_117:                             ;   in Loop: Header=BB40_4 Depth=1
	ds_store_b64 v100, v[46:47]
	s_wait_loadcnt_dscnt 0x0
	s_barrier_signal -1
	s_barrier_wait -1
	global_inv scope:SCOPE_SE
	s_and_saveexec_b32 s23, s82
	s_cbranch_execz .LBB40_2
; %bb.118:                              ;   in Loop: Header=BB40_4 Depth=1
	ds_load_2addr_b64 v[0:3], v83 offset1:67
	ds_load_2addr_b64 v[4:7], v83 offset0:134 offset1:201
	s_wait_dscnt 0x1
	v_dual_add_f32 v0, v2, v0 :: v_dual_add_f32 v1, v3, v1
	s_wait_alu 0xfffe
	v_add_co_u32 v2, vcc_lo, s78, v44
	s_wait_alu 0xfffd
	v_add_co_ci_u32_e64 v3, null, s79, v45, vcc_lo
	s_wait_dscnt 0x0
	v_dual_add_f32 v0, v4, v0 :: v_dual_add_f32 v1, v5, v1
	s_delay_alu instid0(VALU_DEP_1)
	v_dual_add_f32 v0, v0, v6 :: v_dual_add_f32 v1, v1, v7
	global_store_b64 v[2:3], v[0:1], off
	s_branch .LBB40_2
.LBB40_119:                             ;   in Loop: Header=BB40_4 Depth=1
	flat_load_b64 v[4:5], v[2:3]
	s_wait_loadcnt_dscnt 0x0
	ds_store_b64 v102, v[4:5]
	s_or_b32 exec_lo, exec_lo, s23
	s_and_saveexec_b32 s23, s4
	s_delay_alu instid0(SALU_CYCLE_1)
	s_xor_b32 s23, exec_lo, s23
	s_cbranch_execz .LBB40_19
.LBB40_120:                             ;   in Loop: Header=BB40_4 Depth=1
	v_mov_b32_e32 v32, v33
	ds_store_b64 v102, v[32:33] offset:2112
	s_and_not1_saveexec_b32 s23, s23
	s_cbranch_execz .LBB40_20
.LBB40_121:                             ;   in Loop: Header=BB40_4 Depth=1
	v_add_co_u32 v4, vcc_lo, v2, s56
	s_wait_alu 0xfffd
	v_add_co_ci_u32_e64 v5, null, s57, v3, vcc_lo
	flat_load_b64 v[4:5], v[4:5]
	s_wait_loadcnt_dscnt 0x0
	ds_store_b64 v102, v[4:5] offset:2112
	s_or_b32 exec_lo, exec_lo, s23
	s_and_saveexec_b32 s23, s5
	s_delay_alu instid0(SALU_CYCLE_1)
	s_xor_b32 s23, exec_lo, s23
	s_cbranch_execz .LBB40_21
.LBB40_122:                             ;   in Loop: Header=BB40_4 Depth=1
	v_mov_b32_e32 v32, v33
	ds_store_b64 v102, v[32:33] offset:4224
	s_and_not1_saveexec_b32 s23, s23
	s_cbranch_execz .LBB40_22
.LBB40_123:                             ;   in Loop: Header=BB40_4 Depth=1
	v_add_co_u32 v4, vcc_lo, v2, s58
	s_wait_alu 0xfffd
	v_add_co_ci_u32_e64 v5, null, s59, v3, vcc_lo
	flat_load_b64 v[4:5], v[4:5]
	s_wait_loadcnt_dscnt 0x0
	ds_store_b64 v102, v[4:5] offset:4224
	s_or_b32 exec_lo, exec_lo, s23
	s_and_saveexec_b32 s23, s6
	s_delay_alu instid0(SALU_CYCLE_1)
	s_xor_b32 s23, exec_lo, s23
	s_cbranch_execz .LBB40_23
.LBB40_124:                             ;   in Loop: Header=BB40_4 Depth=1
	v_mov_b32_e32 v32, v33
	ds_store_b64 v102, v[32:33] offset:6336
	s_and_not1_saveexec_b32 s23, s23
	s_cbranch_execnz .LBB40_24
	s_branch .LBB40_25
.LBB40_125:                             ;   in Loop: Header=BB40_4 Depth=1
	flat_load_b64 v[4:5], v[0:1]
	s_wait_loadcnt_dscnt 0x0
	ds_store_b64 v102, v[4:5]
	s_or_b32 exec_lo, exec_lo, s23
	s_and_saveexec_b32 s23, s18
	s_delay_alu instid0(SALU_CYCLE_1)
	s_xor_b32 s23, exec_lo, s23
	s_cbranch_execz .LBB40_59
.LBB40_126:                             ;   in Loop: Header=BB40_4 Depth=1
	v_mov_b32_e32 v32, v33
	ds_store_b64 v102, v[32:33] offset:2112
	s_and_not1_saveexec_b32 s23, s23
	s_cbranch_execz .LBB40_60
.LBB40_127:                             ;   in Loop: Header=BB40_4 Depth=1
	v_add_co_u32 v4, vcc_lo, v0, s56
	s_wait_alu 0xfffd
	v_add_co_ci_u32_e64 v5, null, s57, v1, vcc_lo
	flat_load_b64 v[4:5], v[4:5]
	s_wait_loadcnt_dscnt 0x0
	ds_store_b64 v102, v[4:5] offset:2112
	s_or_b32 exec_lo, exec_lo, s23
	s_and_saveexec_b32 s23, s19
	s_delay_alu instid0(SALU_CYCLE_1)
	s_xor_b32 s23, exec_lo, s23
	s_cbranch_execz .LBB40_61
.LBB40_128:                             ;   in Loop: Header=BB40_4 Depth=1
	v_mov_b32_e32 v32, v33
	ds_store_b64 v102, v[32:33] offset:4224
	s_and_not1_saveexec_b32 s23, s23
	s_cbranch_execz .LBB40_62
.LBB40_129:                             ;   in Loop: Header=BB40_4 Depth=1
	v_add_co_u32 v4, vcc_lo, v0, s58
	s_wait_alu 0xfffd
	v_add_co_ci_u32_e64 v5, null, s59, v1, vcc_lo
	flat_load_b64 v[4:5], v[4:5]
	s_wait_loadcnt_dscnt 0x0
	ds_store_b64 v102, v[4:5] offset:4224
	s_or_b32 exec_lo, exec_lo, s23
	s_and_saveexec_b32 s23, s20
	s_delay_alu instid0(SALU_CYCLE_1)
	s_xor_b32 s23, exec_lo, s23
	s_cbranch_execz .LBB40_63
.LBB40_130:                             ;   in Loop: Header=BB40_4 Depth=1
	v_mov_b32_e32 v32, v33
	ds_store_b64 v102, v[32:33] offset:6336
	s_and_not1_saveexec_b32 s23, s23
	s_cbranch_execnz .LBB40_64
	s_branch .LBB40_65
.LBB40_131:                             ;   in Loop: Header=BB40_4 Depth=1
	flat_load_b64 v[2:3], v[0:1]
	s_wait_loadcnt_dscnt 0x0
	ds_store_b64 v102, v[2:3]
	s_or_b32 exec_lo, exec_lo, s23
	s_and_saveexec_b32 s23, s4
	s_delay_alu instid0(SALU_CYCLE_1)
	s_xor_b32 s23, exec_lo, s23
	s_cbranch_execz .LBB40_99
.LBB40_132:                             ;   in Loop: Header=BB40_4 Depth=1
	v_mov_b32_e32 v32, v33
	ds_store_b64 v102, v[32:33] offset:2112
	s_and_not1_saveexec_b32 s23, s23
	s_cbranch_execz .LBB40_100
.LBB40_133:                             ;   in Loop: Header=BB40_4 Depth=1
	v_add_co_u32 v2, vcc_lo, v0, s56
	s_wait_alu 0xfffd
	v_add_co_ci_u32_e64 v3, null, s57, v1, vcc_lo
	flat_load_b64 v[2:3], v[2:3]
	s_wait_loadcnt_dscnt 0x0
	ds_store_b64 v102, v[2:3] offset:2112
	s_or_b32 exec_lo, exec_lo, s23
	s_and_saveexec_b32 s23, s5
	s_delay_alu instid0(SALU_CYCLE_1)
	s_xor_b32 s23, exec_lo, s23
	s_cbranch_execz .LBB40_101
.LBB40_134:                             ;   in Loop: Header=BB40_4 Depth=1
	v_mov_b32_e32 v32, v33
	ds_store_b64 v102, v[32:33] offset:4224
	s_and_not1_saveexec_b32 s23, s23
	s_cbranch_execz .LBB40_102
.LBB40_135:                             ;   in Loop: Header=BB40_4 Depth=1
	v_add_co_u32 v2, vcc_lo, v0, s58
	s_wait_alu 0xfffd
	v_add_co_ci_u32_e64 v3, null, s59, v1, vcc_lo
	flat_load_b64 v[2:3], v[2:3]
	s_wait_loadcnt_dscnt 0x0
	ds_store_b64 v102, v[2:3] offset:4224
	s_or_b32 exec_lo, exec_lo, s23
	s_and_saveexec_b32 s23, s6
	s_delay_alu instid0(SALU_CYCLE_1)
	s_xor_b32 s23, exec_lo, s23
	s_cbranch_execz .LBB40_103
.LBB40_136:                             ;   in Loop: Header=BB40_4 Depth=1
	v_mov_b32_e32 v32, v33
	ds_store_b64 v102, v[32:33] offset:6336
	s_and_not1_saveexec_b32 s23, s23
	s_cbranch_execnz .LBB40_104
	s_branch .LBB40_105
.LBB40_137:
	s_nop 0
	s_sendmsg sendmsg(MSG_DEALLOC_VGPRS)
	s_endpgm
	.section	.rodata,"a",@progbits
	.p2align	6, 0x0
	.amdhsa_kernel _ZL26rocblas_hemvn_kernel_lowerILb1ELi64ELi4ELi33ELi32ELi16ElPK19rocblas_complex_numIfEPKS3_PS1_EviT6_lT7_lT5_lS8_lS9_lS7_lT8_i
		.amdhsa_group_segment_fixed_size 9600
		.amdhsa_private_segment_fixed_size 0
		.amdhsa_kernarg_size 376
		.amdhsa_user_sgpr_count 2
		.amdhsa_user_sgpr_dispatch_ptr 0
		.amdhsa_user_sgpr_queue_ptr 0
		.amdhsa_user_sgpr_kernarg_segment_ptr 1
		.amdhsa_user_sgpr_dispatch_id 0
		.amdhsa_user_sgpr_private_segment_size 0
		.amdhsa_wavefront_size32 1
		.amdhsa_uses_dynamic_stack 0
		.amdhsa_enable_private_segment 0
		.amdhsa_system_sgpr_workgroup_id_x 1
		.amdhsa_system_sgpr_workgroup_id_y 0
		.amdhsa_system_sgpr_workgroup_id_z 1
		.amdhsa_system_sgpr_workgroup_info 0
		.amdhsa_system_vgpr_workitem_id 1
		.amdhsa_next_free_vgpr 142
		.amdhsa_next_free_sgpr 86
		.amdhsa_reserve_vcc 1
		.amdhsa_float_round_mode_32 0
		.amdhsa_float_round_mode_16_64 0
		.amdhsa_float_denorm_mode_32 3
		.amdhsa_float_denorm_mode_16_64 3
		.amdhsa_fp16_overflow 0
		.amdhsa_workgroup_processor_mode 1
		.amdhsa_memory_ordered 1
		.amdhsa_forward_progress 1
		.amdhsa_inst_pref_size 73
		.amdhsa_round_robin_scheduling 0
		.amdhsa_exception_fp_ieee_invalid_op 0
		.amdhsa_exception_fp_denorm_src 0
		.amdhsa_exception_fp_ieee_div_zero 0
		.amdhsa_exception_fp_ieee_overflow 0
		.amdhsa_exception_fp_ieee_underflow 0
		.amdhsa_exception_fp_ieee_inexact 0
		.amdhsa_exception_int_div_zero 0
	.end_amdhsa_kernel
	.section	.text._ZL26rocblas_hemvn_kernel_lowerILb1ELi64ELi4ELi33ELi32ELi16ElPK19rocblas_complex_numIfEPKS3_PS1_EviT6_lT7_lT5_lS8_lS9_lS7_lT8_i,"axG",@progbits,_ZL26rocblas_hemvn_kernel_lowerILb1ELi64ELi4ELi33ELi32ELi16ElPK19rocblas_complex_numIfEPKS3_PS1_EviT6_lT7_lT5_lS8_lS9_lS7_lT8_i,comdat
.Lfunc_end40:
	.size	_ZL26rocblas_hemvn_kernel_lowerILb1ELi64ELi4ELi33ELi32ELi16ElPK19rocblas_complex_numIfEPKS3_PS1_EviT6_lT7_lT5_lS8_lS9_lS7_lT8_i, .Lfunc_end40-_ZL26rocblas_hemvn_kernel_lowerILb1ELi64ELi4ELi33ELi32ELi16ElPK19rocblas_complex_numIfEPKS3_PS1_EviT6_lT7_lT5_lS8_lS9_lS7_lT8_i
                                        ; -- End function
	.set _ZL26rocblas_hemvn_kernel_lowerILb1ELi64ELi4ELi33ELi32ELi16ElPK19rocblas_complex_numIfEPKS3_PS1_EviT6_lT7_lT5_lS8_lS9_lS7_lT8_i.num_vgpr, 142
	.set _ZL26rocblas_hemvn_kernel_lowerILb1ELi64ELi4ELi33ELi32ELi16ElPK19rocblas_complex_numIfEPKS3_PS1_EviT6_lT7_lT5_lS8_lS9_lS7_lT8_i.num_agpr, 0
	.set _ZL26rocblas_hemvn_kernel_lowerILb1ELi64ELi4ELi33ELi32ELi16ElPK19rocblas_complex_numIfEPKS3_PS1_EviT6_lT7_lT5_lS8_lS9_lS7_lT8_i.numbered_sgpr, 86
	.set _ZL26rocblas_hemvn_kernel_lowerILb1ELi64ELi4ELi33ELi32ELi16ElPK19rocblas_complex_numIfEPKS3_PS1_EviT6_lT7_lT5_lS8_lS9_lS7_lT8_i.num_named_barrier, 0
	.set _ZL26rocblas_hemvn_kernel_lowerILb1ELi64ELi4ELi33ELi32ELi16ElPK19rocblas_complex_numIfEPKS3_PS1_EviT6_lT7_lT5_lS8_lS9_lS7_lT8_i.private_seg_size, 0
	.set _ZL26rocblas_hemvn_kernel_lowerILb1ELi64ELi4ELi33ELi32ELi16ElPK19rocblas_complex_numIfEPKS3_PS1_EviT6_lT7_lT5_lS8_lS9_lS7_lT8_i.uses_vcc, 1
	.set _ZL26rocblas_hemvn_kernel_lowerILb1ELi64ELi4ELi33ELi32ELi16ElPK19rocblas_complex_numIfEPKS3_PS1_EviT6_lT7_lT5_lS8_lS9_lS7_lT8_i.uses_flat_scratch, 1
	.set _ZL26rocblas_hemvn_kernel_lowerILb1ELi64ELi4ELi33ELi32ELi16ElPK19rocblas_complex_numIfEPKS3_PS1_EviT6_lT7_lT5_lS8_lS9_lS7_lT8_i.has_dyn_sized_stack, 0
	.set _ZL26rocblas_hemvn_kernel_lowerILb1ELi64ELi4ELi33ELi32ELi16ElPK19rocblas_complex_numIfEPKS3_PS1_EviT6_lT7_lT5_lS8_lS9_lS7_lT8_i.has_recursion, 0
	.set _ZL26rocblas_hemvn_kernel_lowerILb1ELi64ELi4ELi33ELi32ELi16ElPK19rocblas_complex_numIfEPKS3_PS1_EviT6_lT7_lT5_lS8_lS9_lS7_lT8_i.has_indirect_call, 0
	.section	.AMDGPU.csdata,"",@progbits
; Kernel info:
; codeLenInByte = 9316
; TotalNumSgprs: 88
; NumVgprs: 142
; ScratchSize: 0
; MemoryBound: 1
; FloatMode: 240
; IeeeMode: 1
; LDSByteSize: 9600 bytes/workgroup (compile time only)
; SGPRBlocks: 0
; VGPRBlocks: 17
; NumSGPRsForWavesPerEU: 88
; NumVGPRsForWavesPerEU: 142
; Occupancy: 10
; WaveLimiterHint : 1
; COMPUTE_PGM_RSRC2:SCRATCH_EN: 0
; COMPUTE_PGM_RSRC2:USER_SGPR: 2
; COMPUTE_PGM_RSRC2:TRAP_HANDLER: 0
; COMPUTE_PGM_RSRC2:TGID_X_EN: 1
; COMPUTE_PGM_RSRC2:TGID_Y_EN: 0
; COMPUTE_PGM_RSRC2:TGID_Z_EN: 1
; COMPUTE_PGM_RSRC2:TIDIG_COMP_CNT: 1
	.section	.text._ZL36rocblas_hemvn_kernel_lower_block_sumILi64ElPK19rocblas_complex_numIfEPKPS1_S1_EviT1_lS7_lT2_lT0_lPT3_i,"axG",@progbits,_ZL36rocblas_hemvn_kernel_lower_block_sumILi64ElPK19rocblas_complex_numIfEPKPS1_S1_EviT1_lS7_lT2_lT0_lPT3_i,comdat
	.globl	_ZL36rocblas_hemvn_kernel_lower_block_sumILi64ElPK19rocblas_complex_numIfEPKPS1_S1_EviT1_lS7_lT2_lT0_lPT3_i ; -- Begin function _ZL36rocblas_hemvn_kernel_lower_block_sumILi64ElPK19rocblas_complex_numIfEPKPS1_S1_EviT1_lS7_lT2_lT0_lPT3_i
	.p2align	8
	.type	_ZL36rocblas_hemvn_kernel_lower_block_sumILi64ElPK19rocblas_complex_numIfEPKPS1_S1_EviT1_lS7_lT2_lT0_lPT3_i,@function
_ZL36rocblas_hemvn_kernel_lower_block_sumILi64ElPK19rocblas_complex_numIfEPKPS1_S1_EviT1_lS7_lT2_lT0_lPT3_i: ; @_ZL36rocblas_hemvn_kernel_lower_block_sumILi64ElPK19rocblas_complex_numIfEPKPS1_S1_EviT1_lS7_lT2_lT0_lPT3_i
; %bb.0:
	s_load_b32 s24, s[0:1], 0x50
	s_lshr_b32 s2, ttmp7, 16
	s_wait_kmcnt 0x0
	s_cmp_ge_u32 s2, s24
	s_cbranch_scc1 .LBB41_23
; %bb.1:
	s_clause 0x1
	s_load_b32 s20, s[0:1], 0x0
	s_load_b128 s[12:15], s[0:1], 0x30
	s_lshl_b32 s3, ttmp9, 6
	s_clause 0x1
	s_load_b64 s[22:23], s[0:1], 0x48
	s_load_b64 s[16:17], s[0:1], 0x28
	v_or_b32_e32 v0, s3, v0
	s_load_b256 s[4:11], s[0:1], 0x8
	s_add_nc_u64 s[18:19], s[0:1], 0x58
	s_ashr_i32 s1, s3, 31
	s_mov_b32 s3, 0
	s_wait_kmcnt 0x0
	v_mad_co_u64_u32 v[1:2], null, s20, ttmp9, v[0:1]
	v_mul_lo_u32 v5, s15, v0
	v_mad_co_u64_u32 v[3:4], null, s14, v0, 0
	s_mul_i32 s1, s14, s1
	v_cmp_gt_i32_e64 s0, s20, v0
	s_ashr_i32 s21, s20, 31
	v_ashrrev_i32_e32 v2, 31, v1
	s_wait_alu 0xfffe
	s_lshl_b64 s[14:15], s[20:21], 3
	s_lshl_b64 s[12:13], s[12:13], 3
	v_add3_u32 v4, v4, s1, v5
	v_lshlrev_b64_e32 v[1:2], 3, v[1:2]
	s_delay_alu instid0(VALU_DEP_1) | instskip(NEXT) | instid1(VALU_DEP_1)
	v_add_co_u32 v5, vcc_lo, s22, v1
	v_add_co_ci_u32_e64 v6, null, s23, v2, vcc_lo
	s_delay_alu instid0(VALU_DEP_4) | instskip(NEXT) | instid1(VALU_DEP_3)
	v_lshlrev_b64_e32 v[0:1], 3, v[3:4]
	v_add_co_u32 v2, vcc_lo, v5, 4
	s_wait_alu 0xfffd
	s_delay_alu instid0(VALU_DEP_3)
	v_add_co_ci_u32_e64 v3, null, 0, v6, vcc_lo
	v_mov_b32_e32 v6, 0
	s_branch .LBB41_5
.LBB41_2:                               ;   in Loop: Header=BB41_5 Depth=1
	v_add_co_u32 v7, vcc_lo, s20, v0
	s_wait_alu 0xfffd
	v_add_co_ci_u32_e64 v8, null, s21, v1, vcc_lo
	flat_store_b64 v[7:8], v[4:5]
.LBB41_3:                               ;   in Loop: Header=BB41_5 Depth=1
	s_or_b32 exec_lo, exec_lo, s28
.LBB41_4:                               ;   in Loop: Header=BB41_5 Depth=1
	s_add_co_i32 s2, s2, 0x10000
	s_wait_alu 0xfffe
	s_cmp_lt_u32 s2, s24
	s_cbranch_scc0 .LBB41_23
.LBB41_5:                               ; =>This Loop Header: Depth=1
                                        ;     Child Loop BB41_18 Depth 2
	s_mul_u64 s[20:21], s[6:7], s[2:3]
	s_wait_alu 0xfffe
	s_lshl_b64 s[20:21], s[20:21], 3
	s_wait_alu 0xfffe
	s_add_nc_u64 s[20:21], s[4:5], s[20:21]
	global_load_b64 v[4:5], v6, s[20:21]
	s_mul_u64 s[20:21], s[10:11], s[2:3]
	s_wait_alu 0xfffe
	s_lshl_b64 s[20:21], s[20:21], 3
	s_wait_alu 0xfffe
	s_add_nc_u64 s[20:21], s[8:9], s[20:21]
	global_load_b64 v[7:8], v6, s[20:21]
	s_wait_loadcnt 0x1
	v_readfirstlane_b32 s27, v4
	v_readfirstlane_b32 s26, v5
	s_or_b32 s1, s27, s26
	s_wait_loadcnt 0x0
	v_readfirstlane_b32 s25, v8
	s_wait_alu 0xfffe
	s_and_b32 s21, s1, 0x7fffffff
	v_readfirstlane_b32 s1, v7
	s_wait_alu 0xfffe
	s_cmp_eq_u32 s21, 0
	s_cselect_b32 s20, -1, 0
	s_cmp_lg_u32 s21, 0
	s_mov_b32 s21, -1
	s_cbranch_scc1 .LBB41_7
; %bb.6:                                ;   in Loop: Header=BB41_5 Depth=1
	s_cmp_neq_f32 s1, 1.0
	s_cselect_b32 s21, -1, 0
	s_cmp_neq_f32 s25, 0
	s_cselect_b32 s22, -1, 0
	s_wait_alu 0xfffe
	s_or_b32 s21, s21, s22
.LBB41_7:                               ;   in Loop: Header=BB41_5 Depth=1
	s_wait_alu 0xfffe
	s_and_not1_b32 vcc_lo, exec_lo, s21
	s_wait_alu 0xfffe
	s_cbranch_vccnz .LBB41_4
; %bb.8:                                ;   in Loop: Header=BB41_5 Depth=1
	s_lshl_b64 s[22:23], s[2:3], 3
	s_and_not1_b32 vcc_lo, exec_lo, s20
	s_wait_alu 0xfffe
	s_add_nc_u64 s[22:23], s[16:17], s[22:23]
	s_load_b64 s[22:23], s[22:23], 0x0
	s_wait_kmcnt 0x0
	s_add_nc_u64 s[20:21], s[22:23], s[12:13]
	s_mov_b32 s22, -1
	s_cbranch_vccnz .LBB41_14
; %bb.9:                                ;   in Loop: Header=BB41_5 Depth=1
	s_and_saveexec_b32 s22, s0
	s_cbranch_execz .LBB41_13
; %bb.10:                               ;   in Loop: Header=BB41_5 Depth=1
	s_cmp_neq_f32 s1, 0
	v_dual_mov_b32 v4, 0 :: v_dual_mov_b32 v5, 0
	s_cselect_b32 s23, -1, 0
	s_cmp_neq_f32 s25, 0
	s_cselect_b32 s28, -1, 0
	s_wait_alu 0xfffe
	s_or_b32 s23, s23, s28
	s_wait_alu 0xfffe
	s_and_not1_b32 vcc_lo, exec_lo, s23
	s_wait_alu 0xfffe
	s_cbranch_vccnz .LBB41_12
; %bb.11:                               ;   in Loop: Header=BB41_5 Depth=1
	v_add_co_u32 v4, vcc_lo, s20, v0
	s_wait_alu 0xfffd
	v_add_co_ci_u32_e64 v5, null, s21, v1, vcc_lo
	flat_load_b64 v[7:8], v[4:5]
	s_wait_loadcnt_dscnt 0x0
	v_mul_f32_e32 v5, s1, v8
	s_delay_alu instid0(VALU_DEP_1) | instskip(NEXT) | instid1(VALU_DEP_1)
	v_dual_mul_f32 v4, s25, v8 :: v_dual_fmac_f32 v5, s25, v7
	v_fma_f32 v4, v7, s1, -v4
.LBB41_12:                              ;   in Loop: Header=BB41_5 Depth=1
	v_add_co_u32 v7, vcc_lo, s20, v0
	s_wait_alu 0xfffd
	v_add_co_ci_u32_e64 v8, null, s21, v1, vcc_lo
	flat_store_b64 v[7:8], v[4:5]
.LBB41_13:                              ;   in Loop: Header=BB41_5 Depth=1
	s_wait_alu 0xfffe
	s_or_b32 exec_lo, exec_lo, s22
	s_mov_b32 s22, 0
.LBB41_14:                              ;   in Loop: Header=BB41_5 Depth=1
	s_wait_alu 0xfffe
	s_and_not1_b32 vcc_lo, exec_lo, s22
	s_wait_alu 0xfffe
	s_cbranch_vccnz .LBB41_4
; %bb.15:                               ;   in Loop: Header=BB41_5 Depth=1
	s_and_saveexec_b32 s28, s0
	s_cbranch_execz .LBB41_3
; %bb.16:                               ;   in Loop: Header=BB41_5 Depth=1
	s_load_b32 s22, s[18:19], 0x0
	v_dual_mov_b32 v7, 0 :: v_dual_mov_b32 v8, 0
	s_wait_kmcnt 0x0
	s_cmp_ge_i32 ttmp9, s22
	s_cbranch_scc1 .LBB41_19
; %bb.17:                               ;   in Loop: Header=BB41_5 Depth=1
	s_mov_b32 s23, s3
	v_mov_b32_e32 v7, 0
	s_wait_alu 0xfffe
	s_mul_u64 s[30:31], s[14:15], s[22:23]
	s_mov_b32 s29, ttmp9
	s_wait_alu 0xfffe
	v_mad_co_u64_u32 v[4:5], null, s30, s2, v[2:3]
	s_delay_alu instid0(VALU_DEP_1) | instskip(NEXT) | instid1(VALU_DEP_1)
	v_mad_co_u64_u32 v[8:9], null, s31, s2, v[5:6]
	v_dual_mov_b32 v5, v8 :: v_dual_mov_b32 v8, 0
.LBB41_18:                              ;   Parent Loop BB41_5 Depth=1
                                        ; =>  This Inner Loop Header: Depth=2
	global_load_b64 v[9:10], v[4:5], off offset:-4
	v_add_co_u32 v4, vcc_lo, v4, s14
	s_wait_alu 0xfffd
	v_add_co_ci_u32_e64 v5, null, s15, v5, vcc_lo
	s_add_co_i32 s29, s29, 1
	s_delay_alu instid0(SALU_CYCLE_1)
	s_cmp_ge_i32 s29, s22
	s_wait_loadcnt 0x0
	v_dual_add_f32 v8, v8, v9 :: v_dual_add_f32 v7, v7, v10
	s_cbranch_scc0 .LBB41_18
.LBB41_19:                              ;   in Loop: Header=BB41_5 Depth=1
	s_cmp_neq_f32 s1, 0
	s_delay_alu instid0(VALU_DEP_1) | instskip(SKIP_3) | instid1(VALU_DEP_2)
	v_mul_f32_e32 v5, s27, v7
	v_mul_f32_e32 v4, s26, v7
	s_cselect_b32 s22, -1, 0
	s_cmp_neq_f32 s25, 0
	v_fmac_f32_e32 v5, s26, v8
	s_delay_alu instid0(VALU_DEP_2)
	v_fma_f32 v4, v8, s27, -v4
	s_cselect_b32 s23, -1, 0
	s_wait_alu 0xfffe
	s_or_b32 s22, s22, s23
	s_wait_alu 0xfffe
	s_and_not1_b32 vcc_lo, exec_lo, s22
	s_mov_b32 s22, -1
	s_wait_alu 0xfffe
	s_cbranch_vccz .LBB41_21
; %bb.20:                               ;   in Loop: Header=BB41_5 Depth=1
	s_mov_b32 s22, 0
.LBB41_21:                              ;   in Loop: Header=BB41_5 Depth=1
	s_wait_alu 0xfffe
	s_and_not1_b32 vcc_lo, exec_lo, s22
	s_wait_alu 0xfffe
	s_cbranch_vccnz .LBB41_2
; %bb.22:                               ;   in Loop: Header=BB41_5 Depth=1
	v_add_co_u32 v7, vcc_lo, s20, v0
	s_wait_alu 0xfffd
	v_add_co_ci_u32_e64 v8, null, s21, v1, vcc_lo
	flat_load_b64 v[7:8], v[7:8]
	s_wait_loadcnt_dscnt 0x0
	v_mul_f32_e32 v9, s25, v8
	v_mul_f32_e32 v8, s1, v8
	s_delay_alu instid0(VALU_DEP_1) | instskip(NEXT) | instid1(VALU_DEP_3)
	v_fmac_f32_e32 v8, s25, v7
	v_fma_f32 v9, v7, s1, -v9
	s_delay_alu instid0(VALU_DEP_1)
	v_dual_add_f32 v5, v5, v8 :: v_dual_add_f32 v4, v4, v9
	s_branch .LBB41_2
.LBB41_23:
	s_endpgm
	.section	.rodata,"a",@progbits
	.p2align	6, 0x0
	.amdhsa_kernel _ZL36rocblas_hemvn_kernel_lower_block_sumILi64ElPK19rocblas_complex_numIfEPKPS1_S1_EviT1_lS7_lT2_lT0_lPT3_i
		.amdhsa_group_segment_fixed_size 0
		.amdhsa_private_segment_fixed_size 0
		.amdhsa_kernarg_size 344
		.amdhsa_user_sgpr_count 2
		.amdhsa_user_sgpr_dispatch_ptr 0
		.amdhsa_user_sgpr_queue_ptr 0
		.amdhsa_user_sgpr_kernarg_segment_ptr 1
		.amdhsa_user_sgpr_dispatch_id 0
		.amdhsa_user_sgpr_private_segment_size 0
		.amdhsa_wavefront_size32 1
		.amdhsa_uses_dynamic_stack 0
		.amdhsa_enable_private_segment 0
		.amdhsa_system_sgpr_workgroup_id_x 1
		.amdhsa_system_sgpr_workgroup_id_y 0
		.amdhsa_system_sgpr_workgroup_id_z 1
		.amdhsa_system_sgpr_workgroup_info 0
		.amdhsa_system_vgpr_workitem_id 0
		.amdhsa_next_free_vgpr 11
		.amdhsa_next_free_sgpr 32
		.amdhsa_reserve_vcc 1
		.amdhsa_float_round_mode_32 0
		.amdhsa_float_round_mode_16_64 0
		.amdhsa_float_denorm_mode_32 3
		.amdhsa_float_denorm_mode_16_64 3
		.amdhsa_fp16_overflow 0
		.amdhsa_workgroup_processor_mode 1
		.amdhsa_memory_ordered 1
		.amdhsa_forward_progress 1
		.amdhsa_inst_pref_size 8
		.amdhsa_round_robin_scheduling 0
		.amdhsa_exception_fp_ieee_invalid_op 0
		.amdhsa_exception_fp_denorm_src 0
		.amdhsa_exception_fp_ieee_div_zero 0
		.amdhsa_exception_fp_ieee_overflow 0
		.amdhsa_exception_fp_ieee_underflow 0
		.amdhsa_exception_fp_ieee_inexact 0
		.amdhsa_exception_int_div_zero 0
	.end_amdhsa_kernel
	.section	.text._ZL36rocblas_hemvn_kernel_lower_block_sumILi64ElPK19rocblas_complex_numIfEPKPS1_S1_EviT1_lS7_lT2_lT0_lPT3_i,"axG",@progbits,_ZL36rocblas_hemvn_kernel_lower_block_sumILi64ElPK19rocblas_complex_numIfEPKPS1_S1_EviT1_lS7_lT2_lT0_lPT3_i,comdat
.Lfunc_end41:
	.size	_ZL36rocblas_hemvn_kernel_lower_block_sumILi64ElPK19rocblas_complex_numIfEPKPS1_S1_EviT1_lS7_lT2_lT0_lPT3_i, .Lfunc_end41-_ZL36rocblas_hemvn_kernel_lower_block_sumILi64ElPK19rocblas_complex_numIfEPKPS1_S1_EviT1_lS7_lT2_lT0_lPT3_i
                                        ; -- End function
	.set _ZL36rocblas_hemvn_kernel_lower_block_sumILi64ElPK19rocblas_complex_numIfEPKPS1_S1_EviT1_lS7_lT2_lT0_lPT3_i.num_vgpr, 11
	.set _ZL36rocblas_hemvn_kernel_lower_block_sumILi64ElPK19rocblas_complex_numIfEPKPS1_S1_EviT1_lS7_lT2_lT0_lPT3_i.num_agpr, 0
	.set _ZL36rocblas_hemvn_kernel_lower_block_sumILi64ElPK19rocblas_complex_numIfEPKPS1_S1_EviT1_lS7_lT2_lT0_lPT3_i.numbered_sgpr, 32
	.set _ZL36rocblas_hemvn_kernel_lower_block_sumILi64ElPK19rocblas_complex_numIfEPKPS1_S1_EviT1_lS7_lT2_lT0_lPT3_i.num_named_barrier, 0
	.set _ZL36rocblas_hemvn_kernel_lower_block_sumILi64ElPK19rocblas_complex_numIfEPKPS1_S1_EviT1_lS7_lT2_lT0_lPT3_i.private_seg_size, 0
	.set _ZL36rocblas_hemvn_kernel_lower_block_sumILi64ElPK19rocblas_complex_numIfEPKPS1_S1_EviT1_lS7_lT2_lT0_lPT3_i.uses_vcc, 1
	.set _ZL36rocblas_hemvn_kernel_lower_block_sumILi64ElPK19rocblas_complex_numIfEPKPS1_S1_EviT1_lS7_lT2_lT0_lPT3_i.uses_flat_scratch, 0
	.set _ZL36rocblas_hemvn_kernel_lower_block_sumILi64ElPK19rocblas_complex_numIfEPKPS1_S1_EviT1_lS7_lT2_lT0_lPT3_i.has_dyn_sized_stack, 0
	.set _ZL36rocblas_hemvn_kernel_lower_block_sumILi64ElPK19rocblas_complex_numIfEPKPS1_S1_EviT1_lS7_lT2_lT0_lPT3_i.has_recursion, 0
	.set _ZL36rocblas_hemvn_kernel_lower_block_sumILi64ElPK19rocblas_complex_numIfEPKPS1_S1_EviT1_lS7_lT2_lT0_lPT3_i.has_indirect_call, 0
	.section	.AMDGPU.csdata,"",@progbits
; Kernel info:
; codeLenInByte = 988
; TotalNumSgprs: 34
; NumVgprs: 11
; ScratchSize: 0
; MemoryBound: 0
; FloatMode: 240
; IeeeMode: 1
; LDSByteSize: 0 bytes/workgroup (compile time only)
; SGPRBlocks: 0
; VGPRBlocks: 1
; NumSGPRsForWavesPerEU: 34
; NumVGPRsForWavesPerEU: 11
; Occupancy: 16
; WaveLimiterHint : 1
; COMPUTE_PGM_RSRC2:SCRATCH_EN: 0
; COMPUTE_PGM_RSRC2:USER_SGPR: 2
; COMPUTE_PGM_RSRC2:TRAP_HANDLER: 0
; COMPUTE_PGM_RSRC2:TGID_X_EN: 1
; COMPUTE_PGM_RSRC2:TGID_Y_EN: 0
; COMPUTE_PGM_RSRC2:TGID_Z_EN: 1
; COMPUTE_PGM_RSRC2:TIDIG_COMP_CNT: 0
	.section	.text._ZL26rocblas_hemvn_kernel_lowerILb1ELi64ELi4ELi33ELi32ELi16EiPK19rocblas_complex_numIfEPKS3_PS1_EviT6_lT7_lT5_lS8_lS9_lS7_lT8_i,"axG",@progbits,_ZL26rocblas_hemvn_kernel_lowerILb1ELi64ELi4ELi33ELi32ELi16EiPK19rocblas_complex_numIfEPKS3_PS1_EviT6_lT7_lT5_lS8_lS9_lS7_lT8_i,comdat
	.globl	_ZL26rocblas_hemvn_kernel_lowerILb1ELi64ELi4ELi33ELi32ELi16EiPK19rocblas_complex_numIfEPKS3_PS1_EviT6_lT7_lT5_lS8_lS9_lS7_lT8_i ; -- Begin function _ZL26rocblas_hemvn_kernel_lowerILb1ELi64ELi4ELi33ELi32ELi16EiPK19rocblas_complex_numIfEPKS3_PS1_EviT6_lT7_lT5_lS8_lS9_lS7_lT8_i
	.p2align	8
	.type	_ZL26rocblas_hemvn_kernel_lowerILb1ELi64ELi4ELi33ELi32ELi16EiPK19rocblas_complex_numIfEPKS3_PS1_EviT6_lT7_lT5_lS8_lS9_lS7_lT8_i,@function
_ZL26rocblas_hemvn_kernel_lowerILb1ELi64ELi4ELi33ELi32ELi16EiPK19rocblas_complex_numIfEPKS3_PS1_EviT6_lT7_lT5_lS8_lS9_lS7_lT8_i: ; @_ZL26rocblas_hemvn_kernel_lowerILb1ELi64ELi4ELi33ELi32ELi16EiPK19rocblas_complex_numIfEPKS3_PS1_EviT6_lT7_lT5_lS8_lS9_lS7_lT8_i
; %bb.0:
	s_clause 0x1
	s_load_b64 s[2:3], s[0:1], 0x84
	s_load_b32 s33, s[0:1], 0x70
	s_lshr_b32 s34, ttmp7, 16
	s_wait_kmcnt 0x0
	s_lshr_b32 s4, s2, 16
	s_and_b32 s2, s2, 0xffff
	s_and_b32 s3, s3, 0xffff
	s_mul_i32 s2, s4, s2
	s_delay_alu instid0(SALU_CYCLE_1) | instskip(NEXT) | instid1(SALU_CYCLE_1)
	s_mul_i32 s2, s2, s3
	s_cmp_lg_u32 s2, 0x100
	s_cselect_b32 s2, -1, 0
	s_cmp_ge_u32 s34, s33
	s_cselect_b32 s3, -1, 0
	s_delay_alu instid0(SALU_CYCLE_1) | instskip(NEXT) | instid1(SALU_CYCLE_1)
	s_or_b32 s2, s2, s3
	s_and_b32 vcc_lo, exec_lo, s2
	s_cbranch_vccnz .LBB42_137
; %bb.1:
	s_load_b32 s2, s[0:1], 0x0
	s_add_nc_u64 s[4:5], s[0:1], 0x78
	s_clause 0x1
	s_load_b256 s[24:31], s[0:1], 0x8
	s_load_b32 s62, s[0:1], 0x28
	s_load_b32 s4, s[4:5], 0x0
	s_clause 0x3
	s_load_b128 s[36:39], s[0:1], 0x38
	s_load_b32 s22, s[0:1], 0x48
	s_load_b64 s[6:7], s[0:1], 0x68
	s_load_b128 s[40:43], s[0:1], 0x58
	v_dual_mov_b32 v33, 0 :: v_dual_and_b32 v84, 0x3ff, v0
	v_bfe_u32 v3, v0, 10, 10
	v_and_b32_e32 v1, 31, v0
	s_lshl_b32 s64, ttmp9, 6
	s_mov_b32 s35, 0
	v_add_nc_u32_e32 v2, s64, v84
	v_lshl_add_u32 v16, v3, 6, v84
	v_mul_u32_u24_e32 v22, 33, v1
	v_lshlrev_b32_e32 v17, 3, v1
	s_mov_b32 s5, s35
	v_lshlrev_b32_e32 v85, 3, v84
	v_lshrrev_b32_e32 v10, 5, v16
	v_lshlrev_b32_e32 v91, 3, v22
	s_wait_kmcnt 0x0
	s_ashr_i32 s63, s62, 31
	s_add_co_i32 s8, s4, -1
	v_lshl_or_b32 v15, v1, 8, v17
	s_ashr_i32 s3, s2, 31
	v_lshlrev_b32_e32 v23, 3, v10
	s_lshr_b32 s1, s3, 26
	v_and_b32_e32 v19, 0x7fe0, v16
	s_add_co_i32 s1, s2, s1
	v_lshlrev_b32_e32 v14, 2, v10
	s_and_not1_b32 s1, s1, 63
	v_add_nc_u32_e32 v94, v91, v23
	s_sub_co_i32 s1, s2, s1
	s_cmp_eq_u32 ttmp9, s8
	s_mul_i32 s8, s2, ttmp9
	s_cselect_b32 s44, s1, 0
	s_mul_u64 s[46:47], s[4:5], s[2:3]
	s_cmp_eq_u32 s44, 0
	v_sub_co_u32 v8, s3, 0, v1
	s_cselect_b32 s80, -1, 0
	s_cmp_lg_u32 s44, 0
	v_mad_co_u64_u32 v[6:7], null, s62, v10, v[1:2]
	s_cselect_b32 s1, -1, 0
	s_ashr_i32 s9, s8, 31
	s_sub_co_i32 s20, s44, 32
	s_lshl_b64 s[8:9], s[8:9], 3
	v_mul_u32_u24_e32 v18, 0x108, v10
	v_sub_co_ci_u32_e64 v9, null, 0, 0, s3
	v_add_nc_u32_e32 v11, 8, v10
	v_add_nc_u32_e32 v12, 16, v10
	;; [unrolled: 1-line block ×3, first 2 shown]
	v_cmp_le_i32_e64 s3, s44, v10
	v_mul_u32_u24_e32 v21, 0x420, v10
	v_add_nc_u32_e32 v88, v15, v19
	v_add_nc_u32_e32 v93, 0x2380, v19
	v_cmp_le_i32_e64 s17, s20, v10
	v_cmp_eq_u32_e64 s21, 1, v10
	v_mul_i32_i24_e32 v19, 0xffffffe8, v10
	v_mad_u32_u24 v95, v10, 24, v94
	v_mul_lo_u32 v10, v3, s62
	s_add_nc_u64 s[48:49], s[6:7], s[8:9]
	v_cmp_ge_u32_e64 s7, v14, v1
	v_cmp_eq_u32_e64 s8, v14, v1
	v_or_b32_e32 v20, 1, v14
	v_or_b32_e32 v15, 2, v14
	;; [unrolled: 1-line block ×3, first 2 shown]
	v_lshrrev_b32_e32 v22, 4, v16
	v_mul_lo_u32 v4, s22, v2
	v_cmp_le_i32_e32 vcc_lo, s44, v84
	s_mul_i32 s56, s22, s64
	v_cmp_ge_u32_e64 s13, v14, v1
	v_cmp_eq_u32_e64 s14, v14, v1
	v_or_b32_e32 v14, 32, v1
	v_ashrrev_i32_e32 v7, 31, v6
	v_lshl_add_u32 v10, v10, 2, v84
	s_ashr_i32 s57, s56, 31
	v_and_b32_e32 v24, 15, v0
	v_and_b32_e32 v0, 48, v0
	v_lshlrev_b32_e32 v25, 5, v22
	s_and_b32 s1, s1, vcc_lo
	v_cmp_le_i32_e64 s5, s44, v12
	v_cmp_gt_i32_e64 s16, s44, v14
	v_cmp_le_i32_e64 s19, s20, v12
	s_sub_nc_u64 s[72:73], 0, s[56:57]
	v_sub_co_u32 v12, vcc_lo, 0, v6
	v_sub_co_u32 v14, s56, 0, v84
	v_cmp_eq_u32_e64 s0, 0, v3
	v_ashrrev_i32_e32 v5, 31, v4
	v_cmp_le_i32_e64 s4, s44, v11
	v_cmp_le_i32_e64 s6, s44, v13
	v_cmp_ge_u32_e64 s11, v15, v1
	v_cmp_eq_u32_e64 s12, v15, v1
	v_cmp_le_i32_e64 s18, s20, v11
	v_cmp_le_i32_e64 s20, s20, v13
	v_sub_co_ci_u32_e64 v13, null, 0, v7, vcc_lo
	v_ashrrev_i32_e32 v11, 31, v10
	v_sub_co_ci_u32_e64 v15, null, 0, 0, s56
	v_lshl_add_u32 v96, v3, 5, 0x2180
	v_mad_u32_u24 v97, 0x860, v3, v85
	v_mad_u32_u24 v101, 0x218, v3, v85
	v_ashrrev_i32_e32 v3, 31, v2
	s_mul_i32 s66, s62, s64
	s_lshl_b32 s50, s62, 3
	s_lshl_b32 s52, s62, 4
	s_mul_i32 s54, s62, 24
	v_cmp_ge_u32_e64 s9, v20, v1
	v_cmp_eq_u32_e64 s10, v20, v1
	v_mul_u32_u24_e32 v20, 0x108, v20
	s_lshl_b32 s68, s62, 5
	v_lshlrev_b32_e32 v0, 3, v0
	v_or_b32_e32 v26, 0x78, v85
	v_mad_u32_u24 v98, 0x218, v24, v25
	v_mul_i32_i24_e32 v22, 0xffffffe8, v22
	s_ashr_i32 s65, s64, 31
	s_ashr_i32 s67, s66, 31
	;; [unrolled: 1-line block ×7, first 2 shown]
	s_xor_b32 s23, s1, -1
	s_cmp_gt_i32 ttmp9, 0
	v_lshlrev_b64_e32 v[34:35], 3, v[4:5]
	v_lshlrev_b64_e32 v[36:37], 3, v[6:7]
	;; [unrolled: 1-line block ×7, first 2 shown]
	v_add_nc_u32_e32 v86, 0x2380, v85
	v_cmp_gt_i32_e64 s2, s44, v1
	v_mad_u32_u24 v87, 0x108, v1, v17
	v_add_nc_u32_e32 v89, 8, v88
	v_add_nc_u32_e32 v90, 16, v88
	;; [unrolled: 1-line block ×3, first 2 shown]
	v_cmp_gt_u32_e64 s15, 32, v16
	s_cselect_b32 s81, -1, 0
	s_lshl_b32 s82, s22, 6
	v_cmp_gt_u32_e64 s22, 64, v16
	v_mad_u32_u24 v99, 0x218, v24, v0
	v_mad_u32_u24 v100, 0x218, v24, v26
	v_add_nc_u32_e32 v102, 0x2380, v23
	v_add_nc_u32_e32 v103, v17, v18
	;; [unrolled: 1-line block ×6, first 2 shown]
	v_lshlrev_b32_e32 v108, 3, v1
	s_sub_nc_u64 s[70:71], 0, s[68:69]
	s_sub_nc_u64 s[74:75], 0, s[66:67]
	s_wait_alu 0xfffe
	s_and_b32 s83, s0, s23
	s_lshl_b64 s[56:57], s[62:63], 6
	s_sub_nc_u64 s[58:59], 0, s[44:45]
	s_lshl_b64 s[60:61], s[62:63], 3
	s_mul_u64 s[62:63], s[62:63], 0x68
	s_lshl_b64 s[38:39], s[38:39], 3
	s_lshl_b64 s[30:31], s[30:31], 3
	;; [unrolled: 1-line block ×8, first 2 shown]
	s_branch .LBB42_4
.LBB42_2:                               ;   in Loop: Header=BB42_4 Depth=1
	s_wait_alu 0xfffe
	s_or_b32 exec_lo, exec_lo, s23
.LBB42_3:                               ;   in Loop: Header=BB42_4 Depth=1
	s_add_co_i32 s34, s34, 0x10000
	s_delay_alu instid0(SALU_CYCLE_1)
	s_cmp_lt_u32 s34, s33
	s_cbranch_scc0 .LBB42_137
.LBB42_4:                               ; =>This Loop Header: Depth=1
                                        ;     Child Loop BB42_113 Depth 2
	s_mul_u64 s[76:77], s[26:27], s[34:35]
	s_mov_b32 s23, -1
	s_wait_alu 0xfffe
	s_lshl_b64 s[76:77], s[76:77], 3
	s_wait_alu 0xfffe
	s_add_nc_u64 s[76:77], s[24:25], s[76:77]
	global_load_b64 v[0:1], v33, s[76:77]
	s_wait_loadcnt 0x0
	v_or_b32_e32 v0, v0, v1
	s_delay_alu instid0(VALU_DEP_1) | instskip(NEXT) | instid1(VALU_DEP_1)
	v_and_b32_e32 v0, 0x7fffffff, v0
	v_cmp_ne_u32_e32 vcc_lo, 0, v0
	s_cbranch_vccz .LBB42_6
; %bb.5:                                ;   in Loop: Header=BB42_4 Depth=1
	s_and_not1_b32 vcc_lo, exec_lo, s23
	s_wait_alu 0xfffe
	s_cbranch_vccnz .LBB42_3
	s_branch .LBB42_7
.LBB42_6:                               ;   in Loop: Header=BB42_4 Depth=1
	s_mul_u64 s[76:77], s[42:43], s[34:35]
	s_wait_alu 0xfffe
	s_lshl_b64 s[76:77], s[76:77], 3
	s_wait_alu 0xfffe
	s_add_nc_u64 s[76:77], s[40:41], s[76:77]
	global_load_b64 v[0:1], v33, s[76:77]
	s_wait_loadcnt 0x0
	v_cmp_eq_f32_e32 vcc_lo, 1.0, v0
	v_cmp_eq_f32_e64 s23, 0, v1
	s_and_b32 s23, vcc_lo, s23
	s_wait_alu 0xfffe
	s_and_not1_b32 vcc_lo, exec_lo, s23
	s_cbranch_execnz .LBB42_3
.LBB42_7:                               ;   in Loop: Header=BB42_4 Depth=1
	s_lshl_b64 s[76:77], s[34:35], 3
	s_wait_alu 0xfffe
	s_add_nc_u64 s[78:79], s[36:37], s[76:77]
	s_add_nc_u64 s[76:77], s[28:29], s[76:77]
	s_clause 0x1
	global_load_b64 v[2:3], v33, s[78:79]
	global_load_b64 v[0:1], v33, s[76:77]
	s_wait_loadcnt 0x1
	v_add_co_u32 v2, vcc_lo, v2, s38
	s_wait_alu 0xfffd
	v_add_co_ci_u32_e64 v3, null, s39, v3, vcc_lo
	s_delay_alu instid0(VALU_DEP_2) | instskip(SKIP_1) | instid1(VALU_DEP_2)
	v_add_co_u32 v16, vcc_lo, v2, v34
	s_wait_alu 0xfffd
	v_add_co_ci_u32_e64 v17, null, v3, v35, vcc_lo
	s_and_saveexec_b32 s23, s0
	s_cbranch_execz .LBB42_12
; %bb.8:                                ;   in Loop: Header=BB42_4 Depth=1
	s_and_saveexec_b32 s76, s1
	s_wait_alu 0xfffe
	s_xor_b32 s76, exec_lo, s76
; %bb.9:                                ;   in Loop: Header=BB42_4 Depth=1
	v_mov_b32_e32 v32, v33
	ds_store_b64 v86, v[32:33]
; %bb.10:                               ;   in Loop: Header=BB42_4 Depth=1
	s_wait_alu 0xfffe
	s_and_not1_saveexec_b32 s76, s76
	s_cbranch_execz .LBB42_12
; %bb.11:                               ;   in Loop: Header=BB42_4 Depth=1
	flat_load_b64 v[2:3], v[16:17]
	s_wait_loadcnt_dscnt 0x0
	ds_store_b64 v86, v[2:3]
.LBB42_12:                              ;   in Loop: Header=BB42_4 Depth=1
	s_wait_alu 0xfffe
	s_or_b32 exec_lo, exec_lo, s23
	s_wait_loadcnt 0x0
	v_add_co_u32 v0, vcc_lo, v0, s30
	s_wait_alu 0xfffd
	v_add_co_ci_u32_e64 v1, null, s31, v1, vcc_lo
	s_mov_b32 s23, -1
	v_add_co_u32 v0, vcc_lo, v0, s64
	s_wait_alu 0xfffd
	v_add_co_ci_u32_e64 v1, null, s65, v1, vcc_lo
	s_delay_alu instid0(VALU_DEP_2) | instskip(SKIP_1) | instid1(VALU_DEP_2)
	v_add_co_u32 v0, vcc_lo, v0, v36
	s_wait_alu 0xfffd
	v_add_co_ci_u32_e64 v1, null, v1, v37, vcc_lo
	s_delay_alu instid0(VALU_DEP_2) | instskip(SKIP_1) | instid1(VALU_DEP_2)
	v_add_co_u32 v0, vcc_lo, v0, s66
	s_wait_alu 0xfffd
	v_add_co_ci_u32_e64 v1, null, s67, v1, vcc_lo
	s_and_not1_b32 vcc_lo, exec_lo, s80
	s_wait_alu 0xfffe
	s_cbranch_vccnz .LBB42_14
; %bb.13:                               ;   in Loop: Header=BB42_4 Depth=1
	s_lshl_b64 s[76:77], s[50:51], 3
	s_mov_b32 s23, 0
	s_wait_alu 0xfffe
	v_add_co_u32 v2, vcc_lo, v0, s76
	s_wait_alu 0xfffd
	v_add_co_ci_u32_e64 v3, null, s77, v1, vcc_lo
	s_delay_alu instid0(VALU_DEP_2) | instskip(SKIP_1) | instid1(VALU_DEP_2)
	v_add_co_u32 v4, vcc_lo, v2, s56
	s_wait_alu 0xfffd
	v_add_co_ci_u32_e64 v5, null, s57, v3, vcc_lo
	s_delay_alu instid0(VALU_DEP_2) | instskip(SKIP_1) | instid1(VALU_DEP_2)
	v_add_co_u32 v6, vcc_lo, v4, s56
	s_wait_alu 0xfffd
	v_add_co_ci_u32_e64 v7, null, s57, v5, vcc_lo
	s_clause 0x3
	flat_load_b64 v[8:9], v[0:1]
	flat_load_b64 v[2:3], v[2:3]
	;; [unrolled: 1-line block ×4, first 2 shown]
	s_wait_loadcnt_dscnt 0x303
	ds_store_b64 v103, v[8:9]
	s_wait_loadcnt_dscnt 0x203
	ds_store_b64 v103, v[2:3] offset:2112
	s_wait_loadcnt_dscnt 0x103
	ds_store_b64 v103, v[4:5] offset:4224
	;; [unrolled: 2-line block ×3, first 2 shown]
.LBB42_14:                              ;   in Loop: Header=BB42_4 Depth=1
	s_wait_alu 0xfffe
	s_and_not1_b32 vcc_lo, exec_lo, s23
	s_wait_alu 0xfffe
	s_cbranch_vccnz .LBB42_26
; %bb.15:                               ;   in Loop: Header=BB42_4 Depth=1
	s_and_saveexec_b32 s23, s3
	s_wait_alu 0xfffe
	s_xor_b32 s23, exec_lo, s23
; %bb.16:                               ;   in Loop: Header=BB42_4 Depth=1
	v_mov_b32_e32 v32, v33
	ds_store_b64 v103, v[32:33]
; %bb.17:                               ;   in Loop: Header=BB42_4 Depth=1
	s_wait_alu 0xfffe
	s_or_saveexec_b32 s23, s23
	v_add_co_u32 v2, vcc_lo, v0, v38
	s_wait_alu 0xfffd
	v_add_co_ci_u32_e64 v3, null, v1, v39, vcc_lo
	s_lshl_b64 s[76:77], s[44:45], 3
	s_wait_alu 0xfffe
	v_add_co_u32 v2, vcc_lo, v2, s76
	s_wait_alu 0xfffd
	v_add_co_ci_u32_e64 v3, null, s77, v3, vcc_lo
	s_delay_alu instid0(VALU_DEP_2) | instskip(SKIP_1) | instid1(VALU_DEP_2)
	v_add_co_u32 v2, vcc_lo, v2, -8
	s_wait_alu 0xfffd
	v_add_co_ci_u32_e64 v3, null, -1, v3, vcc_lo
	s_delay_alu instid0(VALU_DEP_2) | instskip(NEXT) | instid1(VALU_DEP_2)
	v_cndmask_b32_e64 v2, v2, v0, s2
	v_cndmask_b32_e64 v3, v3, v1, s2
	s_xor_b32 exec_lo, exec_lo, s23
	s_cbranch_execnz .LBB42_119
; %bb.18:                               ;   in Loop: Header=BB42_4 Depth=1
	s_or_b32 exec_lo, exec_lo, s23
	s_and_saveexec_b32 s23, s4
	s_wait_alu 0xfffe
	s_xor_b32 s23, exec_lo, s23
	s_cbranch_execnz .LBB42_120
.LBB42_19:                              ;   in Loop: Header=BB42_4 Depth=1
	s_wait_alu 0xfffe
	s_and_not1_saveexec_b32 s23, s23
	s_cbranch_execnz .LBB42_121
.LBB42_20:                              ;   in Loop: Header=BB42_4 Depth=1
	s_wait_alu 0xfffe
	s_or_b32 exec_lo, exec_lo, s23
	s_and_saveexec_b32 s23, s5
	s_wait_alu 0xfffe
	s_xor_b32 s23, exec_lo, s23
	s_cbranch_execnz .LBB42_122
.LBB42_21:                              ;   in Loop: Header=BB42_4 Depth=1
	s_wait_alu 0xfffe
	s_and_not1_saveexec_b32 s23, s23
	s_cbranch_execnz .LBB42_123
.LBB42_22:                              ;   in Loop: Header=BB42_4 Depth=1
	s_wait_alu 0xfffe
	s_or_b32 exec_lo, exec_lo, s23
	s_and_saveexec_b32 s23, s6
	s_wait_alu 0xfffe
	s_xor_b32 s23, exec_lo, s23
	s_cbranch_execnz .LBB42_124
.LBB42_23:                              ;   in Loop: Header=BB42_4 Depth=1
	s_wait_alu 0xfffe
	s_and_not1_saveexec_b32 s23, s23
	s_cbranch_execz .LBB42_25
.LBB42_24:                              ;   in Loop: Header=BB42_4 Depth=1
	s_lshl_b64 s[76:77], s[54:55], 3
	s_wait_alu 0xfffe
	v_add_co_u32 v4, vcc_lo, v2, s76
	s_wait_alu 0xfffd
	v_add_co_ci_u32_e64 v5, null, s77, v3, vcc_lo
	flat_load_b64 v[4:5], v[4:5]
	s_wait_loadcnt_dscnt 0x0
	ds_store_b64 v103, v[4:5] offset:6336
.LBB42_25:                              ;   in Loop: Header=BB42_4 Depth=1
	s_wait_alu 0xfffe
	s_or_b32 exec_lo, exec_lo, s23
	v_add_co_u32 v2, vcc_lo, v2, v108
	s_wait_alu 0xfffd
	v_add_co_ci_u32_e64 v3, null, 0, v3, vcc_lo
	s_lshl_b64 s[76:77], s[58:59], 3
	s_wait_alu 0xfffe
	v_add_co_u32 v2, vcc_lo, v2, s76
	s_wait_alu 0xfffd
	v_add_co_ci_u32_e64 v3, null, s77, v3, vcc_lo
	s_delay_alu instid0(VALU_DEP_2) | instskip(SKIP_1) | instid1(VALU_DEP_2)
	v_add_co_u32 v2, vcc_lo, v2, 8
	s_wait_alu 0xfffd
	v_add_co_ci_u32_e64 v3, null, 0, v3, vcc_lo
	s_delay_alu instid0(VALU_DEP_2) | instskip(NEXT) | instid1(VALU_DEP_2)
	v_cndmask_b32_e64 v0, v2, v0, s2
	v_cndmask_b32_e64 v1, v3, v1, s2
.LBB42_26:                              ;   in Loop: Header=BB42_4 Depth=1
	s_mov_b32 s23, 0
	s_wait_dscnt 0x0
	s_barrier_signal -1
	s_barrier_wait -1
	global_inv scope:SCOPE_SE
	s_and_saveexec_b32 s76, s7
	s_wait_alu 0xfffe
	s_xor_b32 s76, exec_lo, s76
; %bb.27:                               ;   in Loop: Header=BB42_4 Depth=1
	s_and_b32 s23, s8, exec_lo
; %bb.28:                               ;   in Loop: Header=BB42_4 Depth=1
	s_wait_alu 0xfffe
	s_or_saveexec_b32 s76, s76
	v_dual_mov_b32 v2, 0 :: v_dual_mov_b32 v3, v87
	s_wait_alu 0xfffe
	s_xor_b32 exec_lo, exec_lo, s76
	s_cbranch_execz .LBB42_30
; %bb.29:                               ;   in Loop: Header=BB42_4 Depth=1
	ds_load_b64 v[4:5], v104
	v_mov_b32_e32 v3, v88
	s_or_b32 s23, s23, exec_lo
	s_wait_dscnt 0x0
	v_xor_b32_e32 v2, 0x80000000, v5
	ds_store_b32 v88, v4
.LBB42_30:                              ;   in Loop: Header=BB42_4 Depth=1
	s_or_b32 exec_lo, exec_lo, s76
	s_wait_alu 0xfffe
	s_and_saveexec_b32 s76, s23
; %bb.31:                               ;   in Loop: Header=BB42_4 Depth=1
	ds_store_b32 v3, v2 offset:4
; %bb.32:                               ;   in Loop: Header=BB42_4 Depth=1
	s_wait_alu 0xfffe
	s_or_b32 exec_lo, exec_lo, s76
	s_mov_b32 s23, 0
	s_and_saveexec_b32 s76, s9
	s_wait_alu 0xfffe
	s_xor_b32 s76, exec_lo, s76
; %bb.33:                               ;   in Loop: Header=BB42_4 Depth=1
	s_and_b32 s23, s10, exec_lo
; %bb.34:                               ;   in Loop: Header=BB42_4 Depth=1
	s_wait_alu 0xfffe
	s_or_saveexec_b32 s76, s76
	v_dual_mov_b32 v2, 0 :: v_dual_mov_b32 v3, v87
	s_wait_alu 0xfffe
	s_xor_b32 exec_lo, exec_lo, s76
	s_cbranch_execz .LBB42_36
; %bb.35:                               ;   in Loop: Header=BB42_4 Depth=1
	ds_load_b64 v[4:5], v105
	v_mov_b32_e32 v3, v89
	s_or_b32 s23, s23, exec_lo
	s_wait_dscnt 0x0
	v_xor_b32_e32 v2, 0x80000000, v5
	ds_store_b32 v89, v4
.LBB42_36:                              ;   in Loop: Header=BB42_4 Depth=1
	s_or_b32 exec_lo, exec_lo, s76
	s_wait_alu 0xfffe
	s_and_saveexec_b32 s76, s23
; %bb.37:                               ;   in Loop: Header=BB42_4 Depth=1
	ds_store_b32 v3, v2 offset:4
; %bb.38:                               ;   in Loop: Header=BB42_4 Depth=1
	s_wait_alu 0xfffe
	s_or_b32 exec_lo, exec_lo, s76
	s_mov_b32 s23, 0
	s_and_saveexec_b32 s76, s11
	s_wait_alu 0xfffe
	s_xor_b32 s76, exec_lo, s76
; %bb.39:                               ;   in Loop: Header=BB42_4 Depth=1
	s_and_b32 s23, s12, exec_lo
; %bb.40:                               ;   in Loop: Header=BB42_4 Depth=1
	s_wait_alu 0xfffe
	s_or_saveexec_b32 s76, s76
	v_dual_mov_b32 v2, 0 :: v_dual_mov_b32 v3, v87
	s_wait_alu 0xfffe
	s_xor_b32 exec_lo, exec_lo, s76
	s_cbranch_execz .LBB42_42
; %bb.41:                               ;   in Loop: Header=BB42_4 Depth=1
	ds_load_b64 v[4:5], v105 offset:264
	v_mov_b32_e32 v3, v90
	s_or_b32 s23, s23, exec_lo
	s_wait_dscnt 0x0
	v_xor_b32_e32 v2, 0x80000000, v5
	ds_store_b32 v90, v4
.LBB42_42:                              ;   in Loop: Header=BB42_4 Depth=1
	s_or_b32 exec_lo, exec_lo, s76
	s_wait_alu 0xfffe
	s_and_saveexec_b32 s76, s23
; %bb.43:                               ;   in Loop: Header=BB42_4 Depth=1
	ds_store_b32 v3, v2 offset:4
; %bb.44:                               ;   in Loop: Header=BB42_4 Depth=1
	s_wait_alu 0xfffe
	s_or_b32 exec_lo, exec_lo, s76
	s_mov_b32 s23, 0
	s_and_saveexec_b32 s76, s13
	s_wait_alu 0xfffe
	s_xor_b32 s76, exec_lo, s76
; %bb.45:                               ;   in Loop: Header=BB42_4 Depth=1
	s_and_b32 s23, s14, exec_lo
; %bb.46:                               ;   in Loop: Header=BB42_4 Depth=1
	s_wait_alu 0xfffe
	s_or_saveexec_b32 s76, s76
	v_dual_mov_b32 v2, 0 :: v_dual_mov_b32 v3, v87
	s_wait_alu 0xfffe
	s_xor_b32 exec_lo, exec_lo, s76
	s_cbranch_execz .LBB42_48
; %bb.47:                               ;   in Loop: Header=BB42_4 Depth=1
	ds_load_b64 v[4:5], v105 offset:528
	v_mov_b32_e32 v3, v92
	s_or_b32 s23, s23, exec_lo
	s_wait_dscnt 0x0
	v_xor_b32_e32 v2, 0x80000000, v5
	ds_store_b32 v92, v4
.LBB42_48:                              ;   in Loop: Header=BB42_4 Depth=1
	s_or_b32 exec_lo, exec_lo, s76
	s_wait_alu 0xfffe
	s_and_saveexec_b32 s76, s23
; %bb.49:                               ;   in Loop: Header=BB42_4 Depth=1
	ds_store_b32 v3, v2 offset:4
; %bb.50:                               ;   in Loop: Header=BB42_4 Depth=1
	s_wait_alu 0xfffe
	s_or_b32 exec_lo, exec_lo, s76
	s_wait_loadcnt_dscnt 0x0
	s_barrier_signal -1
	s_barrier_wait -1
	global_inv scope:SCOPE_SE
	ds_load_b64 v[14:15], v104
	ds_load_b128 v[2:5], v93
	ds_load_2addr_b64 v[6:9], v105 offset1:33
	ds_load_b128 v[10:13], v93 offset:16
	ds_load_b64 v[18:19], v105 offset:528
	s_wait_loadcnt_dscnt 0x0
	s_barrier_signal -1
	s_barrier_wait -1
	global_inv scope:SCOPE_SE
	v_dual_mov_b32 v49, 0 :: v_dual_mul_f32 v20, v3, v15
	v_dual_mul_f32 v15, v2, v15 :: v_dual_mul_f32 v22, v11, v9
	v_mul_f32_e32 v9, v10, v9
	s_delay_alu instid0(VALU_DEP_3) | instskip(SKIP_1) | instid1(VALU_DEP_4)
	v_fma_f32 v2, v2, v14, -v20
	v_mul_f32_e32 v21, v5, v7
	v_fmac_f32_e32 v15, v3, v14
	s_delay_alu instid0(VALU_DEP_4) | instskip(SKIP_3) | instid1(VALU_DEP_1)
	v_fmac_f32_e32 v9, v11, v8
	v_fma_f32 v10, v10, v8, -v22
	v_dual_add_f32 v2, 0, v2 :: v_dual_mul_f32 v7, v4, v7
	v_fma_f32 v4, v4, v6, -v21
	v_dual_add_f32 v2, v2, v4 :: v_dual_fmac_f32 v7, v5, v6
	v_mul_f32_e32 v6, v12, v19
	v_add_f32_e32 v5, 0, v15
	s_delay_alu instid0(VALU_DEP_3) | instskip(NEXT) | instid1(VALU_DEP_3)
	v_dual_mul_f32 v3, v13, v19 :: v_dual_add_f32 v2, v2, v10
	v_fmac_f32_e32 v6, v13, v18
	s_delay_alu instid0(VALU_DEP_3) | instskip(NEXT) | instid1(VALU_DEP_3)
	v_add_f32_e32 v4, v5, v7
	v_fma_f32 v3, v12, v18, -v3
	s_delay_alu instid0(VALU_DEP_2) | instskip(SKIP_1) | instid1(VALU_DEP_2)
	v_add_f32_e32 v4, v4, v9
	v_mov_b32_e32 v48, 0
	v_dual_add_f32 v2, v2, v3 :: v_dual_add_f32 v3, v4, v6
	ds_store_b64 v94, v[2:3]
	s_wait_loadcnt_dscnt 0x0
	s_barrier_signal -1
	s_barrier_wait -1
	global_inv scope:SCOPE_SE
	s_and_saveexec_b32 s23, s15
	s_cbranch_execz .LBB42_52
; %bb.51:                               ;   in Loop: Header=BB42_4 Depth=1
	ds_load_2addr_b64 v[2:5], v91 offset1:7
	ds_load_2addr_b64 v[6:9], v91 offset0:1 offset1:2
	ds_load_2addr_b64 v[10:13], v91 offset0:3 offset1:4
	;; [unrolled: 1-line block ×3, first 2 shown]
	s_wait_dscnt 0x2
	v_dual_add_f32 v2, v6, v2 :: v_dual_add_f32 v3, v7, v3
	s_delay_alu instid0(VALU_DEP_1) | instskip(SKIP_1) | instid1(VALU_DEP_1)
	v_dual_add_f32 v2, v8, v2 :: v_dual_add_f32 v3, v9, v3
	s_wait_dscnt 0x1
	v_dual_add_f32 v2, v2, v10 :: v_dual_add_f32 v3, v3, v11
	s_delay_alu instid0(VALU_DEP_1) | instskip(SKIP_1) | instid1(VALU_DEP_1)
	v_dual_add_f32 v2, v2, v12 :: v_dual_add_f32 v3, v3, v13
	s_wait_dscnt 0x0
	v_dual_add_f32 v2, v2, v18 :: v_dual_add_f32 v3, v3, v19
	s_delay_alu instid0(VALU_DEP_1) | instskip(NEXT) | instid1(VALU_DEP_1)
	v_dual_add_f32 v2, v2, v20 :: v_dual_add_f32 v3, v3, v21
	v_dual_add_f32 v48, v2, v4 :: v_dual_add_f32 v49, v3, v5
.LBB42_52:                              ;   in Loop: Header=BB42_4 Depth=1
	s_wait_alu 0xfffe
	s_or_b32 exec_lo, exec_lo, s23
	v_add_co_u32 v0, vcc_lo, v0, s68
	s_wait_alu 0xfffd
	v_add_co_ci_u32_e64 v1, null, s69, v1, vcc_lo
	s_and_not1_b32 vcc_lo, exec_lo, s80
	s_mov_b32 s23, -1
	s_wait_loadcnt 0x0
	s_barrier_signal -1
	s_barrier_wait -1
	global_inv scope:SCOPE_SE
	s_wait_alu 0xfffe
	s_cbranch_vccnz .LBB42_54
; %bb.53:                               ;   in Loop: Header=BB42_4 Depth=1
	s_lshl_b64 s[76:77], s[50:51], 3
	s_mov_b32 s23, 0
	s_wait_alu 0xfffe
	v_add_co_u32 v2, vcc_lo, v0, s76
	s_wait_alu 0xfffd
	v_add_co_ci_u32_e64 v3, null, s77, v1, vcc_lo
	s_delay_alu instid0(VALU_DEP_2) | instskip(SKIP_1) | instid1(VALU_DEP_2)
	v_add_co_u32 v4, vcc_lo, v2, s56
	s_wait_alu 0xfffd
	v_add_co_ci_u32_e64 v5, null, s57, v3, vcc_lo
	s_delay_alu instid0(VALU_DEP_2) | instskip(SKIP_1) | instid1(VALU_DEP_2)
	v_add_co_u32 v6, vcc_lo, v4, s56
	s_wait_alu 0xfffd
	v_add_co_ci_u32_e64 v7, null, s57, v5, vcc_lo
	s_clause 0x3
	flat_load_b64 v[8:9], v[0:1] offset:256
	flat_load_b64 v[2:3], v[2:3] offset:256
	;; [unrolled: 1-line block ×4, first 2 shown]
	s_wait_loadcnt_dscnt 0x303
	ds_store_b64 v103, v[8:9]
	s_wait_loadcnt_dscnt 0x203
	ds_store_b64 v103, v[2:3] offset:2112
	s_wait_loadcnt_dscnt 0x103
	ds_store_b64 v103, v[4:5] offset:4224
	;; [unrolled: 2-line block ×3, first 2 shown]
.LBB42_54:                              ;   in Loop: Header=BB42_4 Depth=1
	v_add_co_u32 v2, vcc_lo, 0x100, v0
	s_wait_alu 0xfffd
	v_add_co_ci_u32_e64 v3, null, 0, v1, vcc_lo
	s_and_not1_b32 vcc_lo, exec_lo, s23
	s_wait_alu 0xfffe
	s_cbranch_vccnz .LBB42_66
; %bb.55:                               ;   in Loop: Header=BB42_4 Depth=1
	s_and_saveexec_b32 s23, s17
	s_wait_alu 0xfffe
	s_xor_b32 s23, exec_lo, s23
; %bb.56:                               ;   in Loop: Header=BB42_4 Depth=1
	v_mov_b32_e32 v32, v33
	ds_store_b64 v103, v[32:33]
; %bb.57:                               ;   in Loop: Header=BB42_4 Depth=1
	s_wait_alu 0xfffe
	s_or_saveexec_b32 s23, s23
	v_add_co_u32 v0, vcc_lo, v0, v38
	s_wait_alu 0xfffd
	v_add_co_ci_u32_e64 v1, null, v1, v39, vcc_lo
	s_lshl_b64 s[76:77], s[44:45], 3
	s_wait_alu 0xfffe
	v_add_co_u32 v0, vcc_lo, v0, s76
	s_wait_alu 0xfffd
	v_add_co_ci_u32_e64 v1, null, s77, v1, vcc_lo
	s_delay_alu instid0(VALU_DEP_2) | instskip(SKIP_1) | instid1(VALU_DEP_2)
	v_add_co_u32 v0, vcc_lo, v0, -8
	s_wait_alu 0xfffd
	v_add_co_ci_u32_e64 v1, null, -1, v1, vcc_lo
	s_delay_alu instid0(VALU_DEP_2) | instskip(NEXT) | instid1(VALU_DEP_2)
	v_cndmask_b32_e64 v0, v0, v2, s16
	v_cndmask_b32_e64 v1, v1, v3, s16
	s_xor_b32 exec_lo, exec_lo, s23
	s_cbranch_execnz .LBB42_125
; %bb.58:                               ;   in Loop: Header=BB42_4 Depth=1
	s_or_b32 exec_lo, exec_lo, s23
	s_and_saveexec_b32 s23, s18
	s_wait_alu 0xfffe
	s_xor_b32 s23, exec_lo, s23
	s_cbranch_execnz .LBB42_126
.LBB42_59:                              ;   in Loop: Header=BB42_4 Depth=1
	s_wait_alu 0xfffe
	s_and_not1_saveexec_b32 s23, s23
	s_cbranch_execnz .LBB42_127
.LBB42_60:                              ;   in Loop: Header=BB42_4 Depth=1
	s_wait_alu 0xfffe
	s_or_b32 exec_lo, exec_lo, s23
	s_and_saveexec_b32 s23, s19
	s_wait_alu 0xfffe
	s_xor_b32 s23, exec_lo, s23
	s_cbranch_execnz .LBB42_128
.LBB42_61:                              ;   in Loop: Header=BB42_4 Depth=1
	s_wait_alu 0xfffe
	s_and_not1_saveexec_b32 s23, s23
	s_cbranch_execnz .LBB42_129
.LBB42_62:                              ;   in Loop: Header=BB42_4 Depth=1
	s_wait_alu 0xfffe
	s_or_b32 exec_lo, exec_lo, s23
	s_and_saveexec_b32 s23, s20
	s_wait_alu 0xfffe
	s_xor_b32 s23, exec_lo, s23
	s_cbranch_execnz .LBB42_130
.LBB42_63:                              ;   in Loop: Header=BB42_4 Depth=1
	s_wait_alu 0xfffe
	s_and_not1_saveexec_b32 s23, s23
	s_cbranch_execz .LBB42_65
.LBB42_64:                              ;   in Loop: Header=BB42_4 Depth=1
	s_lshl_b64 s[76:77], s[54:55], 3
	s_wait_alu 0xfffe
	v_add_co_u32 v4, vcc_lo, v0, s76
	s_wait_alu 0xfffd
	v_add_co_ci_u32_e64 v5, null, s77, v1, vcc_lo
	flat_load_b64 v[4:5], v[4:5]
	s_wait_loadcnt_dscnt 0x0
	ds_store_b64 v103, v[4:5] offset:6336
.LBB42_65:                              ;   in Loop: Header=BB42_4 Depth=1
	s_wait_alu 0xfffe
	s_or_b32 exec_lo, exec_lo, s23
	v_add_co_u32 v0, vcc_lo, v0, v108
	s_wait_alu 0xfffd
	v_add_co_ci_u32_e64 v1, null, 0, v1, vcc_lo
	s_lshl_b64 s[76:77], s[58:59], 3
	s_wait_alu 0xfffe
	v_add_co_u32 v0, vcc_lo, v0, s76
	s_wait_alu 0xfffd
	v_add_co_ci_u32_e64 v1, null, s77, v1, vcc_lo
	s_delay_alu instid0(VALU_DEP_2) | instskip(SKIP_1) | instid1(VALU_DEP_2)
	v_add_co_u32 v0, vcc_lo, 0x108, v0
	s_wait_alu 0xfffd
	v_add_co_ci_u32_e64 v1, null, 0, v1, vcc_lo
	s_delay_alu instid0(VALU_DEP_2) | instskip(NEXT) | instid1(VALU_DEP_2)
	v_cndmask_b32_e64 v2, v0, v2, s16
	v_cndmask_b32_e64 v3, v1, v3, s16
.LBB42_66:                              ;   in Loop: Header=BB42_4 Depth=1
	s_mov_b32 s23, 0
	s_wait_loadcnt_dscnt 0x0
	s_barrier_signal -1
	s_barrier_wait -1
	global_inv scope:SCOPE_SE
	s_and_saveexec_b32 s76, s7
	s_wait_alu 0xfffe
	s_xor_b32 s76, exec_lo, s76
; %bb.67:                               ;   in Loop: Header=BB42_4 Depth=1
	s_and_b32 s23, s8, exec_lo
; %bb.68:                               ;   in Loop: Header=BB42_4 Depth=1
	s_wait_alu 0xfffe
	s_or_saveexec_b32 s76, s76
	v_dual_mov_b32 v0, 0 :: v_dual_mov_b32 v1, v87
	s_wait_alu 0xfffe
	s_xor_b32 exec_lo, exec_lo, s76
	s_cbranch_execz .LBB42_70
; %bb.69:                               ;   in Loop: Header=BB42_4 Depth=1
	ds_load_b64 v[4:5], v104
	v_mov_b32_e32 v1, v88
	s_or_b32 s23, s23, exec_lo
	s_wait_dscnt 0x0
	v_xor_b32_e32 v0, 0x80000000, v5
	ds_store_b32 v88, v4
.LBB42_70:                              ;   in Loop: Header=BB42_4 Depth=1
	s_or_b32 exec_lo, exec_lo, s76
	s_wait_alu 0xfffe
	s_and_saveexec_b32 s76, s23
; %bb.71:                               ;   in Loop: Header=BB42_4 Depth=1
	ds_store_b32 v1, v0 offset:4
; %bb.72:                               ;   in Loop: Header=BB42_4 Depth=1
	s_wait_alu 0xfffe
	s_or_b32 exec_lo, exec_lo, s76
	s_mov_b32 s23, 0
	s_and_saveexec_b32 s76, s9
	s_wait_alu 0xfffe
	s_xor_b32 s76, exec_lo, s76
; %bb.73:                               ;   in Loop: Header=BB42_4 Depth=1
	s_and_b32 s23, s10, exec_lo
; %bb.74:                               ;   in Loop: Header=BB42_4 Depth=1
	s_wait_alu 0xfffe
	s_or_saveexec_b32 s76, s76
	v_dual_mov_b32 v0, 0 :: v_dual_mov_b32 v1, v87
	s_wait_alu 0xfffe
	s_xor_b32 exec_lo, exec_lo, s76
	s_cbranch_execz .LBB42_76
; %bb.75:                               ;   in Loop: Header=BB42_4 Depth=1
	ds_load_b64 v[4:5], v105
	v_mov_b32_e32 v1, v89
	s_or_b32 s23, s23, exec_lo
	s_wait_dscnt 0x0
	v_xor_b32_e32 v0, 0x80000000, v5
	ds_store_b32 v89, v4
.LBB42_76:                              ;   in Loop: Header=BB42_4 Depth=1
	s_or_b32 exec_lo, exec_lo, s76
	s_wait_alu 0xfffe
	s_and_saveexec_b32 s76, s23
; %bb.77:                               ;   in Loop: Header=BB42_4 Depth=1
	ds_store_b32 v1, v0 offset:4
; %bb.78:                               ;   in Loop: Header=BB42_4 Depth=1
	s_wait_alu 0xfffe
	s_or_b32 exec_lo, exec_lo, s76
	s_mov_b32 s23, 0
	s_and_saveexec_b32 s76, s11
	s_wait_alu 0xfffe
	s_xor_b32 s76, exec_lo, s76
; %bb.79:                               ;   in Loop: Header=BB42_4 Depth=1
	s_and_b32 s23, s12, exec_lo
; %bb.80:                               ;   in Loop: Header=BB42_4 Depth=1
	s_wait_alu 0xfffe
	s_or_saveexec_b32 s76, s76
	v_dual_mov_b32 v0, 0 :: v_dual_mov_b32 v1, v87
	s_wait_alu 0xfffe
	s_xor_b32 exec_lo, exec_lo, s76
	s_cbranch_execz .LBB42_82
; %bb.81:                               ;   in Loop: Header=BB42_4 Depth=1
	ds_load_b64 v[4:5], v105 offset:264
	v_mov_b32_e32 v1, v90
	s_or_b32 s23, s23, exec_lo
	s_wait_dscnt 0x0
	v_xor_b32_e32 v0, 0x80000000, v5
	ds_store_b32 v90, v4
.LBB42_82:                              ;   in Loop: Header=BB42_4 Depth=1
	s_or_b32 exec_lo, exec_lo, s76
	s_wait_alu 0xfffe
	s_and_saveexec_b32 s76, s23
; %bb.83:                               ;   in Loop: Header=BB42_4 Depth=1
	ds_store_b32 v1, v0 offset:4
; %bb.84:                               ;   in Loop: Header=BB42_4 Depth=1
	s_wait_alu 0xfffe
	s_or_b32 exec_lo, exec_lo, s76
	s_mov_b32 s23, 0
	s_and_saveexec_b32 s76, s13
	s_wait_alu 0xfffe
	s_xor_b32 s76, exec_lo, s76
; %bb.85:                               ;   in Loop: Header=BB42_4 Depth=1
	s_and_b32 s23, s14, exec_lo
; %bb.86:                               ;   in Loop: Header=BB42_4 Depth=1
	s_wait_alu 0xfffe
	s_or_saveexec_b32 s76, s76
	v_dual_mov_b32 v0, 0 :: v_dual_mov_b32 v1, v87
	s_wait_alu 0xfffe
	s_xor_b32 exec_lo, exec_lo, s76
	s_cbranch_execz .LBB42_88
; %bb.87:                               ;   in Loop: Header=BB42_4 Depth=1
	ds_load_b64 v[4:5], v105 offset:528
	v_mov_b32_e32 v1, v92
	s_or_b32 s23, s23, exec_lo
	s_wait_dscnt 0x0
	v_xor_b32_e32 v0, 0x80000000, v5
	ds_store_b32 v92, v4
.LBB42_88:                              ;   in Loop: Header=BB42_4 Depth=1
	s_or_b32 exec_lo, exec_lo, s76
	s_wait_alu 0xfffe
	s_and_saveexec_b32 s76, s23
; %bb.89:                               ;   in Loop: Header=BB42_4 Depth=1
	ds_store_b32 v1, v0 offset:4
; %bb.90:                               ;   in Loop: Header=BB42_4 Depth=1
	s_wait_alu 0xfffe
	s_or_b32 exec_lo, exec_lo, s76
	s_wait_loadcnt_dscnt 0x0
	s_barrier_signal -1
	s_barrier_wait -1
	global_inv scope:SCOPE_SE
	ds_load_b64 v[0:1], v104
	ds_load_b128 v[4:7], v93 offset:256
	ds_load_2addr_b64 v[8:11], v105 offset1:33
	ds_load_b128 v[12:15], v93 offset:272
	ds_load_b64 v[18:19], v105 offset:528
	s_wait_loadcnt_dscnt 0x0
	s_barrier_signal -1
	s_barrier_wait -1
	global_inv scope:SCOPE_SE
	v_mul_f32_e32 v20, v5, v1
	v_dual_mul_f32 v1, v4, v1 :: v_dual_mul_f32 v22, v13, v11
	v_mul_f32_e32 v11, v12, v11
	s_delay_alu instid0(VALU_DEP_3) | instskip(SKIP_3) | instid1(VALU_DEP_4)
	v_fma_f32 v4, v4, v0, -v20
	v_mul_f32_e32 v21, v7, v9
	v_mul_f32_e32 v9, v6, v9
	v_dual_fmac_f32 v1, v5, v0 :: v_dual_mul_f32 v0, v15, v19
	v_add_f32_e32 v4, 0, v4
	s_delay_alu instid0(VALU_DEP_4) | instskip(NEXT) | instid1(VALU_DEP_4)
	v_fma_f32 v5, v6, v8, -v21
	v_dual_fmac_f32 v9, v7, v8 :: v_dual_mul_f32 v6, v14, v19
	s_delay_alu instid0(VALU_DEP_4) | instskip(SKIP_1) | instid1(VALU_DEP_4)
	v_add_f32_e32 v1, 0, v1
	v_fma_f32 v7, v12, v10, -v22
	v_dual_add_f32 v4, v4, v5 :: v_dual_fmac_f32 v11, v13, v10
	v_fma_f32 v0, v14, v18, -v0
	v_fmac_f32_e32 v6, v15, v18
	s_delay_alu instid0(VALU_DEP_3) | instskip(NEXT) | instid1(VALU_DEP_1)
	v_dual_add_f32 v4, v4, v7 :: v_dual_add_f32 v1, v1, v9
	v_dual_add_f32 v0, v4, v0 :: v_dual_add_f32 v1, v1, v11
	s_delay_alu instid0(VALU_DEP_1)
	v_add_f32_e32 v1, v1, v6
	ds_store_b64 v94, v[0:1]
	s_wait_loadcnt_dscnt 0x0
	s_barrier_signal -1
	s_barrier_wait -1
	global_inv scope:SCOPE_SE
	s_and_saveexec_b32 s23, s21
	s_cbranch_execz .LBB42_92
; %bb.91:                               ;   in Loop: Header=BB42_4 Depth=1
	ds_load_2addr_b64 v[4:7], v91 offset1:7
	ds_load_2addr_b64 v[8:11], v91 offset0:1 offset1:2
	ds_load_2addr_b64 v[12:15], v91 offset0:3 offset1:4
	;; [unrolled: 1-line block ×3, first 2 shown]
	s_wait_dscnt 0x2
	v_dual_add_f32 v0, v8, v4 :: v_dual_add_f32 v1, v9, v5
	s_delay_alu instid0(VALU_DEP_1) | instskip(SKIP_1) | instid1(VALU_DEP_1)
	v_dual_add_f32 v0, v10, v0 :: v_dual_add_f32 v1, v11, v1
	s_wait_dscnt 0x1
	v_dual_add_f32 v0, v0, v12 :: v_dual_add_f32 v1, v1, v13
	s_delay_alu instid0(VALU_DEP_1) | instskip(SKIP_1) | instid1(VALU_DEP_1)
	v_dual_add_f32 v0, v0, v14 :: v_dual_add_f32 v1, v1, v15
	s_wait_dscnt 0x0
	v_dual_add_f32 v0, v0, v18 :: v_dual_add_f32 v1, v1, v19
	s_delay_alu instid0(VALU_DEP_1) | instskip(NEXT) | instid1(VALU_DEP_1)
	v_dual_add_f32 v0, v0, v20 :: v_dual_add_f32 v1, v1, v21
	v_dual_add_f32 v48, v0, v6 :: v_dual_add_f32 v49, v1, v7
.LBB42_92:                              ;   in Loop: Header=BB42_4 Depth=1
	s_wait_alu 0xfffe
	s_or_b32 exec_lo, exec_lo, s23
	v_add_co_u32 v18, vcc_lo, v2, s70
	s_wait_alu 0xfffd
	v_add_co_ci_u32_e64 v19, null, s71, v3, vcc_lo
	s_and_not1_b32 vcc_lo, exec_lo, s80
	s_mov_b32 s23, -1
	s_wait_loadcnt 0x0
	s_barrier_signal -1
	s_barrier_wait -1
	global_inv scope:SCOPE_SE
	s_wait_alu 0xfffe
	s_cbranch_vccnz .LBB42_94
; %bb.93:                               ;   in Loop: Header=BB42_4 Depth=1
	s_lshl_b64 s[76:77], s[50:51], 3
	s_mov_b32 s23, 0
	s_wait_alu 0xfffe
	v_add_co_u32 v0, vcc_lo, v18, s76
	s_wait_alu 0xfffd
	v_add_co_ci_u32_e64 v1, null, s77, v19, vcc_lo
	s_delay_alu instid0(VALU_DEP_2) | instskip(SKIP_1) | instid1(VALU_DEP_2)
	v_add_co_u32 v2, vcc_lo, v0, s56
	s_wait_alu 0xfffd
	v_add_co_ci_u32_e64 v3, null, s57, v1, vcc_lo
	s_delay_alu instid0(VALU_DEP_2) | instskip(SKIP_1) | instid1(VALU_DEP_2)
	v_add_co_u32 v4, vcc_lo, v2, s56
	s_wait_alu 0xfffd
	v_add_co_ci_u32_e64 v5, null, s57, v3, vcc_lo
	s_clause 0x3
	flat_load_b64 v[6:7], v[18:19]
	flat_load_b64 v[0:1], v[0:1]
	;; [unrolled: 1-line block ×4, first 2 shown]
	s_wait_loadcnt_dscnt 0x303
	ds_store_b64 v103, v[6:7]
	s_wait_loadcnt_dscnt 0x203
	ds_store_b64 v103, v[0:1] offset:2112
	s_wait_loadcnt_dscnt 0x103
	ds_store_b64 v103, v[2:3] offset:4224
	;; [unrolled: 2-line block ×3, first 2 shown]
.LBB42_94:                              ;   in Loop: Header=BB42_4 Depth=1
	s_and_not1_b32 vcc_lo, exec_lo, s23
	s_wait_alu 0xfffe
	s_cbranch_vccnz .LBB42_106
; %bb.95:                               ;   in Loop: Header=BB42_4 Depth=1
	s_and_saveexec_b32 s23, s3
	s_wait_alu 0xfffe
	s_xor_b32 s23, exec_lo, s23
; %bb.96:                               ;   in Loop: Header=BB42_4 Depth=1
	v_mov_b32_e32 v32, v33
	ds_store_b64 v103, v[32:33]
; %bb.97:                               ;   in Loop: Header=BB42_4 Depth=1
	s_wait_alu 0xfffe
	s_or_saveexec_b32 s23, s23
	v_add_co_u32 v0, vcc_lo, v18, v38
	s_wait_alu 0xfffd
	v_add_co_ci_u32_e64 v1, null, v19, v39, vcc_lo
	s_lshl_b64 s[76:77], s[44:45], 3
	s_wait_alu 0xfffe
	v_add_co_u32 v0, vcc_lo, v0, s76
	s_wait_alu 0xfffd
	v_add_co_ci_u32_e64 v1, null, s77, v1, vcc_lo
	s_delay_alu instid0(VALU_DEP_2) | instskip(SKIP_1) | instid1(VALU_DEP_2)
	v_add_co_u32 v0, vcc_lo, 0xfffffef8, v0
	s_wait_alu 0xfffd
	v_add_co_ci_u32_e64 v1, null, -1, v1, vcc_lo
	s_delay_alu instid0(VALU_DEP_2) | instskip(NEXT) | instid1(VALU_DEP_2)
	v_cndmask_b32_e64 v0, v0, v18, s16
	v_cndmask_b32_e64 v1, v1, v19, s16
	s_xor_b32 exec_lo, exec_lo, s23
	s_cbranch_execnz .LBB42_131
; %bb.98:                               ;   in Loop: Header=BB42_4 Depth=1
	s_or_b32 exec_lo, exec_lo, s23
	s_and_saveexec_b32 s23, s4
	s_wait_alu 0xfffe
	s_xor_b32 s23, exec_lo, s23
	s_cbranch_execnz .LBB42_132
.LBB42_99:                              ;   in Loop: Header=BB42_4 Depth=1
	s_wait_alu 0xfffe
	s_and_not1_saveexec_b32 s23, s23
	s_cbranch_execnz .LBB42_133
.LBB42_100:                             ;   in Loop: Header=BB42_4 Depth=1
	s_wait_alu 0xfffe
	s_or_b32 exec_lo, exec_lo, s23
	s_and_saveexec_b32 s23, s5
	s_wait_alu 0xfffe
	s_xor_b32 s23, exec_lo, s23
	s_cbranch_execnz .LBB42_134
.LBB42_101:                             ;   in Loop: Header=BB42_4 Depth=1
	s_wait_alu 0xfffe
	s_and_not1_saveexec_b32 s23, s23
	s_cbranch_execnz .LBB42_135
.LBB42_102:                             ;   in Loop: Header=BB42_4 Depth=1
	s_wait_alu 0xfffe
	s_or_b32 exec_lo, exec_lo, s23
	s_and_saveexec_b32 s23, s6
	s_wait_alu 0xfffe
	s_xor_b32 s23, exec_lo, s23
	s_cbranch_execnz .LBB42_136
.LBB42_103:                             ;   in Loop: Header=BB42_4 Depth=1
	s_wait_alu 0xfffe
	s_and_not1_saveexec_b32 s23, s23
	s_cbranch_execz .LBB42_105
.LBB42_104:                             ;   in Loop: Header=BB42_4 Depth=1
	s_lshl_b64 s[76:77], s[54:55], 3
	s_wait_alu 0xfffe
	v_add_co_u32 v2, vcc_lo, v0, s76
	s_wait_alu 0xfffd
	v_add_co_ci_u32_e64 v3, null, s77, v1, vcc_lo
	flat_load_b64 v[2:3], v[2:3]
	s_wait_loadcnt_dscnt 0x0
	ds_store_b64 v103, v[2:3] offset:6336
.LBB42_105:                             ;   in Loop: Header=BB42_4 Depth=1
	s_wait_alu 0xfffe
	s_or_b32 exec_lo, exec_lo, s23
	v_add_co_u32 v0, vcc_lo, v0, v108
	s_wait_alu 0xfffd
	v_add_co_ci_u32_e64 v1, null, 0, v1, vcc_lo
	s_lshl_b64 s[76:77], s[58:59], 3
	s_wait_alu 0xfffe
	v_add_co_u32 v0, vcc_lo, v0, s76
	s_wait_alu 0xfffd
	v_add_co_ci_u32_e64 v1, null, s77, v1, vcc_lo
	s_delay_alu instid0(VALU_DEP_2) | instskip(SKIP_1) | instid1(VALU_DEP_2)
	v_add_co_u32 v0, vcc_lo, 0x108, v0
	s_wait_alu 0xfffd
	v_add_co_ci_u32_e64 v1, null, 0, v1, vcc_lo
	s_delay_alu instid0(VALU_DEP_2) | instskip(NEXT) | instid1(VALU_DEP_2)
	v_cndmask_b32_e64 v18, v0, v18, s16
	v_cndmask_b32_e64 v19, v1, v19, s16
.LBB42_106:                             ;   in Loop: Header=BB42_4 Depth=1
	s_wait_loadcnt_dscnt 0x0
	s_barrier_signal -1
	s_barrier_wait -1
	global_inv scope:SCOPE_SE
	ds_load_b64 v[24:25], v106
	ds_load_b64 v[26:27], v103
	ds_load_b64 v[28:29], v103 offset:2112
	ds_load_2addr_b64 v[20:23], v102 offset0:8 offset1:16
	ds_load_b64 v[30:31], v103 offset:6336
	ds_load_b64 v[50:51], v103 offset:4224
	;; [unrolled: 1-line block ×3, first 2 shown]
	ds_load_b128 v[8:11], v93 offset:256
	ds_load_b128 v[0:3], v93 offset:272
	ds_load_2addr_b64 v[12:15], v95 offset1:1
	ds_load_2addr_b64 v[4:7], v95 offset0:2 offset1:3
	s_wait_loadcnt_dscnt 0x0
	s_barrier_signal -1
	s_barrier_wait -1
	global_inv scope:SCOPE_SE
	v_mul_f32_e32 v32, v25, v27
	v_dual_mul_f32 v27, v24, v27 :: v_dual_mul_f32 v54, v21, v29
	v_mul_f32_e32 v29, v20, v29
	s_delay_alu instid0(VALU_DEP_3) | instskip(SKIP_1) | instid1(VALU_DEP_4)
	v_fma_f32 v24, v24, v26, -v32
	v_mul_f32_e32 v56, v53, v31
	v_dual_fmac_f32 v27, v25, v26 :: v_dual_mul_f32 v26, v52, v31
	v_fma_f32 v20, v20, v28, -v54
	v_fmac_f32_e32 v29, v21, v28
	v_add_f32_e32 v21, 0, v24
	v_mul_f32_e32 v55, v23, v51
	v_dual_mul_f32 v25, v22, v51 :: v_dual_fmac_f32 v26, v53, v30
	v_add_f32_e32 v24, 0, v27
	s_delay_alu instid0(VALU_DEP_4) | instskip(NEXT) | instid1(VALU_DEP_4)
	v_add_f32_e32 v20, v21, v20
	v_fma_f32 v22, v22, v50, -v55
	s_delay_alu instid0(VALU_DEP_3) | instskip(NEXT) | instid1(VALU_DEP_2)
	v_add_f32_e32 v21, v24, v29
	v_add_f32_e32 v20, v20, v22
	v_fmac_f32_e32 v25, v23, v50
	v_fma_f32 v23, v52, v30, -v56
	s_delay_alu instid0(VALU_DEP_1) | instskip(NEXT) | instid1(VALU_DEP_1)
	v_dual_add_f32 v20, v20, v23 :: v_dual_add_f32 v21, v21, v25
	v_add_f32_e32 v21, v21, v26
	ds_store_b64 v94, v[20:21]
	s_wait_loadcnt_dscnt 0x0
	s_barrier_signal -1
	s_barrier_wait -1
	global_inv scope:SCOPE_SE
	s_and_saveexec_b32 s23, s21
	s_cbranch_execz .LBB42_108
; %bb.107:                              ;   in Loop: Header=BB42_4 Depth=1
	ds_load_2addr_b64 v[20:23], v91 offset1:1
	ds_load_2addr_b64 v[24:27], v91 offset0:2 offset1:3
	ds_load_2addr_b64 v[28:31], v91 offset0:4 offset1:5
	s_wait_dscnt 0x2
	v_dual_add_f32 v20, v48, v20 :: v_dual_add_f32 v21, v49, v21
	s_delay_alu instid0(VALU_DEP_1) | instskip(SKIP_1) | instid1(VALU_DEP_1)
	v_add_f32_e32 v48, v21, v23
	s_wait_dscnt 0x1
	v_add_f32_e32 v25, v48, v25
	s_delay_alu instid0(VALU_DEP_3) | instskip(SKIP_3) | instid1(VALU_DEP_1)
	v_add_f32_e32 v32, v20, v22
	ds_load_2addr_b64 v[20:23], v91 offset0:6 offset1:7
	v_dual_add_f32 v25, v25, v27 :: v_dual_add_f32 v24, v32, v24
	s_wait_dscnt 0x1
	v_dual_add_f32 v25, v25, v29 :: v_dual_add_f32 v24, v24, v26
	s_delay_alu instid0(VALU_DEP_1) | instskip(SKIP_1) | instid1(VALU_DEP_1)
	v_dual_add_f32 v25, v25, v31 :: v_dual_add_f32 v24, v24, v28
	s_wait_dscnt 0x0
	v_dual_add_f32 v21, v25, v21 :: v_dual_add_f32 v24, v24, v30
	s_delay_alu instid0(VALU_DEP_1) | instskip(NEXT) | instid1(VALU_DEP_1)
	v_dual_add_f32 v49, v21, v23 :: v_dual_add_f32 v20, v24, v20
	v_add_f32_e32 v48, v20, v22
.LBB42_108:                             ;   in Loop: Header=BB42_4 Depth=1
	s_wait_alu 0xfffe
	s_or_b32 exec_lo, exec_lo, s23
	v_dual_mul_f32 v20, v13, v9 :: v_dual_mul_f32 v21, v15, v11
	v_dual_mul_f32 v15, v15, v10 :: v_dual_mul_f32 v22, v5, v1
	s_wait_loadcnt 0x0
	s_delay_alu instid0(VALU_DEP_2) | instskip(NEXT) | instid1(VALU_DEP_2)
	v_dual_fmac_f32 v20, v12, v8 :: v_dual_fmac_f32 v21, v14, v10
	v_fma_f32 v11, v14, v11, -v15
	v_mul_f32_e32 v5, v5, v0
	v_fmac_f32_e32 v22, v4, v0
	s_delay_alu instid0(VALU_DEP_4)
	v_add_f32_e32 v10, 0, v20
	v_mul_f32_e32 v13, v13, v8
	s_barrier_signal -1
	v_fma_f32 v1, v4, v1, -v5
	s_barrier_wait -1
	v_add_f32_e32 v0, v10, v21
	v_fma_f32 v8, v12, v9, -v13
	v_mul_f32_e32 v9, v7, v3
	global_inv scope:SCOPE_SE
	v_dual_mul_f32 v7, v7, v2 :: v_dual_add_f32 v8, 0, v8
	v_fmac_f32_e32 v9, v6, v2
	v_add_f32_e32 v0, v0, v22
	s_delay_alu instid0(VALU_DEP_3) | instskip(NEXT) | instid1(VALU_DEP_4)
	v_fma_f32 v2, v6, v3, -v7
	v_add_f32_e32 v4, v8, v11
	s_delay_alu instid0(VALU_DEP_1) | instskip(NEXT) | instid1(VALU_DEP_1)
	v_add_f32_e32 v1, v4, v1
	v_dual_add_f32 v0, v0, v9 :: v_dual_add_f32 v1, v1, v2
	ds_store_b64 v94, v[0:1]
	s_wait_loadcnt_dscnt 0x0
	s_barrier_signal -1
	s_barrier_wait -1
	global_inv scope:SCOPE_SE
	s_and_saveexec_b32 s23, s15
	s_cbranch_execz .LBB42_110
; %bb.109:                              ;   in Loop: Header=BB42_4 Depth=1
	ds_load_2addr_b64 v[0:3], v91 offset1:1
	ds_load_2addr_b64 v[4:7], v91 offset0:2 offset1:3
	ds_load_2addr_b64 v[8:11], v91 offset0:4 offset1:5
	s_wait_dscnt 0x2
	v_dual_add_f32 v0, v48, v0 :: v_dual_add_f32 v1, v49, v1
	s_delay_alu instid0(VALU_DEP_1) | instskip(SKIP_3) | instid1(VALU_DEP_1)
	v_dual_add_f32 v12, v0, v2 :: v_dual_add_f32 v13, v1, v3
	ds_load_2addr_b64 v[0:3], v91 offset0:6 offset1:7
	s_wait_dscnt 0x2
	v_dual_add_f32 v4, v12, v4 :: v_dual_add_f32 v5, v13, v5
	v_dual_add_f32 v4, v4, v6 :: v_dual_add_f32 v5, v5, v7
	s_wait_dscnt 0x1
	s_delay_alu instid0(VALU_DEP_1) | instskip(NEXT) | instid1(VALU_DEP_1)
	v_dual_add_f32 v4, v4, v8 :: v_dual_add_f32 v5, v5, v9
	v_dual_add_f32 v4, v4, v10 :: v_dual_add_f32 v5, v5, v11
	s_wait_dscnt 0x0
	s_delay_alu instid0(VALU_DEP_1) | instskip(NEXT) | instid1(VALU_DEP_1)
	v_dual_add_f32 v0, v4, v0 :: v_dual_add_f32 v1, v5, v1
	v_dual_add_f32 v48, v0, v2 :: v_dual_add_f32 v49, v1, v3
.LBB42_110:                             ;   in Loop: Header=BB42_4 Depth=1
	s_wait_alu 0xfffe
	s_or_b32 exec_lo, exec_lo, s23
	s_mul_u64 s[76:77], s[46:47], s[34:35]
	s_and_not1_b32 vcc_lo, exec_lo, s81
	s_wait_alu 0xfffe
	s_lshl_b64 s[76:77], s[76:77], 3
	s_wait_loadcnt 0x0
	s_wait_alu 0xfffe
	s_add_nc_u64 s[76:77], s[48:49], s[76:77]
	s_barrier_signal -1
	s_barrier_wait -1
	global_inv scope:SCOPE_SE
	s_cbranch_vccnz .LBB42_117
; %bb.111:                              ;   in Loop: Header=BB42_4 Depth=1
	v_add_co_u32 v0, vcc_lo, v18, s74
	s_wait_alu 0xfffd
	v_add_co_ci_u32_e64 v1, null, s75, v19, vcc_lo
	s_lshl_b64 s[78:79], s[44:45], 3
	v_add_co_u32 v0, vcc_lo, v0, v40
	s_wait_alu 0xfffd
	v_add_co_ci_u32_e64 v1, null, v1, v41, vcc_lo
	v_mov_b32_e32 v32, v84
	s_delay_alu instid0(VALU_DEP_3) | instskip(SKIP_1) | instid1(VALU_DEP_3)
	v_add_co_u32 v0, vcc_lo, v0, v42
	s_wait_alu 0xfffd
	v_add_co_ci_u32_e64 v1, null, v1, v43, vcc_lo
	s_mov_b32 s23, ttmp9
	v_add_co_u32 v2, vcc_lo, v0, v44
	s_wait_alu 0xfffd
	v_add_co_ci_u32_e64 v3, null, v1, v45, vcc_lo
	s_wait_alu 0xfffe
	s_delay_alu instid0(VALU_DEP_2) | instskip(SKIP_1) | instid1(VALU_DEP_2)
	v_add_co_u32 v2, vcc_lo, v2, s78
	s_wait_alu 0xfffd
	v_add_co_ci_u32_e64 v3, null, s79, v3, vcc_lo
	v_add_co_u32 v0, vcc_lo, 0xffffff00, v0
	s_wait_alu 0xfffd
	v_add_co_ci_u32_e64 v1, null, -1, v1, vcc_lo
	v_add_co_u32 v2, vcc_lo, 0xfffffef8, v2
	s_wait_alu 0xfffd
	v_add_co_ci_u32_e64 v3, null, -1, v3, vcc_lo
	v_add_co_u32 v109, vcc_lo, v16, s72
	s_wait_alu 0xfffd
	v_add_co_ci_u32_e64 v110, null, s73, v17, vcc_lo
	s_delay_alu instid0(VALU_DEP_3)
	v_cndmask_b32_e64 v1, v1, v3, s1
	v_cndmask_b32_e64 v0, v0, v2, s1
	s_mov_b32 s78, 0
	s_branch .LBB42_113
.LBB42_112:                             ;   in Loop: Header=BB42_113 Depth=2
	s_wait_alu 0xfffe
	s_or_b32 exec_lo, exec_lo, s79
	v_mul_f32_e32 v111, v51, v1
	v_dual_mul_f32 v1, v50, v1 :: v_dual_mul_f32 v112, v55, v3
	v_mul_f32_e32 v3, v54, v3
	s_add_co_i32 s23, s23, -1
	s_delay_alu instid0(VALU_DEP_3) | instskip(NEXT) | instid1(VALU_DEP_3)
	v_fma_f32 v50, v50, v0, -v111
	v_fmac_f32_e32 v1, v51, v0
	v_fma_f32 v54, v54, v2, -v112
	s_add_co_i32 s78, s78, s82
	s_wait_alu 0xfffe
	s_cmp_eq_u32 s23, 0
	v_dual_add_f32 v48, v48, v50 :: v_dual_mul_f32 v113, v57, v5
	v_dual_mul_f32 v50, v65, v13 :: v_dual_fmac_f32 v3, v55, v2
	v_mul_f32_e32 v5, v56, v5
	s_delay_alu instid0(VALU_DEP_3) | instskip(NEXT) | instid1(VALU_DEP_4)
	v_add_f32_e32 v48, v48, v54
	v_fma_f32 v0, v56, v4, -v113
	v_mul_f32_e32 v111, v53, v7
	v_mul_f32_e32 v7, v52, v7
	;; [unrolled: 1-line block ×3, first 2 shown]
	s_wait_loadcnt 0x0
	s_wait_storecnt 0x0
	v_add_f32_e32 v0, v48, v0
	v_fma_f32 v2, v52, v6, -v111
	s_barrier_signal -1
	s_barrier_wait -1
	global_inv scope:SCOPE_SE
	v_add_nc_u32_e32 v32, 64, v32
	v_dual_add_f32 v0, v0, v2 :: v_dual_add_f32 v1, v49, v1
	v_mul_f32_e32 v2, v61, v9
	v_dual_fmac_f32 v7, v53, v6 :: v_dual_mul_f32 v6, v76, v31
	s_delay_alu instid0(VALU_DEP_3) | instskip(SKIP_1) | instid1(VALU_DEP_4)
	v_add_f32_e32 v1, v1, v3
	v_fma_f32 v3, v64, v12, -v50
	v_fma_f32 v2, v60, v8, -v2
	s_delay_alu instid0(VALU_DEP_4) | instskip(NEXT) | instid1(VALU_DEP_3)
	v_fmac_f32_e32 v6, v77, v30
	v_add_f32_e32 v0, v0, v3
	v_mul_f32_e32 v51, v63, v15
	v_mul_f32_e32 v3, v59, v11
	s_delay_alu instid0(VALU_DEP_1) | instskip(SKIP_1) | instid1(VALU_DEP_4)
	v_fma_f32 v3, v58, v10, -v3
	v_fmac_f32_e32 v5, v57, v4
	v_fma_f32 v4, v62, v14, -v51
	s_delay_alu instid0(VALU_DEP_1) | instskip(SKIP_1) | instid1(VALU_DEP_2)
	v_dual_add_f32 v0, v0, v4 :: v_dual_mul_f32 v15, v62, v15
	v_mul_f32_e32 v4, v60, v9
	v_add_f32_e32 v0, v0, v2
	s_delay_alu instid0(VALU_DEP_3) | instskip(NEXT) | instid1(VALU_DEP_3)
	v_dual_mul_f32 v2, v73, v17 :: v_dual_fmac_f32 v15, v63, v14
	v_fmac_f32_e32 v4, v61, v8
	s_delay_alu instid0(VALU_DEP_3) | instskip(NEXT) | instid1(VALU_DEP_3)
	v_add_f32_e32 v0, v0, v3
	v_fma_f32 v2, v72, v16, -v2
	v_mul_f32_e32 v3, v71, v19
	s_delay_alu instid0(VALU_DEP_2) | instskip(NEXT) | instid1(VALU_DEP_2)
	v_dual_add_f32 v1, v1, v5 :: v_dual_add_f32 v0, v0, v2
	v_fma_f32 v2, v70, v18, -v3
	v_mul_f32_e32 v3, v69, v21
	s_delay_alu instid0(VALU_DEP_2) | instskip(NEXT) | instid1(VALU_DEP_2)
	v_dual_fmac_f32 v13, v65, v12 :: v_dual_add_f32 v0, v0, v2
	v_fma_f32 v2, v68, v20, -v3
	v_add_f32_e32 v1, v1, v7
	s_delay_alu instid0(VALU_DEP_2) | instskip(NEXT) | instid1(VALU_DEP_1)
	v_dual_mul_f32 v3, v67, v23 :: v_dual_add_f32 v0, v0, v2
	v_fma_f32 v2, v66, v22, -v3
	s_delay_alu instid0(VALU_DEP_3) | instskip(NEXT) | instid1(VALU_DEP_2)
	v_add_f32_e32 v1, v1, v13
	v_dual_mul_f32 v3, v83, v25 :: v_dual_add_f32 v0, v0, v2
	s_delay_alu instid0(VALU_DEP_2) | instskip(NEXT) | instid1(VALU_DEP_2)
	v_add_f32_e32 v1, v1, v15
	v_fma_f32 v2, v82, v24, -v3
	v_mul_f32_e32 v5, v58, v11
	v_mul_f32_e32 v3, v81, v27
	s_delay_alu instid0(VALU_DEP_4) | instskip(NEXT) | instid1(VALU_DEP_4)
	v_dual_add_f32 v1, v1, v4 :: v_dual_mul_f32 v4, v72, v17
	v_add_f32_e32 v0, v0, v2
	s_delay_alu instid0(VALU_DEP_4) | instskip(NEXT) | instid1(VALU_DEP_4)
	v_fmac_f32_e32 v5, v59, v10
	v_fma_f32 v2, v80, v26, -v3
	s_delay_alu instid0(VALU_DEP_4) | instskip(NEXT) | instid1(VALU_DEP_2)
	v_dual_mul_f32 v3, v80, v27 :: v_dual_fmac_f32 v4, v73, v16
	v_add_f32_e32 v0, v0, v2
	v_mul_f32_e32 v2, v78, v29
	v_add_f32_e32 v1, v1, v5
	v_mul_f32_e32 v5, v70, v19
	s_delay_alu instid0(VALU_DEP_3) | instskip(NEXT) | instid1(VALU_DEP_3)
	v_dual_fmac_f32 v3, v81, v26 :: v_dual_fmac_f32 v2, v79, v28
	v_add_f32_e32 v1, v1, v4
	s_delay_alu instid0(VALU_DEP_3) | instskip(NEXT) | instid1(VALU_DEP_1)
	v_dual_fmac_f32 v5, v71, v18 :: v_dual_mul_f32 v4, v68, v21
	v_add_f32_e32 v1, v1, v5
	s_delay_alu instid0(VALU_DEP_2) | instskip(NEXT) | instid1(VALU_DEP_1)
	v_dual_fmac_f32 v4, v69, v20 :: v_dual_mul_f32 v5, v66, v23
	v_add_f32_e32 v1, v1, v4
	s_delay_alu instid0(VALU_DEP_2) | instskip(NEXT) | instid1(VALU_DEP_1)
	v_dual_fmac_f32 v5, v67, v22 :: v_dual_mul_f32 v4, v82, v25
	v_dual_add_f32 v1, v1, v5 :: v_dual_fmac_f32 v4, v83, v24
	v_mul_f32_e32 v5, v79, v29
	s_delay_alu instid0(VALU_DEP_2) | instskip(NEXT) | instid1(VALU_DEP_2)
	v_add_f32_e32 v1, v1, v4
	v_fma_f32 v4, v78, v28, -v5
	v_mul_f32_e32 v5, v77, v31
	s_delay_alu instid0(VALU_DEP_2) | instskip(NEXT) | instid1(VALU_DEP_2)
	v_dual_add_f32 v1, v1, v3 :: v_dual_add_f32 v0, v0, v4
	v_fma_f32 v3, v76, v30, -v5
	s_delay_alu instid0(VALU_DEP_1) | instskip(SKIP_1) | instid1(VALU_DEP_2)
	v_dual_add_f32 v1, v1, v2 :: v_dual_add_f32 v48, v0, v3
	v_add_co_u32 v0, vcc_lo, v74, s62
	v_add_f32_e32 v49, v1, v6
	s_wait_alu 0xfffd
	v_add_co_ci_u32_e64 v1, null, s63, v75, vcc_lo
	s_cbranch_scc1 .LBB42_117
.LBB42_113:                             ;   Parent Loop BB42_4 Depth=1
                                        ; =>  This Inner Loop Header: Depth=2
	s_and_saveexec_b32 s84, s0
	s_cbranch_execz .LBB42_115
; %bb.114:                              ;   in Loop: Header=BB42_113 Depth=2
	s_wait_alu 0xfffe
	s_ashr_i32 s79, s78, 31
	v_add_nc_u32_e32 v4, 0x2180, v85
	s_wait_alu 0xfffe
	s_lshl_b64 s[86:87], s[78:79], 3
	s_wait_alu 0xfffe
	v_add_co_u32 v2, vcc_lo, v109, s86
	s_wait_alu 0xfffd
	v_add_co_ci_u32_e64 v3, null, s87, v110, vcc_lo
	flat_load_b64 v[2:3], v[2:3]
	s_wait_loadcnt_dscnt 0x0
	ds_store_b64 v4, v[2:3]
.LBB42_115:                             ;   in Loop: Header=BB42_113 Depth=2
	s_or_b32 exec_lo, exec_lo, s84
	v_add_co_u32 v2, vcc_lo, v0, s60
	s_wait_alu 0xfffd
	v_add_co_ci_u32_e64 v3, null, s61, v1, vcc_lo
	s_wait_loadcnt_dscnt 0x0
	s_barrier_signal -1
	s_barrier_wait -1
	global_inv scope:SCOPE_SE
	s_clause 0x1
	flat_load_b64 v[50:51], v[0:1]
	flat_load_b64 v[54:55], v[2:3]
	v_add_co_u32 v0, vcc_lo, v2, s60
	s_wait_alu 0xfffd
	v_add_co_ci_u32_e64 v1, null, s61, v3, vcc_lo
	s_delay_alu instid0(VALU_DEP_2) | instskip(SKIP_1) | instid1(VALU_DEP_2)
	v_add_co_u32 v8, vcc_lo, v0, s60
	s_wait_alu 0xfffd
	v_add_co_ci_u32_e64 v9, null, s61, v1, vcc_lo
	s_clause 0x1
	flat_load_b64 v[56:57], v[0:1]
	flat_load_b64 v[52:53], v[8:9]
	ds_load_b64 v[10:11], v86
	ds_load_b128 v[0:3], v96
	ds_load_b128 v[4:7], v96 offset:16
	v_add_co_u32 v8, vcc_lo, v8, s62
	s_wait_alu 0xfffd
	v_add_co_ci_u32_e64 v9, null, s63, v9, vcc_lo
	s_delay_alu instid0(VALU_DEP_2) | instskip(SKIP_1) | instid1(VALU_DEP_2)
	v_add_co_u32 v16, vcc_lo, v8, s60
	s_wait_alu 0xfffd
	v_add_co_ci_u32_e64 v17, null, s61, v9, vcc_lo
	s_wait_loadcnt_dscnt 0x302
	v_mul_f32_e32 v12, v51, v11
	v_mul_f32_e32 v13, v51, v10
	s_wait_loadcnt 0x2
	v_mul_f32_e32 v14, v55, v11
	s_wait_loadcnt 0x1
	v_dual_mul_f32 v15, v55, v10 :: v_dual_mul_f32 v18, v57, v11
	s_wait_loadcnt 0x0
	v_mul_f32_e32 v20, v53, v11
	v_mul_f32_e32 v19, v57, v10
	v_mul_f32_e32 v21, v53, v10
	v_fmac_f32_e32 v12, v50, v10
	v_fma_f32 v13, v50, v11, -v13
	v_fmac_f32_e32 v14, v54, v10
	v_fma_f32 v15, v54, v11, -v15
	v_fmac_f32_e32 v18, v56, v10
	v_fmac_f32_e32 v20, v52, v10
	v_add_co_u32 v10, vcc_lo, v16, s60
	v_fma_f32 v19, v56, v11, -v19
	v_fma_f32 v21, v52, v11, -v21
	s_wait_alu 0xfffd
	v_add_co_ci_u32_e64 v11, null, s61, v17, vcc_lo
	ds_store_2addr_b64 v97, v[12:13], v[14:15] offset1:67
	ds_store_2addr_b64 v97, v[18:19], v[20:21] offset0:134 offset1:201
	s_wait_dscnt 0x0
	s_barrier_signal -1
	s_barrier_wait -1
	global_inv scope:SCOPE_SE
	ds_load_2addr_b64 v[24:27], v98 offset1:1
	ds_load_2addr_b64 v[28:31], v98 offset0:2 offset1:3
	s_wait_loadcnt_dscnt 0x0
	s_barrier_signal -1
	s_barrier_wait -1
	global_inv scope:SCOPE_SE
	flat_load_b64 v[64:65], v[8:9]
	v_add_co_u32 v8, vcc_lo, v10, s60
	s_wait_alu 0xfffd
	v_add_co_ci_u32_e64 v9, null, s61, v11, vcc_lo
	s_clause 0x2
	flat_load_b64 v[62:63], v[16:17]
	flat_load_b64 v[60:61], v[10:11]
	;; [unrolled: 1-line block ×3, first 2 shown]
	ds_load_b64 v[10:11], v86
	ds_load_b128 v[12:15], v96 offset:128
	v_add_co_u32 v16, vcc_lo, v8, s62
	s_wait_alu 0xfffd
	v_add_co_ci_u32_e64 v17, null, s63, v9, vcc_lo
	v_add_f32_e32 v25, 0, v25
	s_delay_alu instid0(VALU_DEP_3) | instskip(SKIP_1) | instid1(VALU_DEP_3)
	v_add_co_u32 v18, vcc_lo, v16, s60
	s_wait_alu 0xfffd
	v_add_co_ci_u32_e64 v19, null, s61, v17, vcc_lo
	s_delay_alu instid0(VALU_DEP_3) | instskip(NEXT) | instid1(VALU_DEP_3)
	v_add_f32_e32 v25, v25, v27
	v_add_co_u32 v74, vcc_lo, v18, s60
	s_wait_alu 0xfffd
	s_delay_alu instid0(VALU_DEP_3) | instskip(NEXT) | instid1(VALU_DEP_3)
	v_add_co_ci_u32_e64 v75, null, s61, v19, vcc_lo
	v_add_f32_e32 v25, v25, v29
	s_wait_loadcnt_dscnt 0x301
	v_mul_f32_e32 v20, v65, v11
	v_mul_f32_e32 v8, v65, v10
	s_wait_loadcnt 0x1
	v_dual_mul_f32 v22, v63, v11 :: v_dual_mul_f32 v67, v61, v10
	v_dual_mul_f32 v9, v63, v10 :: v_dual_mul_f32 v66, v61, v11
	s_wait_loadcnt 0x0
	v_mul_f32_e32 v69, v59, v10
	v_mul_f32_e32 v68, v59, v11
	v_fmac_f32_e32 v20, v64, v10
	v_fma_f32 v21, v64, v11, -v8
	v_fmac_f32_e32 v22, v62, v10
	v_fma_f32 v23, v62, v11, -v9
	;; [unrolled: 2-line block ×4, first 2 shown]
	ds_load_b128 v[8:11], v96 offset:144
	ds_store_2addr_b64 v97, v[20:21], v[22:23] offset1:67
	ds_store_2addr_b64 v97, v[66:67], v[68:69] offset0:134 offset1:201
	s_wait_dscnt 0x0
	s_barrier_signal -1
	s_barrier_wait -1
	global_inv scope:SCOPE_SE
	ds_load_2addr_b64 v[111:114], v98 offset1:1
	ds_load_2addr_b64 v[115:118], v98 offset0:2 offset1:3
	s_wait_loadcnt_dscnt 0x0
	s_barrier_signal -1
	s_barrier_wait -1
	global_inv scope:SCOPE_SE
	flat_load_b64 v[72:73], v[16:17]
	v_add_co_u32 v16, vcc_lo, v74, s60
	s_wait_alu 0xfffd
	v_add_co_ci_u32_e64 v17, null, s61, v75, vcc_lo
	s_clause 0x1
	flat_load_b64 v[70:71], v[18:19]
	flat_load_b64 v[68:69], v[74:75]
	;; [unrolled: 1-line block ×3, first 2 shown]
	ds_load_b64 v[20:21], v86
	v_add_f32_e32 v24, 0, v24
	v_add_co_u32 v74, vcc_lo, v16, s62
	s_wait_alu 0xfffd
	v_add_co_ci_u32_e64 v75, null, s63, v17, vcc_lo
	s_delay_alu instid0(VALU_DEP_3) | instskip(NEXT) | instid1(VALU_DEP_3)
	v_add_f32_e32 v24, v24, v26
	v_add_co_u32 v76, vcc_lo, v74, s60
	ds_load_b128 v[16:19], v96 offset:256
	s_wait_alu 0xfffd
	v_add_co_ci_u32_e64 v77, null, s61, v75, vcc_lo
	v_add_f32_e32 v24, v24, v28
	v_add_co_u32 v127, vcc_lo, v76, s60
	s_wait_alu 0xfffd
	s_delay_alu instid0(VALU_DEP_3) | instskip(NEXT) | instid1(VALU_DEP_3)
	v_add_co_ci_u32_e64 v128, null, s61, v77, vcc_lo
	v_dual_add_f32 v129, v24, v30 :: v_dual_add_f32 v24, 0, v111
	s_delay_alu instid0(VALU_DEP_1)
	v_add_f32_e32 v131, v24, v113
	s_wait_loadcnt_dscnt 0x301
	v_mul_f32_e32 v78, v73, v21
	v_mul_f32_e32 v22, v73, v20
	s_wait_loadcnt 0x2
	v_mul_f32_e32 v80, v71, v21
	s_wait_loadcnt 0x1
	v_dual_mul_f32 v23, v71, v20 :: v_dual_mul_f32 v82, v69, v21
	v_mul_f32_e32 v83, v69, v20
	s_wait_loadcnt 0x0
	v_mul_f32_e32 v119, v67, v21
	v_mul_f32_e32 v120, v67, v20
	v_fmac_f32_e32 v78, v72, v20
	v_fma_f32 v79, v72, v21, -v22
	v_fmac_f32_e32 v80, v70, v20
	v_fma_f32 v81, v70, v21, -v23
	;; [unrolled: 2-line block ×4, first 2 shown]
	ds_load_b128 v[20:23], v96 offset:272
	ds_store_2addr_b64 v97, v[78:79], v[80:81] offset1:67
	ds_store_2addr_b64 v97, v[82:83], v[119:120] offset0:134 offset1:201
	s_wait_dscnt 0x0
	s_barrier_signal -1
	s_barrier_wait -1
	global_inv scope:SCOPE_SE
	ds_load_2addr_b64 v[119:122], v98 offset1:1
	ds_load_2addr_b64 v[123:126], v98 offset0:2 offset1:3
	s_wait_loadcnt_dscnt 0x0
	s_barrier_signal -1
	s_barrier_wait -1
	global_inv scope:SCOPE_SE
	flat_load_b64 v[82:83], v[74:75]
	flat_load_b64 v[80:81], v[76:77]
	v_add_co_u32 v74, vcc_lo, v127, s60
	s_wait_alu 0xfffd
	v_add_co_ci_u32_e64 v75, null, s61, v128, vcc_lo
	flat_load_b64 v[78:79], v[127:128]
	flat_load_b64 v[76:77], v[74:75]
	ds_load_b64 v[127:128], v86
	v_add_f32_e32 v130, v25, v31
	v_dual_add_f32 v28, 0, v119 :: v_dual_add_f32 v29, 0, v120
	s_delay_alu instid0(VALU_DEP_1) | instskip(NEXT) | instid1(VALU_DEP_2)
	v_dual_add_f32 v133, v28, v121 :: v_dual_add_f32 v26, 0, v112
	v_add_f32_e32 v134, v29, v122
	s_delay_alu instid0(VALU_DEP_2)
	v_add_f32_e32 v132, v26, v114
	ds_load_b128 v[24:27], v96 offset:384
	s_wait_loadcnt_dscnt 0x301
	v_mul_f32_e32 v28, v83, v128
	v_mul_f32_e32 v29, v83, v127
	s_wait_loadcnt 0x2
	v_mul_f32_e32 v31, v81, v127
	v_mul_f32_e32 v30, v81, v128
	v_fmac_f32_e32 v28, v82, v127
	v_fma_f32 v29, v82, v128, -v29
	s_wait_loadcnt 0x1
	v_mul_f32_e32 v112, v79, v127
	v_mul_f32_e32 v111, v79, v128
	s_wait_loadcnt 0x0
	v_mul_f32_e32 v113, v77, v128
	v_mul_f32_e32 v114, v77, v127
	v_fma_f32 v31, v80, v128, -v31
	v_fma_f32 v112, v78, v128, -v112
	v_fmac_f32_e32 v30, v80, v127
	v_fmac_f32_e32 v111, v78, v127
	;; [unrolled: 1-line block ×3, first 2 shown]
	v_fma_f32 v114, v76, v128, -v114
	ds_store_2addr_b64 v97, v[28:29], v[30:31] offset1:67
	ds_load_b128 v[28:31], v96 offset:400
	ds_store_2addr_b64 v97, v[111:112], v[113:114] offset0:134 offset1:201
	s_wait_dscnt 0x0
	s_barrier_signal -1
	s_barrier_wait -1
	global_inv scope:SCOPE_SE
	ds_load_2addr_b64 v[111:114], v98 offset1:1
	ds_load_2addr_b64 v[119:122], v98 offset0:2 offset1:3
	s_wait_loadcnt_dscnt 0x0
	s_barrier_signal -1
	s_barrier_wait -1
	global_inv scope:SCOPE_SE
	v_add_f32_e32 v111, 0, v111
	s_delay_alu instid0(VALU_DEP_1) | instskip(SKIP_1) | instid1(VALU_DEP_1)
	v_add_f32_e32 v113, v111, v113
	v_add_f32_e32 v111, 0, v112
	;; [unrolled: 1-line block ×5, first 2 shown]
	s_delay_alu instid0(VALU_DEP_2) | instskip(SKIP_1) | instid1(VALU_DEP_3)
	v_add_f32_e32 v111, v111, v117
	v_dual_add_f32 v117, v113, v119 :: v_dual_add_f32 v112, v132, v116
	v_dual_add_f32 v116, v134, v124 :: v_dual_add_f32 v113, v115, v125
	s_delay_alu instid0(VALU_DEP_2) | instskip(SKIP_1) | instid1(VALU_DEP_3)
	v_dual_add_f32 v115, v117, v121 :: v_dual_add_f32 v112, v112, v118
	v_add_f32_e32 v118, v114, v120
	v_add_f32_e32 v114, v116, v126
	s_delay_alu instid0(VALU_DEP_2)
	v_add_f32_e32 v116, v118, v122
	ds_store_2addr_b64 v107, v[129:130], v[111:112] offset1:16
	ds_store_2addr_b64 v107, v[113:114], v[115:116] offset0:32 offset1:48
	s_wait_loadcnt_dscnt 0x0
	s_barrier_signal -1
	s_barrier_wait -1
	global_inv scope:SCOPE_SE
	s_and_saveexec_b32 s79, s22
	s_cbranch_execz .LBB42_112
; %bb.116:                              ;   in Loop: Header=BB42_113 Depth=2
	ds_load_b64 v[123:124], v99
	ds_load_2addr_b64 v[111:114], v99 offset0:1 offset1:2
	ds_load_2addr_b64 v[115:118], v99 offset0:3 offset1:4
	;; [unrolled: 1-line block ×3, first 2 shown]
	s_wait_dscnt 0x2
	v_dual_add_f32 v111, v111, v123 :: v_dual_add_f32 v112, v112, v124
	s_delay_alu instid0(VALU_DEP_1) | instskip(SKIP_3) | instid1(VALU_DEP_1)
	v_dual_add_f32 v123, v113, v111 :: v_dual_add_f32 v124, v114, v112
	ds_load_2addr_b64 v[111:114], v99 offset0:7 offset1:8
	s_wait_dscnt 0x2
	v_dual_add_f32 v115, v123, v115 :: v_dual_add_f32 v116, v124, v116
	v_dual_add_f32 v123, v115, v117 :: v_dual_add_f32 v124, v116, v118
	ds_load_2addr_b64 v[115:118], v99 offset0:9 offset1:10
	s_wait_dscnt 0x2
	v_dual_add_f32 v119, v123, v119 :: v_dual_add_f32 v120, v124, v120
	s_delay_alu instid0(VALU_DEP_1) | instskip(SKIP_3) | instid1(VALU_DEP_1)
	v_dual_add_f32 v123, v119, v121 :: v_dual_add_f32 v124, v120, v122
	ds_load_2addr_b64 v[119:122], v99 offset0:11 offset1:12
	s_wait_dscnt 0x2
	v_dual_add_f32 v111, v123, v111 :: v_dual_add_f32 v112, v124, v112
	v_dual_add_f32 v123, v111, v113 :: v_dual_add_f32 v124, v112, v114
	ds_load_2addr_b64 v[111:114], v99 offset0:13 offset1:14
	s_wait_dscnt 0x2
	v_dual_add_f32 v115, v123, v115 :: v_dual_add_f32 v116, v124, v116
	s_delay_alu instid0(VALU_DEP_1) | instskip(SKIP_3) | instid1(VALU_DEP_1)
	v_dual_add_f32 v117, v115, v117 :: v_dual_add_f32 v118, v116, v118
	ds_load_b64 v[115:116], v100
	s_wait_dscnt 0x2
	v_dual_add_f32 v117, v117, v119 :: v_dual_add_f32 v118, v118, v120
	v_dual_add_f32 v117, v117, v121 :: v_dual_add_f32 v118, v118, v122
	s_wait_dscnt 0x1
	s_delay_alu instid0(VALU_DEP_1) | instskip(NEXT) | instid1(VALU_DEP_1)
	v_dual_add_f32 v111, v117, v111 :: v_dual_add_f32 v112, v118, v112
	v_dual_add_f32 v113, v111, v113 :: v_dual_add_f32 v114, v112, v114
	v_lshlrev_b64_e32 v[111:112], 3, v[32:33]
	s_wait_dscnt 0x0
	s_delay_alu instid0(VALU_DEP_2) | instskip(SKIP_1) | instid1(VALU_DEP_2)
	v_dual_add_f32 v113, v113, v115 :: v_dual_add_f32 v114, v114, v116
	s_wait_alu 0xfffe
	v_add_co_u32 v111, vcc_lo, s76, v111
	s_wait_alu 0xfffd
	v_add_co_ci_u32_e64 v112, null, s77, v112, vcc_lo
	global_store_b64 v[111:112], v[113:114], off
	s_branch .LBB42_112
.LBB42_117:                             ;   in Loop: Header=BB42_4 Depth=1
	ds_store_b64 v101, v[48:49]
	s_wait_loadcnt_dscnt 0x0
	s_barrier_signal -1
	s_barrier_wait -1
	global_inv scope:SCOPE_SE
	s_and_saveexec_b32 s23, s83
	s_cbranch_execz .LBB42_2
; %bb.118:                              ;   in Loop: Header=BB42_4 Depth=1
	ds_load_2addr_b64 v[0:3], v85 offset1:67
	ds_load_2addr_b64 v[4:7], v85 offset0:134 offset1:201
	s_wait_dscnt 0x1
	v_dual_add_f32 v0, v2, v0 :: v_dual_add_f32 v1, v3, v1
	s_wait_alu 0xfffe
	v_add_co_u32 v2, vcc_lo, s76, v46
	s_wait_alu 0xfffd
	v_add_co_ci_u32_e64 v3, null, s77, v47, vcc_lo
	s_wait_dscnt 0x0
	v_dual_add_f32 v0, v4, v0 :: v_dual_add_f32 v1, v5, v1
	s_delay_alu instid0(VALU_DEP_1)
	v_dual_add_f32 v0, v0, v6 :: v_dual_add_f32 v1, v1, v7
	global_store_b64 v[2:3], v[0:1], off
	s_branch .LBB42_2
.LBB42_119:                             ;   in Loop: Header=BB42_4 Depth=1
	flat_load_b64 v[4:5], v[2:3]
	s_wait_loadcnt_dscnt 0x0
	ds_store_b64 v103, v[4:5]
	s_or_b32 exec_lo, exec_lo, s23
	s_and_saveexec_b32 s23, s4
	s_wait_alu 0xfffe
	s_xor_b32 s23, exec_lo, s23
	s_cbranch_execz .LBB42_19
.LBB42_120:                             ;   in Loop: Header=BB42_4 Depth=1
	v_mov_b32_e32 v32, v33
	ds_store_b64 v103, v[32:33] offset:2112
	s_wait_alu 0xfffe
	s_and_not1_saveexec_b32 s23, s23
	s_cbranch_execz .LBB42_20
.LBB42_121:                             ;   in Loop: Header=BB42_4 Depth=1
	s_lshl_b64 s[76:77], s[50:51], 3
	s_wait_alu 0xfffe
	v_add_co_u32 v4, vcc_lo, v2, s76
	s_wait_alu 0xfffd
	v_add_co_ci_u32_e64 v5, null, s77, v3, vcc_lo
	flat_load_b64 v[4:5], v[4:5]
	s_wait_loadcnt_dscnt 0x0
	ds_store_b64 v103, v[4:5] offset:2112
	s_or_b32 exec_lo, exec_lo, s23
	s_and_saveexec_b32 s23, s5
	s_wait_alu 0xfffe
	s_xor_b32 s23, exec_lo, s23
	s_cbranch_execz .LBB42_21
.LBB42_122:                             ;   in Loop: Header=BB42_4 Depth=1
	v_mov_b32_e32 v32, v33
	ds_store_b64 v103, v[32:33] offset:4224
	s_wait_alu 0xfffe
	s_and_not1_saveexec_b32 s23, s23
	s_cbranch_execz .LBB42_22
.LBB42_123:                             ;   in Loop: Header=BB42_4 Depth=1
	s_lshl_b64 s[76:77], s[52:53], 3
	s_wait_alu 0xfffe
	v_add_co_u32 v4, vcc_lo, v2, s76
	s_wait_alu 0xfffd
	v_add_co_ci_u32_e64 v5, null, s77, v3, vcc_lo
	flat_load_b64 v[4:5], v[4:5]
	s_wait_loadcnt_dscnt 0x0
	ds_store_b64 v103, v[4:5] offset:4224
	s_or_b32 exec_lo, exec_lo, s23
	s_and_saveexec_b32 s23, s6
	s_wait_alu 0xfffe
	s_xor_b32 s23, exec_lo, s23
	s_cbranch_execz .LBB42_23
.LBB42_124:                             ;   in Loop: Header=BB42_4 Depth=1
	v_mov_b32_e32 v32, v33
	ds_store_b64 v103, v[32:33] offset:6336
	s_wait_alu 0xfffe
	s_and_not1_saveexec_b32 s23, s23
	s_cbranch_execnz .LBB42_24
	s_branch .LBB42_25
.LBB42_125:                             ;   in Loop: Header=BB42_4 Depth=1
	flat_load_b64 v[4:5], v[0:1]
	s_wait_loadcnt_dscnt 0x0
	ds_store_b64 v103, v[4:5]
	s_or_b32 exec_lo, exec_lo, s23
	s_and_saveexec_b32 s23, s18
	s_wait_alu 0xfffe
	s_xor_b32 s23, exec_lo, s23
	s_cbranch_execz .LBB42_59
.LBB42_126:                             ;   in Loop: Header=BB42_4 Depth=1
	v_mov_b32_e32 v32, v33
	ds_store_b64 v103, v[32:33] offset:2112
	s_wait_alu 0xfffe
	s_and_not1_saveexec_b32 s23, s23
	s_cbranch_execz .LBB42_60
.LBB42_127:                             ;   in Loop: Header=BB42_4 Depth=1
	s_lshl_b64 s[76:77], s[50:51], 3
	s_wait_alu 0xfffe
	v_add_co_u32 v4, vcc_lo, v0, s76
	s_wait_alu 0xfffd
	v_add_co_ci_u32_e64 v5, null, s77, v1, vcc_lo
	flat_load_b64 v[4:5], v[4:5]
	s_wait_loadcnt_dscnt 0x0
	ds_store_b64 v103, v[4:5] offset:2112
	s_or_b32 exec_lo, exec_lo, s23
	s_and_saveexec_b32 s23, s19
	s_wait_alu 0xfffe
	s_xor_b32 s23, exec_lo, s23
	s_cbranch_execz .LBB42_61
.LBB42_128:                             ;   in Loop: Header=BB42_4 Depth=1
	v_mov_b32_e32 v32, v33
	ds_store_b64 v103, v[32:33] offset:4224
	s_wait_alu 0xfffe
	s_and_not1_saveexec_b32 s23, s23
	s_cbranch_execz .LBB42_62
.LBB42_129:                             ;   in Loop: Header=BB42_4 Depth=1
	s_lshl_b64 s[76:77], s[52:53], 3
	s_wait_alu 0xfffe
	v_add_co_u32 v4, vcc_lo, v0, s76
	s_wait_alu 0xfffd
	v_add_co_ci_u32_e64 v5, null, s77, v1, vcc_lo
	flat_load_b64 v[4:5], v[4:5]
	s_wait_loadcnt_dscnt 0x0
	ds_store_b64 v103, v[4:5] offset:4224
	s_or_b32 exec_lo, exec_lo, s23
	s_and_saveexec_b32 s23, s20
	s_wait_alu 0xfffe
	s_xor_b32 s23, exec_lo, s23
	s_cbranch_execz .LBB42_63
.LBB42_130:                             ;   in Loop: Header=BB42_4 Depth=1
	v_mov_b32_e32 v32, v33
	ds_store_b64 v103, v[32:33] offset:6336
	s_wait_alu 0xfffe
	s_and_not1_saveexec_b32 s23, s23
	s_cbranch_execnz .LBB42_64
	s_branch .LBB42_65
.LBB42_131:                             ;   in Loop: Header=BB42_4 Depth=1
	flat_load_b64 v[2:3], v[0:1]
	s_wait_loadcnt_dscnt 0x0
	ds_store_b64 v103, v[2:3]
	s_or_b32 exec_lo, exec_lo, s23
	s_and_saveexec_b32 s23, s4
	s_wait_alu 0xfffe
	s_xor_b32 s23, exec_lo, s23
	s_cbranch_execz .LBB42_99
.LBB42_132:                             ;   in Loop: Header=BB42_4 Depth=1
	v_mov_b32_e32 v32, v33
	ds_store_b64 v103, v[32:33] offset:2112
	s_wait_alu 0xfffe
	s_and_not1_saveexec_b32 s23, s23
	s_cbranch_execz .LBB42_100
.LBB42_133:                             ;   in Loop: Header=BB42_4 Depth=1
	s_lshl_b64 s[76:77], s[50:51], 3
	s_wait_alu 0xfffe
	v_add_co_u32 v2, vcc_lo, v0, s76
	s_wait_alu 0xfffd
	v_add_co_ci_u32_e64 v3, null, s77, v1, vcc_lo
	flat_load_b64 v[2:3], v[2:3]
	s_wait_loadcnt_dscnt 0x0
	ds_store_b64 v103, v[2:3] offset:2112
	s_or_b32 exec_lo, exec_lo, s23
	s_and_saveexec_b32 s23, s5
	s_wait_alu 0xfffe
	s_xor_b32 s23, exec_lo, s23
	s_cbranch_execz .LBB42_101
.LBB42_134:                             ;   in Loop: Header=BB42_4 Depth=1
	v_mov_b32_e32 v32, v33
	ds_store_b64 v103, v[32:33] offset:4224
	s_wait_alu 0xfffe
	s_and_not1_saveexec_b32 s23, s23
	s_cbranch_execz .LBB42_102
.LBB42_135:                             ;   in Loop: Header=BB42_4 Depth=1
	s_lshl_b64 s[76:77], s[52:53], 3
	s_wait_alu 0xfffe
	v_add_co_u32 v2, vcc_lo, v0, s76
	s_wait_alu 0xfffd
	v_add_co_ci_u32_e64 v3, null, s77, v1, vcc_lo
	flat_load_b64 v[2:3], v[2:3]
	s_wait_loadcnt_dscnt 0x0
	ds_store_b64 v103, v[2:3] offset:4224
	s_or_b32 exec_lo, exec_lo, s23
	s_and_saveexec_b32 s23, s6
	s_wait_alu 0xfffe
	s_xor_b32 s23, exec_lo, s23
	s_cbranch_execz .LBB42_103
.LBB42_136:                             ;   in Loop: Header=BB42_4 Depth=1
	v_mov_b32_e32 v32, v33
	ds_store_b64 v103, v[32:33] offset:6336
	s_wait_alu 0xfffe
	s_and_not1_saveexec_b32 s23, s23
	s_cbranch_execnz .LBB42_104
	s_branch .LBB42_105
.LBB42_137:
	s_nop 0
	s_sendmsg sendmsg(MSG_DEALLOC_VGPRS)
	s_endpgm
	.section	.rodata,"a",@progbits
	.p2align	6, 0x0
	.amdhsa_kernel _ZL26rocblas_hemvn_kernel_lowerILb1ELi64ELi4ELi33ELi32ELi16EiPK19rocblas_complex_numIfEPKS3_PS1_EviT6_lT7_lT5_lS8_lS9_lS7_lT8_i
		.amdhsa_group_segment_fixed_size 9600
		.amdhsa_private_segment_fixed_size 0
		.amdhsa_kernarg_size 376
		.amdhsa_user_sgpr_count 2
		.amdhsa_user_sgpr_dispatch_ptr 0
		.amdhsa_user_sgpr_queue_ptr 0
		.amdhsa_user_sgpr_kernarg_segment_ptr 1
		.amdhsa_user_sgpr_dispatch_id 0
		.amdhsa_user_sgpr_private_segment_size 0
		.amdhsa_wavefront_size32 1
		.amdhsa_uses_dynamic_stack 0
		.amdhsa_enable_private_segment 0
		.amdhsa_system_sgpr_workgroup_id_x 1
		.amdhsa_system_sgpr_workgroup_id_y 0
		.amdhsa_system_sgpr_workgroup_id_z 1
		.amdhsa_system_sgpr_workgroup_info 0
		.amdhsa_system_vgpr_workitem_id 1
		.amdhsa_next_free_vgpr 135
		.amdhsa_next_free_sgpr 88
		.amdhsa_reserve_vcc 1
		.amdhsa_float_round_mode_32 0
		.amdhsa_float_round_mode_16_64 0
		.amdhsa_float_denorm_mode_32 3
		.amdhsa_float_denorm_mode_16_64 3
		.amdhsa_fp16_overflow 0
		.amdhsa_workgroup_processor_mode 1
		.amdhsa_memory_ordered 1
		.amdhsa_forward_progress 1
		.amdhsa_inst_pref_size 76
		.amdhsa_round_robin_scheduling 0
		.amdhsa_exception_fp_ieee_invalid_op 0
		.amdhsa_exception_fp_denorm_src 0
		.amdhsa_exception_fp_ieee_div_zero 0
		.amdhsa_exception_fp_ieee_overflow 0
		.amdhsa_exception_fp_ieee_underflow 0
		.amdhsa_exception_fp_ieee_inexact 0
		.amdhsa_exception_int_div_zero 0
	.end_amdhsa_kernel
	.section	.text._ZL26rocblas_hemvn_kernel_lowerILb1ELi64ELi4ELi33ELi32ELi16EiPK19rocblas_complex_numIfEPKS3_PS1_EviT6_lT7_lT5_lS8_lS9_lS7_lT8_i,"axG",@progbits,_ZL26rocblas_hemvn_kernel_lowerILb1ELi64ELi4ELi33ELi32ELi16EiPK19rocblas_complex_numIfEPKS3_PS1_EviT6_lT7_lT5_lS8_lS9_lS7_lT8_i,comdat
.Lfunc_end42:
	.size	_ZL26rocblas_hemvn_kernel_lowerILb1ELi64ELi4ELi33ELi32ELi16EiPK19rocblas_complex_numIfEPKS3_PS1_EviT6_lT7_lT5_lS8_lS9_lS7_lT8_i, .Lfunc_end42-_ZL26rocblas_hemvn_kernel_lowerILb1ELi64ELi4ELi33ELi32ELi16EiPK19rocblas_complex_numIfEPKS3_PS1_EviT6_lT7_lT5_lS8_lS9_lS7_lT8_i
                                        ; -- End function
	.set _ZL26rocblas_hemvn_kernel_lowerILb1ELi64ELi4ELi33ELi32ELi16EiPK19rocblas_complex_numIfEPKS3_PS1_EviT6_lT7_lT5_lS8_lS9_lS7_lT8_i.num_vgpr, 135
	.set _ZL26rocblas_hemvn_kernel_lowerILb1ELi64ELi4ELi33ELi32ELi16EiPK19rocblas_complex_numIfEPKS3_PS1_EviT6_lT7_lT5_lS8_lS9_lS7_lT8_i.num_agpr, 0
	.set _ZL26rocblas_hemvn_kernel_lowerILb1ELi64ELi4ELi33ELi32ELi16EiPK19rocblas_complex_numIfEPKS3_PS1_EviT6_lT7_lT5_lS8_lS9_lS7_lT8_i.numbered_sgpr, 88
	.set _ZL26rocblas_hemvn_kernel_lowerILb1ELi64ELi4ELi33ELi32ELi16EiPK19rocblas_complex_numIfEPKS3_PS1_EviT6_lT7_lT5_lS8_lS9_lS7_lT8_i.num_named_barrier, 0
	.set _ZL26rocblas_hemvn_kernel_lowerILb1ELi64ELi4ELi33ELi32ELi16EiPK19rocblas_complex_numIfEPKS3_PS1_EviT6_lT7_lT5_lS8_lS9_lS7_lT8_i.private_seg_size, 0
	.set _ZL26rocblas_hemvn_kernel_lowerILb1ELi64ELi4ELi33ELi32ELi16EiPK19rocblas_complex_numIfEPKS3_PS1_EviT6_lT7_lT5_lS8_lS9_lS7_lT8_i.uses_vcc, 1
	.set _ZL26rocblas_hemvn_kernel_lowerILb1ELi64ELi4ELi33ELi32ELi16EiPK19rocblas_complex_numIfEPKS3_PS1_EviT6_lT7_lT5_lS8_lS9_lS7_lT8_i.uses_flat_scratch, 1
	.set _ZL26rocblas_hemvn_kernel_lowerILb1ELi64ELi4ELi33ELi32ELi16EiPK19rocblas_complex_numIfEPKS3_PS1_EviT6_lT7_lT5_lS8_lS9_lS7_lT8_i.has_dyn_sized_stack, 0
	.set _ZL26rocblas_hemvn_kernel_lowerILb1ELi64ELi4ELi33ELi32ELi16EiPK19rocblas_complex_numIfEPKS3_PS1_EviT6_lT7_lT5_lS8_lS9_lS7_lT8_i.has_recursion, 0
	.set _ZL26rocblas_hemvn_kernel_lowerILb1ELi64ELi4ELi33ELi32ELi16EiPK19rocblas_complex_numIfEPKS3_PS1_EviT6_lT7_lT5_lS8_lS9_lS7_lT8_i.has_indirect_call, 0
	.section	.AMDGPU.csdata,"",@progbits
; Kernel info:
; codeLenInByte = 9644
; TotalNumSgprs: 90
; NumVgprs: 135
; ScratchSize: 0
; MemoryBound: 1
; FloatMode: 240
; IeeeMode: 1
; LDSByteSize: 9600 bytes/workgroup (compile time only)
; SGPRBlocks: 0
; VGPRBlocks: 16
; NumSGPRsForWavesPerEU: 90
; NumVGPRsForWavesPerEU: 135
; Occupancy: 10
; WaveLimiterHint : 1
; COMPUTE_PGM_RSRC2:SCRATCH_EN: 0
; COMPUTE_PGM_RSRC2:USER_SGPR: 2
; COMPUTE_PGM_RSRC2:TRAP_HANDLER: 0
; COMPUTE_PGM_RSRC2:TGID_X_EN: 1
; COMPUTE_PGM_RSRC2:TGID_Y_EN: 0
; COMPUTE_PGM_RSRC2:TGID_Z_EN: 1
; COMPUTE_PGM_RSRC2:TIDIG_COMP_CNT: 1
	.section	.text._ZL36rocblas_hemvn_kernel_lower_block_sumILi64EiPK19rocblas_complex_numIfEPKPS1_S1_EviT1_lS7_lT2_lT0_lPT3_i,"axG",@progbits,_ZL36rocblas_hemvn_kernel_lower_block_sumILi64EiPK19rocblas_complex_numIfEPKPS1_S1_EviT1_lS7_lT2_lT0_lPT3_i,comdat
	.globl	_ZL36rocblas_hemvn_kernel_lower_block_sumILi64EiPK19rocblas_complex_numIfEPKPS1_S1_EviT1_lS7_lT2_lT0_lPT3_i ; -- Begin function _ZL36rocblas_hemvn_kernel_lower_block_sumILi64EiPK19rocblas_complex_numIfEPKPS1_S1_EviT1_lS7_lT2_lT0_lPT3_i
	.p2align	8
	.type	_ZL36rocblas_hemvn_kernel_lower_block_sumILi64EiPK19rocblas_complex_numIfEPKPS1_S1_EviT1_lS7_lT2_lT0_lPT3_i,@function
_ZL36rocblas_hemvn_kernel_lower_block_sumILi64EiPK19rocblas_complex_numIfEPKPS1_S1_EviT1_lS7_lT2_lT0_lPT3_i: ; @_ZL36rocblas_hemvn_kernel_lower_block_sumILi64EiPK19rocblas_complex_numIfEPKPS1_S1_EviT1_lS7_lT2_lT0_lPT3_i
; %bb.0:
	s_load_b32 s24, s[0:1], 0x50
	s_lshr_b32 s2, ttmp7, 16
	s_wait_kmcnt 0x0
	s_cmp_ge_u32 s2, s24
	s_cbranch_scc1 .LBB43_23
; %bb.1:
	s_clause 0x1
	s_load_b32 s18, s[0:1], 0x0
	s_load_b32 s3, s[0:1], 0x38
	v_lshl_or_b32 v0, ttmp9, 6, v0
	s_clause 0x2
	s_load_b64 s[20:21], s[0:1], 0x48
	s_load_b128 s[12:15], s[0:1], 0x28
	s_load_b256 s[4:11], s[0:1], 0x8
	s_add_nc_u64 s[16:17], s[0:1], 0x58
	s_wait_kmcnt 0x0
	v_mad_co_u64_u32 v[1:2], null, s18, ttmp9, v[0:1]
	v_mul_lo_u32 v3, s3, v0
	v_cmp_gt_i32_e64 s0, s18, v0
	s_ashr_i32 s19, s18, 31
	s_mov_b32 s3, 0
	s_wait_alu 0xfffe
	s_lshl_b64 s[18:19], s[18:19], 3
	s_lshl_b64 s[14:15], s[14:15], 3
	v_ashrrev_i32_e32 v2, 31, v1
	v_ashrrev_i32_e32 v4, 31, v3
	s_delay_alu instid0(VALU_DEP_2) | instskip(NEXT) | instid1(VALU_DEP_1)
	v_lshlrev_b64_e32 v[1:2], 3, v[1:2]
	v_add_co_u32 v5, vcc_lo, s20, v1
	s_delay_alu instid0(VALU_DEP_1) | instskip(NEXT) | instid1(VALU_DEP_4)
	v_add_co_ci_u32_e64 v6, null, s21, v2, vcc_lo
	v_lshlrev_b64_e32 v[0:1], 3, v[3:4]
	s_delay_alu instid0(VALU_DEP_3) | instskip(SKIP_1) | instid1(VALU_DEP_3)
	v_add_co_u32 v2, vcc_lo, v5, 4
	s_wait_alu 0xfffd
	v_add_co_ci_u32_e64 v3, null, 0, v6, vcc_lo
	v_mov_b32_e32 v6, 0
	s_branch .LBB43_5
.LBB43_2:                               ;   in Loop: Header=BB43_5 Depth=1
	v_add_co_u32 v7, vcc_lo, s20, v0
	s_wait_alu 0xfffd
	v_add_co_ci_u32_e64 v8, null, s21, v1, vcc_lo
	flat_store_b64 v[7:8], v[4:5]
.LBB43_3:                               ;   in Loop: Header=BB43_5 Depth=1
	s_or_b32 exec_lo, exec_lo, s28
.LBB43_4:                               ;   in Loop: Header=BB43_5 Depth=1
	s_add_co_i32 s2, s2, 0x10000
	s_wait_alu 0xfffe
	s_cmp_lt_u32 s2, s24
	s_cbranch_scc0 .LBB43_23
.LBB43_5:                               ; =>This Loop Header: Depth=1
                                        ;     Child Loop BB43_18 Depth 2
	s_mul_u64 s[20:21], s[6:7], s[2:3]
	s_wait_alu 0xfffe
	s_lshl_b64 s[20:21], s[20:21], 3
	s_wait_alu 0xfffe
	s_add_nc_u64 s[20:21], s[4:5], s[20:21]
	global_load_b64 v[4:5], v6, s[20:21]
	s_mul_u64 s[20:21], s[10:11], s[2:3]
	s_wait_alu 0xfffe
	s_lshl_b64 s[20:21], s[20:21], 3
	s_wait_alu 0xfffe
	s_add_nc_u64 s[20:21], s[8:9], s[20:21]
	global_load_b64 v[7:8], v6, s[20:21]
	s_wait_loadcnt 0x1
	v_readfirstlane_b32 s27, v4
	v_readfirstlane_b32 s26, v5
	s_or_b32 s1, s27, s26
	s_wait_loadcnt 0x0
	v_readfirstlane_b32 s25, v8
	s_wait_alu 0xfffe
	s_and_b32 s21, s1, 0x7fffffff
	v_readfirstlane_b32 s1, v7
	s_wait_alu 0xfffe
	s_cmp_eq_u32 s21, 0
	s_cselect_b32 s20, -1, 0
	s_cmp_lg_u32 s21, 0
	s_mov_b32 s21, -1
	s_cbranch_scc1 .LBB43_7
; %bb.6:                                ;   in Loop: Header=BB43_5 Depth=1
	s_cmp_neq_f32 s1, 1.0
	s_cselect_b32 s21, -1, 0
	s_cmp_neq_f32 s25, 0
	s_cselect_b32 s22, -1, 0
	s_wait_alu 0xfffe
	s_or_b32 s21, s21, s22
.LBB43_7:                               ;   in Loop: Header=BB43_5 Depth=1
	s_wait_alu 0xfffe
	s_and_not1_b32 vcc_lo, exec_lo, s21
	s_wait_alu 0xfffe
	s_cbranch_vccnz .LBB43_4
; %bb.8:                                ;   in Loop: Header=BB43_5 Depth=1
	s_lshl_b64 s[22:23], s[2:3], 3
	s_and_not1_b32 vcc_lo, exec_lo, s20
	s_add_nc_u64 s[22:23], s[12:13], s[22:23]
	s_load_b64 s[22:23], s[22:23], 0x0
	s_wait_kmcnt 0x0
	s_add_nc_u64 s[20:21], s[22:23], s[14:15]
	s_mov_b32 s22, -1
	s_cbranch_vccnz .LBB43_14
; %bb.9:                                ;   in Loop: Header=BB43_5 Depth=1
	s_and_saveexec_b32 s22, s0
	s_cbranch_execz .LBB43_13
; %bb.10:                               ;   in Loop: Header=BB43_5 Depth=1
	s_cmp_neq_f32 s1, 0
	v_dual_mov_b32 v4, 0 :: v_dual_mov_b32 v5, 0
	s_cselect_b32 s23, -1, 0
	s_cmp_neq_f32 s25, 0
	s_cselect_b32 s28, -1, 0
	s_delay_alu instid0(SALU_CYCLE_1) | instskip(NEXT) | instid1(SALU_CYCLE_1)
	s_or_b32 s23, s23, s28
	s_and_not1_b32 vcc_lo, exec_lo, s23
	s_wait_alu 0xfffe
	s_cbranch_vccnz .LBB43_12
; %bb.11:                               ;   in Loop: Header=BB43_5 Depth=1
	v_add_co_u32 v4, vcc_lo, s20, v0
	s_wait_alu 0xfffd
	v_add_co_ci_u32_e64 v5, null, s21, v1, vcc_lo
	flat_load_b64 v[7:8], v[4:5]
	s_wait_loadcnt_dscnt 0x0
	v_mul_f32_e32 v5, s1, v8
	s_delay_alu instid0(VALU_DEP_1) | instskip(NEXT) | instid1(VALU_DEP_1)
	v_dual_mul_f32 v4, s25, v8 :: v_dual_fmac_f32 v5, s25, v7
	v_fma_f32 v4, v7, s1, -v4
.LBB43_12:                              ;   in Loop: Header=BB43_5 Depth=1
	v_add_co_u32 v7, vcc_lo, s20, v0
	s_wait_alu 0xfffd
	v_add_co_ci_u32_e64 v8, null, s21, v1, vcc_lo
	flat_store_b64 v[7:8], v[4:5]
.LBB43_13:                              ;   in Loop: Header=BB43_5 Depth=1
	s_or_b32 exec_lo, exec_lo, s22
	s_mov_b32 s22, 0
.LBB43_14:                              ;   in Loop: Header=BB43_5 Depth=1
	s_delay_alu instid0(SALU_CYCLE_1)
	s_and_not1_b32 vcc_lo, exec_lo, s22
	s_wait_alu 0xfffe
	s_cbranch_vccnz .LBB43_4
; %bb.15:                               ;   in Loop: Header=BB43_5 Depth=1
	s_and_saveexec_b32 s28, s0
	s_cbranch_execz .LBB43_3
; %bb.16:                               ;   in Loop: Header=BB43_5 Depth=1
	s_load_b32 s22, s[16:17], 0x0
	v_dual_mov_b32 v7, 0 :: v_dual_mov_b32 v8, 0
	s_wait_kmcnt 0x0
	s_cmp_ge_i32 ttmp9, s22
	s_cbranch_scc1 .LBB43_19
; %bb.17:                               ;   in Loop: Header=BB43_5 Depth=1
	s_mov_b32 s23, s3
	v_mov_b32_e32 v7, 0
	s_mul_u64 s[30:31], s[18:19], s[22:23]
	s_mov_b32 s29, ttmp9
	s_wait_alu 0xfffe
	v_mad_co_u64_u32 v[4:5], null, s30, s2, v[2:3]
	s_delay_alu instid0(VALU_DEP_1) | instskip(NEXT) | instid1(VALU_DEP_1)
	v_mad_co_u64_u32 v[8:9], null, s31, s2, v[5:6]
	v_dual_mov_b32 v5, v8 :: v_dual_mov_b32 v8, 0
.LBB43_18:                              ;   Parent Loop BB43_5 Depth=1
                                        ; =>  This Inner Loop Header: Depth=2
	global_load_b64 v[9:10], v[4:5], off offset:-4
	v_add_co_u32 v4, vcc_lo, v4, s18
	s_wait_alu 0xfffd
	v_add_co_ci_u32_e64 v5, null, s19, v5, vcc_lo
	s_add_co_i32 s29, s29, 1
	s_delay_alu instid0(SALU_CYCLE_1)
	s_cmp_ge_i32 s29, s22
	s_wait_loadcnt 0x0
	v_dual_add_f32 v8, v8, v9 :: v_dual_add_f32 v7, v7, v10
	s_cbranch_scc0 .LBB43_18
.LBB43_19:                              ;   in Loop: Header=BB43_5 Depth=1
	s_cmp_neq_f32 s1, 0
	s_delay_alu instid0(VALU_DEP_1) | instskip(SKIP_3) | instid1(VALU_DEP_2)
	v_mul_f32_e32 v5, s27, v7
	v_mul_f32_e32 v4, s26, v7
	s_cselect_b32 s22, -1, 0
	s_cmp_neq_f32 s25, 0
	v_fmac_f32_e32 v5, s26, v8
	s_delay_alu instid0(VALU_DEP_2) | instskip(SKIP_1) | instid1(SALU_CYCLE_1)
	v_fma_f32 v4, v8, s27, -v4
	s_cselect_b32 s23, -1, 0
	s_or_b32 s22, s22, s23
	s_delay_alu instid0(SALU_CYCLE_1)
	s_and_not1_b32 vcc_lo, exec_lo, s22
	s_mov_b32 s22, -1
	s_wait_alu 0xfffe
	s_cbranch_vccz .LBB43_21
; %bb.20:                               ;   in Loop: Header=BB43_5 Depth=1
	s_mov_b32 s22, 0
.LBB43_21:                              ;   in Loop: Header=BB43_5 Depth=1
	s_delay_alu instid0(SALU_CYCLE_1)
	s_and_not1_b32 vcc_lo, exec_lo, s22
	s_wait_alu 0xfffe
	s_cbranch_vccnz .LBB43_2
; %bb.22:                               ;   in Loop: Header=BB43_5 Depth=1
	v_add_co_u32 v7, vcc_lo, s20, v0
	s_wait_alu 0xfffd
	v_add_co_ci_u32_e64 v8, null, s21, v1, vcc_lo
	flat_load_b64 v[7:8], v[7:8]
	s_wait_loadcnt_dscnt 0x0
	v_mul_f32_e32 v9, s25, v8
	v_mul_f32_e32 v8, s1, v8
	s_delay_alu instid0(VALU_DEP_1) | instskip(NEXT) | instid1(VALU_DEP_3)
	v_fmac_f32_e32 v8, s25, v7
	v_fma_f32 v9, v7, s1, -v9
	s_delay_alu instid0(VALU_DEP_1)
	v_dual_add_f32 v5, v5, v8 :: v_dual_add_f32 v4, v4, v9
	s_branch .LBB43_2
.LBB43_23:
	s_endpgm
	.section	.rodata,"a",@progbits
	.p2align	6, 0x0
	.amdhsa_kernel _ZL36rocblas_hemvn_kernel_lower_block_sumILi64EiPK19rocblas_complex_numIfEPKPS1_S1_EviT1_lS7_lT2_lT0_lPT3_i
		.amdhsa_group_segment_fixed_size 0
		.amdhsa_private_segment_fixed_size 0
		.amdhsa_kernarg_size 344
		.amdhsa_user_sgpr_count 2
		.amdhsa_user_sgpr_dispatch_ptr 0
		.amdhsa_user_sgpr_queue_ptr 0
		.amdhsa_user_sgpr_kernarg_segment_ptr 1
		.amdhsa_user_sgpr_dispatch_id 0
		.amdhsa_user_sgpr_private_segment_size 0
		.amdhsa_wavefront_size32 1
		.amdhsa_uses_dynamic_stack 0
		.amdhsa_enable_private_segment 0
		.amdhsa_system_sgpr_workgroup_id_x 1
		.amdhsa_system_sgpr_workgroup_id_y 0
		.amdhsa_system_sgpr_workgroup_id_z 1
		.amdhsa_system_sgpr_workgroup_info 0
		.amdhsa_system_vgpr_workitem_id 0
		.amdhsa_next_free_vgpr 11
		.amdhsa_next_free_sgpr 32
		.amdhsa_reserve_vcc 1
		.amdhsa_float_round_mode_32 0
		.amdhsa_float_round_mode_16_64 0
		.amdhsa_float_denorm_mode_32 3
		.amdhsa_float_denorm_mode_16_64 3
		.amdhsa_fp16_overflow 0
		.amdhsa_workgroup_processor_mode 1
		.amdhsa_memory_ordered 1
		.amdhsa_forward_progress 1
		.amdhsa_inst_pref_size 8
		.amdhsa_round_robin_scheduling 0
		.amdhsa_exception_fp_ieee_invalid_op 0
		.amdhsa_exception_fp_denorm_src 0
		.amdhsa_exception_fp_ieee_div_zero 0
		.amdhsa_exception_fp_ieee_overflow 0
		.amdhsa_exception_fp_ieee_underflow 0
		.amdhsa_exception_fp_ieee_inexact 0
		.amdhsa_exception_int_div_zero 0
	.end_amdhsa_kernel
	.section	.text._ZL36rocblas_hemvn_kernel_lower_block_sumILi64EiPK19rocblas_complex_numIfEPKPS1_S1_EviT1_lS7_lT2_lT0_lPT3_i,"axG",@progbits,_ZL36rocblas_hemvn_kernel_lower_block_sumILi64EiPK19rocblas_complex_numIfEPKPS1_S1_EviT1_lS7_lT2_lT0_lPT3_i,comdat
.Lfunc_end43:
	.size	_ZL36rocblas_hemvn_kernel_lower_block_sumILi64EiPK19rocblas_complex_numIfEPKPS1_S1_EviT1_lS7_lT2_lT0_lPT3_i, .Lfunc_end43-_ZL36rocblas_hemvn_kernel_lower_block_sumILi64EiPK19rocblas_complex_numIfEPKPS1_S1_EviT1_lS7_lT2_lT0_lPT3_i
                                        ; -- End function
	.set _ZL36rocblas_hemvn_kernel_lower_block_sumILi64EiPK19rocblas_complex_numIfEPKPS1_S1_EviT1_lS7_lT2_lT0_lPT3_i.num_vgpr, 11
	.set _ZL36rocblas_hemvn_kernel_lower_block_sumILi64EiPK19rocblas_complex_numIfEPKPS1_S1_EviT1_lS7_lT2_lT0_lPT3_i.num_agpr, 0
	.set _ZL36rocblas_hemvn_kernel_lower_block_sumILi64EiPK19rocblas_complex_numIfEPKPS1_S1_EviT1_lS7_lT2_lT0_lPT3_i.numbered_sgpr, 32
	.set _ZL36rocblas_hemvn_kernel_lower_block_sumILi64EiPK19rocblas_complex_numIfEPKPS1_S1_EviT1_lS7_lT2_lT0_lPT3_i.num_named_barrier, 0
	.set _ZL36rocblas_hemvn_kernel_lower_block_sumILi64EiPK19rocblas_complex_numIfEPKPS1_S1_EviT1_lS7_lT2_lT0_lPT3_i.private_seg_size, 0
	.set _ZL36rocblas_hemvn_kernel_lower_block_sumILi64EiPK19rocblas_complex_numIfEPKPS1_S1_EviT1_lS7_lT2_lT0_lPT3_i.uses_vcc, 1
	.set _ZL36rocblas_hemvn_kernel_lower_block_sumILi64EiPK19rocblas_complex_numIfEPKPS1_S1_EviT1_lS7_lT2_lT0_lPT3_i.uses_flat_scratch, 0
	.set _ZL36rocblas_hemvn_kernel_lower_block_sumILi64EiPK19rocblas_complex_numIfEPKPS1_S1_EviT1_lS7_lT2_lT0_lPT3_i.has_dyn_sized_stack, 0
	.set _ZL36rocblas_hemvn_kernel_lower_block_sumILi64EiPK19rocblas_complex_numIfEPKPS1_S1_EviT1_lS7_lT2_lT0_lPT3_i.has_recursion, 0
	.set _ZL36rocblas_hemvn_kernel_lower_block_sumILi64EiPK19rocblas_complex_numIfEPKPS1_S1_EviT1_lS7_lT2_lT0_lPT3_i.has_indirect_call, 0
	.section	.AMDGPU.csdata,"",@progbits
; Kernel info:
; codeLenInByte = 948
; TotalNumSgprs: 34
; NumVgprs: 11
; ScratchSize: 0
; MemoryBound: 0
; FloatMode: 240
; IeeeMode: 1
; LDSByteSize: 0 bytes/workgroup (compile time only)
; SGPRBlocks: 0
; VGPRBlocks: 1
; NumSGPRsForWavesPerEU: 34
; NumVGPRsForWavesPerEU: 11
; Occupancy: 16
; WaveLimiterHint : 1
; COMPUTE_PGM_RSRC2:SCRATCH_EN: 0
; COMPUTE_PGM_RSRC2:USER_SGPR: 2
; COMPUTE_PGM_RSRC2:TRAP_HANDLER: 0
; COMPUTE_PGM_RSRC2:TGID_X_EN: 1
; COMPUTE_PGM_RSRC2:TGID_Y_EN: 0
; COMPUTE_PGM_RSRC2:TGID_Z_EN: 1
; COMPUTE_PGM_RSRC2:TIDIG_COMP_CNT: 0
	.section	.text._ZL26rocblas_hemvn_kernel_lowerILb1ELi64ELi4ELi33ELi32ELi16El19rocblas_complex_numIfEPKPKS1_PS1_EviT6_lT7_lT5_lS8_lS9_lS7_lT8_i,"axG",@progbits,_ZL26rocblas_hemvn_kernel_lowerILb1ELi64ELi4ELi33ELi32ELi16El19rocblas_complex_numIfEPKPKS1_PS1_EviT6_lT7_lT5_lS8_lS9_lS7_lT8_i,comdat
	.globl	_ZL26rocblas_hemvn_kernel_lowerILb1ELi64ELi4ELi33ELi32ELi16El19rocblas_complex_numIfEPKPKS1_PS1_EviT6_lT7_lT5_lS8_lS9_lS7_lT8_i ; -- Begin function _ZL26rocblas_hemvn_kernel_lowerILb1ELi64ELi4ELi33ELi32ELi16El19rocblas_complex_numIfEPKPKS1_PS1_EviT6_lT7_lT5_lS8_lS9_lS7_lT8_i
	.p2align	8
	.type	_ZL26rocblas_hemvn_kernel_lowerILb1ELi64ELi4ELi33ELi32ELi16El19rocblas_complex_numIfEPKPKS1_PS1_EviT6_lT7_lT5_lS8_lS9_lS7_lT8_i,@function
_ZL26rocblas_hemvn_kernel_lowerILb1ELi64ELi4ELi33ELi32ELi16El19rocblas_complex_numIfEPKPKS1_PS1_EviT6_lT7_lT5_lS8_lS9_lS7_lT8_i: ; @_ZL26rocblas_hemvn_kernel_lowerILb1ELi64ELi4ELi33ELi32ELi16El19rocblas_complex_numIfEPKPKS1_PS1_EviT6_lT7_lT5_lS8_lS9_lS7_lT8_i
; %bb.0:
	s_clause 0x1
	s_load_b64 s[2:3], s[0:1], 0x84
	s_load_b32 s23, s[0:1], 0x70
	s_lshr_b32 s34, ttmp7, 16
	s_wait_kmcnt 0x0
	s_lshr_b32 s4, s2, 16
	s_and_b32 s2, s2, 0xffff
	s_and_b32 s3, s3, 0xffff
	s_mul_i32 s2, s4, s2
	s_delay_alu instid0(SALU_CYCLE_1) | instskip(NEXT) | instid1(SALU_CYCLE_1)
	s_mul_i32 s2, s2, s3
	s_cmp_lg_u32 s2, 0x100
	s_cselect_b32 s2, -1, 0
	s_cmp_ge_u32 s34, s23
	s_cselect_b32 s3, -1, 0
	s_delay_alu instid0(SALU_CYCLE_1) | instskip(NEXT) | instid1(SALU_CYCLE_1)
	s_or_b32 s2, s2, s3
	s_and_b32 vcc_lo, exec_lo, s2
	s_cbranch_vccnz .LBB44_138
; %bb.1:
	s_clause 0x3
	s_load_b64 s[4:5], s[0:1], 0x4
	s_load_b32 s2, s[0:1], 0x0
	s_load_b64 s[60:61], s[0:1], 0x28
	s_load_b64 s[6:7], s[0:1], 0x58
	s_add_nc_u64 s[8:9], s[0:1], 0x78
	v_dual_mov_b32 v33, 0 :: v_dual_and_b32 v82, 0x3ff, v0
	s_load_b32 s38, s[8:9], 0x0
	v_bfe_u32 v14, v0, 10, 10
	s_clause 0x1
	s_load_b128 s[24:27], s[0:1], 0x18
	s_load_b64 s[36:37], s[0:1], 0x48
	v_and_b32_e32 v32, 31, v0
	s_mov_b32 s39, 0
	v_lshl_add_u32 v15, v14, 6, v82
	v_lshl_add_u32 v95, v14, 5, 0x2180
	s_delay_alu instid0(VALU_DEP_3) | instskip(SKIP_1) | instid1(VALU_DEP_4)
	v_lshlrev_b32_e32 v16, 3, v32
	v_mul_u32_u24_e32 v23, 33, v32
	v_lshrrev_b32_e32 v12, 5, v15
	v_and_b32_e32 v20, 0x7fe0, v15
	s_wait_kmcnt 0x0
	s_or_b32 s3, s4, s5
	v_lshl_or_b32 v19, v32, 8, v16
	s_and_b32 s4, s3, 0x7fffffff
	s_ashr_i32 s3, s2, 31
	s_cmp_eq_u32 s4, 0
	v_lshlrev_b32_e32 v18, 2, v12
	s_cselect_b32 s33, -1, 0
	s_cmp_lg_u32 s4, 0
	s_clause 0x1
	s_load_b128 s[28:31], s[0:1], 0x38
	s_load_b64 s[4:5], s[0:1], 0x68
	s_cselect_b32 s35, -1, 0
	s_cmp_neq_f32 s6, 1.0
	v_or_b32_e32 v21, 1, v18
	v_cmp_eq_u32_e64 s8, v18, v32
	v_add_nc_u32_e32 v86, v19, v20
	s_cselect_b32 s58, -1, 0
	s_cmp_neq_f32 s7, 0
	v_or_b32_e32 v19, 2, v18
	v_add_nc_u32_e32 v11, 16, v12
	v_mad_co_u64_u32 v[1:2], null, s60, v12, v[32:33]
	s_cselect_b32 s59, -1, 0
	s_lshr_b32 s1, s3, 26
	s_add_co_i32 s6, s38, -1
	s_add_co_i32 s1, s2, s1
	s_lshl_b32 s62, ttmp9, 6
	s_and_not1_b32 s1, s1, 63
	v_add_nc_u32_e32 v3, s62, v82
	s_sub_co_i32 s1, s2, s1
	s_cmp_eq_u32 ttmp9, s6
	s_mul_i32 s6, s2, ttmp9
	s_cselect_b32 s40, s1, 0
	v_ashrrev_i32_e32 v4, 31, v3
	s_cmp_eq_u32 s40, 0
	v_mul_lo_u32 v9, s37, v3
	s_cselect_b32 s72, -1, 0
	s_cmp_lg_u32 s40, 0
	v_mad_co_u64_u32 v[5:6], null, s36, v3, 0
	s_cselect_b32 s1, -1, 0
	s_ashr_i32 s7, s6, 31
	v_mul_lo_u32 v10, s36, v4
	s_lshl_b64 s[6:7], s[6:7], 3
	v_cmp_ge_u32_e64 s11, v19, v32
	s_wait_kmcnt 0x0
	s_add_nc_u64 s[44:45], s[4:5], s[6:7]
	v_cmp_ge_u32_e64 s7, v18, v32
	v_or_b32_e32 v18, 3, v18
	v_cmp_eq_u32_e64 s12, v19, v32
	v_lshlrev_b32_e32 v19, 3, v12
	v_add3_u32 v6, v6, v10, v9
	v_add_nc_u32_e32 v10, 8, v12
	v_cmp_ge_u32_e64 s13, v18, v32
	v_cmp_eq_u32_e64 s14, v18, v32
	v_or_b32_e32 v18, 32, v32
	v_lshlrev_b32_e32 v89, 3, v23
	s_sub_co_i32 s20, s40, 32
	v_cmp_le_i32_e64 s4, s40, v10
	v_cmp_le_i32_e64 s5, s40, v11
	v_cmp_gt_i32_e64 s16, s40, v18
	v_lshlrev_b32_e32 v18, 2, v14
	v_cmp_le_i32_e64 s18, s20, v10
	v_cmp_le_i32_e64 s19, s20, v11
	v_add_nc_u32_e32 v92, v89, v19
	v_mad_co_u64_u32 v[7:8], null, s61, v12, v[2:3]
	v_mad_co_u64_u32 v[10:11], null, s60, v18, 0
	v_cmp_le_i32_e32 vcc_lo, s40, v82
	s_mul_u64 s[42:43], s[38:39], s[2:3]
	v_sub_co_u32 v8, s3, 0, v32
	v_mul_u32_u24_e32 v17, 0x108, v12
	v_sub_co_ci_u32_e64 v9, null, 0, 0, s3
	v_add_nc_u32_e32 v13, 24, v12
	v_cmp_le_i32_e64 s3, s40, v12
	v_mul_u32_u24_e32 v22, 0x420, v12
	v_add_nc_u32_e32 v91, 0x2380, v20
	v_cmp_le_i32_e64 s17, s20, v12
	v_cmp_eq_u32_e64 s21, 1, v12
	v_mul_i32_i24_e32 v20, 0xffffffe8, v12
	v_mad_u32_u24 v93, v12, 24, v92
	v_mad_co_u64_u32 v[11:12], null, s61, v18, v[11:12]
	v_lshrrev_b32_e32 v18, 4, v15
	s_and_b32 s1, s1, vcc_lo
	v_sub_co_u32 v12, vcc_lo, 0, v1
	v_dual_mov_b32 v2, v7 :: v_dual_lshlrev_b32 v83, 3, v82
	v_cmp_le_i32_e64 s6, s40, v13
	v_cmp_le_i32_e64 s20, s20, v13
	v_and_b32_e32 v23, 15, v0
	v_sub_co_ci_u32_e64 v13, null, 0, v7, vcc_lo
	v_and_b32_e32 v0, 48, v0
	v_lshlrev_b32_e32 v7, 5, v18
	v_cmp_ge_u32_e64 s9, v21, v32
	v_cmp_eq_u32_e64 s10, v21, v32
	v_mul_u32_u24_e32 v21, 0x108, v21
	v_lshlrev_b32_e32 v0, 3, v0
	v_or_b32_e32 v24, 0x78, v83
	v_mad_u32_u24 v97, 0x218, v23, v7
	v_mul_i32_i24_e32 v7, 0xffffffe8, v18
	v_cmp_eq_u32_e64 s0, 0, v14
	s_ashr_i32 s63, s62, 31
	s_lshl_b64 s[48:49], s[60:61], 6
	s_lshl_b64 s[50:51], s[60:61], 7
	s_ashr_i32 s41, s40, 31
	s_lshl_b64 s[54:55], s[60:61], 5
	s_xor_b32 s38, s1, -1
	s_wait_alu 0xfffe
	s_mul_u64 s[46:47], s[60:61], s[62:63]
	s_mul_u64 s[56:57], s[36:37], s[62:63]
	s_cmp_gt_i32 ttmp9, 0
	v_lshlrev_b64_e32 v[34:35], 3, v[5:6]
	v_lshlrev_b64_e32 v[36:37], 3, v[1:2]
	;; [unrolled: 1-line block ×6, first 2 shown]
	v_add_nc_u32_e32 v84, 0x2380, v83
	v_cmp_gt_i32_e64 s2, s40, v32
	v_mad_u32_u24 v85, 0x108, v32, v16
	v_add_nc_u32_e32 v87, 8, v86
	v_add_nc_u32_e32 v88, 16, v86
	v_add_nc_u32_e32 v90, 24, v86
	v_cmp_gt_u32_e64 s15, 32, v15
	v_add_nc_u32_e32 v94, 0x2180, v83
	v_mad_u32_u24 v96, 0x860, v14, v83
	v_cmp_gt_u32_e64 s22, 64, v15
	v_mad_u32_u24 v98, 0x218, v23, v0
	v_mad_u32_u24 v99, 0x218, v23, v24
	;; [unrolled: 1-line block ×3, first 2 shown]
	v_add_nc_u32_e32 v101, 0x2380, v19
	v_add_nc_u32_e32 v102, v16, v17
	;; [unrolled: 1-line block ×6, first 2 shown]
	v_lshlrev_b32_e32 v107, 3, v32
	s_sub_nc_u64 s[64:65], 0, s[54:55]
	s_sub_nc_u64 s[66:67], 0, s[56:57]
	s_cselect_b32 s73, -1, 0
	s_sub_nc_u64 s[68:69], 0, s[46:47]
	s_and_b32 s74, s0, s38
	s_or_b32 s38, s58, s59
	s_mul_u64 s[52:53], s[60:61], 0xc0
	s_sub_nc_u64 s[56:57], 0, s[40:41]
	s_lshl_b64 s[58:59], s[60:61], 3
	s_mul_u64 s[60:61], s[60:61], 0x68
	s_or_b32 s75, s38, s35
	s_lshl_b64 s[30:31], s[30:31], 3
	s_lshl_b64 s[26:27], s[26:27], 3
	;; [unrolled: 1-line block ×6, first 2 shown]
	s_branch .LBB44_4
.LBB44_2:                               ;   in Loop: Header=BB44_4 Depth=1
	s_or_b32 exec_lo, exec_lo, s35
.LBB44_3:                               ;   in Loop: Header=BB44_4 Depth=1
	s_add_co_i32 s34, s34, 0x10000
	s_delay_alu instid0(SALU_CYCLE_1)
	s_cmp_lt_u32 s34, s23
	s_cbranch_scc0 .LBB44_138
.LBB44_4:                               ; =>This Loop Header: Depth=1
                                        ;     Child Loop BB44_114 Depth 2
	s_and_not1_b32 vcc_lo, exec_lo, s75
	s_wait_alu 0xfffe
	s_cbranch_vccnz .LBB44_3
; %bb.5:                                ;   in Loop: Header=BB44_4 Depth=1
	s_and_b32 vcc_lo, exec_lo, s33
	s_mov_b32 s35, -1
	s_wait_alu 0xfffe
	s_cbranch_vccz .LBB44_7
; %bb.6:                                ;   in Loop: Header=BB44_4 Depth=1
	s_mov_b32 s35, 0
.LBB44_7:                               ;   in Loop: Header=BB44_4 Depth=1
	s_delay_alu instid0(SALU_CYCLE_1)
	s_and_not1_b32 vcc_lo, exec_lo, s35
	s_wait_alu 0xfffe
	s_cbranch_vccnz .LBB44_3
; %bb.8:                                ;   in Loop: Header=BB44_4 Depth=1
	s_mov_b32 s35, s39
	s_delay_alu instid0(SALU_CYCLE_1)
	s_lshl_b64 s[70:71], s[34:35], 3
	s_wait_alu 0xfffe
	s_add_nc_u64 s[76:77], s[28:29], s[70:71]
	s_add_nc_u64 s[70:71], s[24:25], s[70:71]
	s_clause 0x1
	global_load_b64 v[2:3], v33, s[76:77]
	global_load_b64 v[0:1], v33, s[70:71]
	s_wait_loadcnt 0x1
	v_add_co_u32 v2, vcc_lo, v2, s30
	s_wait_alu 0xfffd
	v_add_co_ci_u32_e64 v3, null, s31, v3, vcc_lo
	s_delay_alu instid0(VALU_DEP_2) | instskip(SKIP_1) | instid1(VALU_DEP_2)
	v_add_co_u32 v16, vcc_lo, v2, v34
	s_wait_alu 0xfffd
	v_add_co_ci_u32_e64 v17, null, v3, v35, vcc_lo
	s_and_saveexec_b32 s38, s0
	s_cbranch_execz .LBB44_13
; %bb.9:                                ;   in Loop: Header=BB44_4 Depth=1
	s_and_saveexec_b32 s70, s1
	s_wait_alu 0xfffe
	s_xor_b32 s70, exec_lo, s70
; %bb.10:                               ;   in Loop: Header=BB44_4 Depth=1
	v_mov_b32_e32 v32, v33
	ds_store_b64 v84, v[32:33]
; %bb.11:                               ;   in Loop: Header=BB44_4 Depth=1
	s_wait_alu 0xfffe
	s_and_not1_saveexec_b32 s70, s70
	s_cbranch_execz .LBB44_13
; %bb.12:                               ;   in Loop: Header=BB44_4 Depth=1
	flat_load_b64 v[2:3], v[16:17]
	s_wait_loadcnt_dscnt 0x0
	ds_store_b64 v84, v[2:3]
.LBB44_13:                              ;   in Loop: Header=BB44_4 Depth=1
	s_wait_alu 0xfffe
	s_or_b32 exec_lo, exec_lo, s38
	s_wait_loadcnt 0x0
	v_add_co_u32 v0, vcc_lo, v0, s26
	s_wait_alu 0xfffd
	v_add_co_ci_u32_e64 v1, null, s27, v1, vcc_lo
	s_lshl_b64 s[70:71], s[46:47], 3
	v_add_co_u32 v0, vcc_lo, v0, s62
	s_wait_alu 0xfffd
	v_add_co_ci_u32_e64 v1, null, s63, v1, vcc_lo
	s_mov_b32 s38, -1
	v_add_co_u32 v0, vcc_lo, v0, v36
	s_wait_alu 0xfffd
	v_add_co_ci_u32_e64 v1, null, v1, v37, vcc_lo
	s_wait_alu 0xfffe
	s_delay_alu instid0(VALU_DEP_2) | instskip(SKIP_1) | instid1(VALU_DEP_2)
	v_add_co_u32 v0, vcc_lo, v0, s70
	s_wait_alu 0xfffd
	v_add_co_ci_u32_e64 v1, null, s71, v1, vcc_lo
	s_and_not1_b32 vcc_lo, exec_lo, s72
	s_wait_alu 0xfffe
	s_cbranch_vccnz .LBB44_15
; %bb.14:                               ;   in Loop: Header=BB44_4 Depth=1
	v_add_co_u32 v2, vcc_lo, v0, s48
	s_wait_alu 0xfffd
	v_add_co_ci_u32_e64 v3, null, s49, v1, vcc_lo
	s_mov_b32 s38, 0
	v_add_co_u32 v4, vcc_lo, v2, s48
	s_wait_alu 0xfffd
	v_add_co_ci_u32_e64 v5, null, s49, v3, vcc_lo
	s_delay_alu instid0(VALU_DEP_2) | instskip(SKIP_1) | instid1(VALU_DEP_2)
	v_add_co_u32 v6, vcc_lo, v4, s48
	s_wait_alu 0xfffd
	v_add_co_ci_u32_e64 v7, null, s49, v5, vcc_lo
	s_clause 0x3
	flat_load_b64 v[8:9], v[0:1]
	flat_load_b64 v[2:3], v[2:3]
	;; [unrolled: 1-line block ×4, first 2 shown]
	s_wait_loadcnt_dscnt 0x303
	ds_store_b64 v102, v[8:9]
	s_wait_loadcnt_dscnt 0x203
	ds_store_b64 v102, v[2:3] offset:2112
	s_wait_loadcnt_dscnt 0x103
	ds_store_b64 v102, v[4:5] offset:4224
	s_wait_loadcnt_dscnt 0x3
	ds_store_b64 v102, v[6:7] offset:6336
.LBB44_15:                              ;   in Loop: Header=BB44_4 Depth=1
	s_wait_alu 0xfffe
	s_and_not1_b32 vcc_lo, exec_lo, s38
	s_wait_alu 0xfffe
	s_cbranch_vccnz .LBB44_27
; %bb.16:                               ;   in Loop: Header=BB44_4 Depth=1
	s_and_saveexec_b32 s38, s3
	s_wait_alu 0xfffe
	s_xor_b32 s38, exec_lo, s38
; %bb.17:                               ;   in Loop: Header=BB44_4 Depth=1
	v_mov_b32_e32 v32, v33
	ds_store_b64 v102, v[32:33]
; %bb.18:                               ;   in Loop: Header=BB44_4 Depth=1
	s_wait_alu 0xfffe
	s_or_saveexec_b32 s38, s38
	v_add_co_u32 v2, vcc_lo, v0, v38
	s_wait_alu 0xfffd
	v_add_co_ci_u32_e64 v3, null, v1, v39, vcc_lo
	s_lshl_b64 s[70:71], s[40:41], 3
	s_wait_alu 0xfffe
	v_add_co_u32 v2, vcc_lo, v2, s70
	s_wait_alu 0xfffd
	v_add_co_ci_u32_e64 v3, null, s71, v3, vcc_lo
	s_delay_alu instid0(VALU_DEP_2) | instskip(SKIP_1) | instid1(VALU_DEP_2)
	v_add_co_u32 v2, vcc_lo, v2, -8
	s_wait_alu 0xfffd
	v_add_co_ci_u32_e64 v3, null, -1, v3, vcc_lo
	s_delay_alu instid0(VALU_DEP_2) | instskip(NEXT) | instid1(VALU_DEP_2)
	v_cndmask_b32_e64 v2, v2, v0, s2
	v_cndmask_b32_e64 v3, v3, v1, s2
	s_xor_b32 exec_lo, exec_lo, s38
	s_cbranch_execnz .LBB44_120
; %bb.19:                               ;   in Loop: Header=BB44_4 Depth=1
	s_or_b32 exec_lo, exec_lo, s38
	s_and_saveexec_b32 s38, s4
	s_wait_alu 0xfffe
	s_xor_b32 s38, exec_lo, s38
	s_cbranch_execnz .LBB44_121
.LBB44_20:                              ;   in Loop: Header=BB44_4 Depth=1
	s_wait_alu 0xfffe
	s_and_not1_saveexec_b32 s38, s38
	s_cbranch_execnz .LBB44_122
.LBB44_21:                              ;   in Loop: Header=BB44_4 Depth=1
	s_wait_alu 0xfffe
	s_or_b32 exec_lo, exec_lo, s38
	s_and_saveexec_b32 s38, s5
	s_wait_alu 0xfffe
	s_xor_b32 s38, exec_lo, s38
	s_cbranch_execnz .LBB44_123
.LBB44_22:                              ;   in Loop: Header=BB44_4 Depth=1
	s_wait_alu 0xfffe
	s_and_not1_saveexec_b32 s38, s38
	s_cbranch_execnz .LBB44_124
.LBB44_23:                              ;   in Loop: Header=BB44_4 Depth=1
	s_wait_alu 0xfffe
	s_or_b32 exec_lo, exec_lo, s38
	s_and_saveexec_b32 s38, s6
	s_wait_alu 0xfffe
	s_xor_b32 s38, exec_lo, s38
	s_cbranch_execnz .LBB44_125
.LBB44_24:                              ;   in Loop: Header=BB44_4 Depth=1
	s_wait_alu 0xfffe
	s_and_not1_saveexec_b32 s38, s38
	s_cbranch_execz .LBB44_26
.LBB44_25:                              ;   in Loop: Header=BB44_4 Depth=1
	v_add_co_u32 v4, vcc_lo, v2, s52
	s_wait_alu 0xfffd
	v_add_co_ci_u32_e64 v5, null, s53, v3, vcc_lo
	flat_load_b64 v[4:5], v[4:5]
	s_wait_loadcnt_dscnt 0x0
	ds_store_b64 v102, v[4:5] offset:6336
.LBB44_26:                              ;   in Loop: Header=BB44_4 Depth=1
	s_wait_alu 0xfffe
	s_or_b32 exec_lo, exec_lo, s38
	v_add_co_u32 v2, vcc_lo, v2, v107
	s_wait_alu 0xfffd
	v_add_co_ci_u32_e64 v3, null, 0, v3, vcc_lo
	s_lshl_b64 s[70:71], s[56:57], 3
	s_wait_alu 0xfffe
	v_add_co_u32 v2, vcc_lo, v2, s70
	s_wait_alu 0xfffd
	v_add_co_ci_u32_e64 v3, null, s71, v3, vcc_lo
	s_delay_alu instid0(VALU_DEP_2) | instskip(SKIP_1) | instid1(VALU_DEP_2)
	v_add_co_u32 v2, vcc_lo, v2, 8
	s_wait_alu 0xfffd
	v_add_co_ci_u32_e64 v3, null, 0, v3, vcc_lo
	s_delay_alu instid0(VALU_DEP_2) | instskip(NEXT) | instid1(VALU_DEP_2)
	v_cndmask_b32_e64 v0, v2, v0, s2
	v_cndmask_b32_e64 v1, v3, v1, s2
.LBB44_27:                              ;   in Loop: Header=BB44_4 Depth=1
	s_mov_b32 s38, 0
	s_wait_dscnt 0x0
	s_barrier_signal -1
	s_barrier_wait -1
	global_inv scope:SCOPE_SE
	s_and_saveexec_b32 s70, s7
	s_wait_alu 0xfffe
	s_xor_b32 s70, exec_lo, s70
; %bb.28:                               ;   in Loop: Header=BB44_4 Depth=1
	s_and_b32 s38, s8, exec_lo
; %bb.29:                               ;   in Loop: Header=BB44_4 Depth=1
	s_wait_alu 0xfffe
	s_or_saveexec_b32 s70, s70
	v_dual_mov_b32 v2, 0 :: v_dual_mov_b32 v3, v85
	s_wait_alu 0xfffe
	s_xor_b32 exec_lo, exec_lo, s70
	s_cbranch_execz .LBB44_31
; %bb.30:                               ;   in Loop: Header=BB44_4 Depth=1
	ds_load_b64 v[4:5], v103
	v_mov_b32_e32 v3, v86
	s_or_b32 s38, s38, exec_lo
	s_wait_dscnt 0x0
	v_xor_b32_e32 v2, 0x80000000, v5
	ds_store_b32 v86, v4
.LBB44_31:                              ;   in Loop: Header=BB44_4 Depth=1
	s_or_b32 exec_lo, exec_lo, s70
	s_wait_alu 0xfffe
	s_and_saveexec_b32 s70, s38
; %bb.32:                               ;   in Loop: Header=BB44_4 Depth=1
	ds_store_b32 v3, v2 offset:4
; %bb.33:                               ;   in Loop: Header=BB44_4 Depth=1
	s_wait_alu 0xfffe
	s_or_b32 exec_lo, exec_lo, s70
	s_mov_b32 s38, 0
	s_and_saveexec_b32 s70, s9
	s_wait_alu 0xfffe
	s_xor_b32 s70, exec_lo, s70
; %bb.34:                               ;   in Loop: Header=BB44_4 Depth=1
	s_and_b32 s38, s10, exec_lo
; %bb.35:                               ;   in Loop: Header=BB44_4 Depth=1
	s_wait_alu 0xfffe
	s_or_saveexec_b32 s70, s70
	v_dual_mov_b32 v2, 0 :: v_dual_mov_b32 v3, v85
	s_wait_alu 0xfffe
	s_xor_b32 exec_lo, exec_lo, s70
	s_cbranch_execz .LBB44_37
; %bb.36:                               ;   in Loop: Header=BB44_4 Depth=1
	ds_load_b64 v[4:5], v104
	v_mov_b32_e32 v3, v87
	s_or_b32 s38, s38, exec_lo
	s_wait_dscnt 0x0
	v_xor_b32_e32 v2, 0x80000000, v5
	ds_store_b32 v87, v4
.LBB44_37:                              ;   in Loop: Header=BB44_4 Depth=1
	s_or_b32 exec_lo, exec_lo, s70
	s_wait_alu 0xfffe
	s_and_saveexec_b32 s70, s38
; %bb.38:                               ;   in Loop: Header=BB44_4 Depth=1
	ds_store_b32 v3, v2 offset:4
; %bb.39:                               ;   in Loop: Header=BB44_4 Depth=1
	s_wait_alu 0xfffe
	s_or_b32 exec_lo, exec_lo, s70
	s_mov_b32 s38, 0
	s_and_saveexec_b32 s70, s11
	s_wait_alu 0xfffe
	s_xor_b32 s70, exec_lo, s70
; %bb.40:                               ;   in Loop: Header=BB44_4 Depth=1
	s_and_b32 s38, s12, exec_lo
; %bb.41:                               ;   in Loop: Header=BB44_4 Depth=1
	s_wait_alu 0xfffe
	s_or_saveexec_b32 s70, s70
	v_dual_mov_b32 v2, 0 :: v_dual_mov_b32 v3, v85
	s_wait_alu 0xfffe
	s_xor_b32 exec_lo, exec_lo, s70
	s_cbranch_execz .LBB44_43
; %bb.42:                               ;   in Loop: Header=BB44_4 Depth=1
	ds_load_b64 v[4:5], v104 offset:264
	v_mov_b32_e32 v3, v88
	s_or_b32 s38, s38, exec_lo
	s_wait_dscnt 0x0
	v_xor_b32_e32 v2, 0x80000000, v5
	ds_store_b32 v88, v4
.LBB44_43:                              ;   in Loop: Header=BB44_4 Depth=1
	s_or_b32 exec_lo, exec_lo, s70
	s_wait_alu 0xfffe
	s_and_saveexec_b32 s70, s38
; %bb.44:                               ;   in Loop: Header=BB44_4 Depth=1
	ds_store_b32 v3, v2 offset:4
; %bb.45:                               ;   in Loop: Header=BB44_4 Depth=1
	s_wait_alu 0xfffe
	s_or_b32 exec_lo, exec_lo, s70
	s_mov_b32 s38, 0
	s_and_saveexec_b32 s70, s13
	s_wait_alu 0xfffe
	s_xor_b32 s70, exec_lo, s70
; %bb.46:                               ;   in Loop: Header=BB44_4 Depth=1
	s_and_b32 s38, s14, exec_lo
; %bb.47:                               ;   in Loop: Header=BB44_4 Depth=1
	s_wait_alu 0xfffe
	s_or_saveexec_b32 s70, s70
	v_dual_mov_b32 v2, 0 :: v_dual_mov_b32 v3, v85
	s_wait_alu 0xfffe
	s_xor_b32 exec_lo, exec_lo, s70
	s_cbranch_execz .LBB44_49
; %bb.48:                               ;   in Loop: Header=BB44_4 Depth=1
	ds_load_b64 v[4:5], v104 offset:528
	v_mov_b32_e32 v3, v90
	s_or_b32 s38, s38, exec_lo
	s_wait_dscnt 0x0
	v_xor_b32_e32 v2, 0x80000000, v5
	ds_store_b32 v90, v4
.LBB44_49:                              ;   in Loop: Header=BB44_4 Depth=1
	s_or_b32 exec_lo, exec_lo, s70
	s_wait_alu 0xfffe
	s_and_saveexec_b32 s70, s38
; %bb.50:                               ;   in Loop: Header=BB44_4 Depth=1
	ds_store_b32 v3, v2 offset:4
; %bb.51:                               ;   in Loop: Header=BB44_4 Depth=1
	s_wait_alu 0xfffe
	s_or_b32 exec_lo, exec_lo, s70
	s_wait_loadcnt_dscnt 0x0
	s_barrier_signal -1
	s_barrier_wait -1
	global_inv scope:SCOPE_SE
	ds_load_b64 v[14:15], v103
	ds_load_b128 v[2:5], v91
	ds_load_2addr_b64 v[6:9], v104 offset1:33
	ds_load_b128 v[10:13], v91 offset:16
	ds_load_b64 v[18:19], v104 offset:528
	s_wait_loadcnt_dscnt 0x0
	s_barrier_signal -1
	s_barrier_wait -1
	global_inv scope:SCOPE_SE
	v_dual_mov_b32 v47, 0 :: v_dual_mul_f32 v20, v3, v15
	v_dual_mul_f32 v15, v2, v15 :: v_dual_mul_f32 v22, v11, v9
	v_mul_f32_e32 v9, v10, v9
	s_delay_alu instid0(VALU_DEP_3) | instskip(SKIP_1) | instid1(VALU_DEP_4)
	v_fma_f32 v2, v2, v14, -v20
	v_mul_f32_e32 v21, v5, v7
	v_fmac_f32_e32 v15, v3, v14
	s_delay_alu instid0(VALU_DEP_4) | instskip(SKIP_3) | instid1(VALU_DEP_1)
	v_fmac_f32_e32 v9, v11, v8
	v_fma_f32 v10, v10, v8, -v22
	v_dual_add_f32 v2, 0, v2 :: v_dual_mul_f32 v7, v4, v7
	v_fma_f32 v4, v4, v6, -v21
	v_dual_add_f32 v2, v2, v4 :: v_dual_fmac_f32 v7, v5, v6
	v_mul_f32_e32 v6, v12, v19
	v_add_f32_e32 v5, 0, v15
	s_delay_alu instid0(VALU_DEP_3) | instskip(NEXT) | instid1(VALU_DEP_3)
	v_dual_mul_f32 v3, v13, v19 :: v_dual_add_f32 v2, v2, v10
	v_fmac_f32_e32 v6, v13, v18
	s_delay_alu instid0(VALU_DEP_3) | instskip(NEXT) | instid1(VALU_DEP_3)
	v_add_f32_e32 v4, v5, v7
	v_fma_f32 v3, v12, v18, -v3
	s_delay_alu instid0(VALU_DEP_2) | instskip(SKIP_1) | instid1(VALU_DEP_2)
	v_add_f32_e32 v4, v4, v9
	v_mov_b32_e32 v46, 0
	v_dual_add_f32 v2, v2, v3 :: v_dual_add_f32 v3, v4, v6
	ds_store_b64 v92, v[2:3]
	s_wait_loadcnt_dscnt 0x0
	s_barrier_signal -1
	s_barrier_wait -1
	global_inv scope:SCOPE_SE
	s_and_saveexec_b32 s38, s15
	s_cbranch_execz .LBB44_53
; %bb.52:                               ;   in Loop: Header=BB44_4 Depth=1
	ds_load_2addr_b64 v[2:5], v89 offset1:7
	ds_load_2addr_b64 v[6:9], v89 offset0:1 offset1:2
	ds_load_2addr_b64 v[10:13], v89 offset0:3 offset1:4
	;; [unrolled: 1-line block ×3, first 2 shown]
	s_wait_dscnt 0x2
	v_dual_add_f32 v2, v6, v2 :: v_dual_add_f32 v3, v7, v3
	s_delay_alu instid0(VALU_DEP_1) | instskip(SKIP_1) | instid1(VALU_DEP_1)
	v_dual_add_f32 v2, v8, v2 :: v_dual_add_f32 v3, v9, v3
	s_wait_dscnt 0x1
	v_dual_add_f32 v2, v2, v10 :: v_dual_add_f32 v3, v3, v11
	s_delay_alu instid0(VALU_DEP_1) | instskip(SKIP_1) | instid1(VALU_DEP_1)
	v_dual_add_f32 v2, v2, v12 :: v_dual_add_f32 v3, v3, v13
	s_wait_dscnt 0x0
	v_dual_add_f32 v2, v2, v18 :: v_dual_add_f32 v3, v3, v19
	s_delay_alu instid0(VALU_DEP_1) | instskip(NEXT) | instid1(VALU_DEP_1)
	v_dual_add_f32 v2, v2, v20 :: v_dual_add_f32 v3, v3, v21
	v_dual_add_f32 v46, v2, v4 :: v_dual_add_f32 v47, v3, v5
.LBB44_53:                              ;   in Loop: Header=BB44_4 Depth=1
	s_wait_alu 0xfffe
	s_or_b32 exec_lo, exec_lo, s38
	s_lshl_b64 s[70:71], s[54:55], 3
	s_mov_b32 s38, -1
	s_wait_alu 0xfffe
	v_add_co_u32 v0, vcc_lo, v0, s70
	s_wait_alu 0xfffd
	v_add_co_ci_u32_e64 v1, null, s71, v1, vcc_lo
	s_and_not1_b32 vcc_lo, exec_lo, s72
	s_wait_loadcnt 0x0
	s_barrier_signal -1
	s_barrier_wait -1
	global_inv scope:SCOPE_SE
	s_wait_alu 0xfffe
	s_cbranch_vccnz .LBB44_55
; %bb.54:                               ;   in Loop: Header=BB44_4 Depth=1
	v_add_co_u32 v2, vcc_lo, v0, s48
	s_wait_alu 0xfffd
	v_add_co_ci_u32_e64 v3, null, s49, v1, vcc_lo
	s_mov_b32 s38, 0
	v_add_co_u32 v4, vcc_lo, v2, s48
	s_wait_alu 0xfffd
	v_add_co_ci_u32_e64 v5, null, s49, v3, vcc_lo
	s_delay_alu instid0(VALU_DEP_2) | instskip(SKIP_1) | instid1(VALU_DEP_2)
	v_add_co_u32 v6, vcc_lo, v4, s48
	s_wait_alu 0xfffd
	v_add_co_ci_u32_e64 v7, null, s49, v5, vcc_lo
	s_clause 0x3
	flat_load_b64 v[8:9], v[0:1] offset:256
	flat_load_b64 v[2:3], v[2:3] offset:256
	flat_load_b64 v[4:5], v[4:5] offset:256
	flat_load_b64 v[6:7], v[6:7] offset:256
	s_wait_loadcnt_dscnt 0x303
	ds_store_b64 v102, v[8:9]
	s_wait_loadcnt_dscnt 0x203
	ds_store_b64 v102, v[2:3] offset:2112
	s_wait_loadcnt_dscnt 0x103
	ds_store_b64 v102, v[4:5] offset:4224
	s_wait_loadcnt_dscnt 0x3
	ds_store_b64 v102, v[6:7] offset:6336
.LBB44_55:                              ;   in Loop: Header=BB44_4 Depth=1
	v_add_co_u32 v2, vcc_lo, 0x100, v0
	s_wait_alu 0xfffd
	v_add_co_ci_u32_e64 v3, null, 0, v1, vcc_lo
	s_wait_alu 0xfffe
	s_and_not1_b32 vcc_lo, exec_lo, s38
	s_wait_alu 0xfffe
	s_cbranch_vccnz .LBB44_67
; %bb.56:                               ;   in Loop: Header=BB44_4 Depth=1
	s_and_saveexec_b32 s38, s17
	s_wait_alu 0xfffe
	s_xor_b32 s38, exec_lo, s38
; %bb.57:                               ;   in Loop: Header=BB44_4 Depth=1
	v_mov_b32_e32 v32, v33
	ds_store_b64 v102, v[32:33]
; %bb.58:                               ;   in Loop: Header=BB44_4 Depth=1
	s_wait_alu 0xfffe
	s_or_saveexec_b32 s38, s38
	v_add_co_u32 v0, vcc_lo, v0, v38
	s_wait_alu 0xfffd
	v_add_co_ci_u32_e64 v1, null, v1, v39, vcc_lo
	s_lshl_b64 s[70:71], s[40:41], 3
	s_wait_alu 0xfffe
	v_add_co_u32 v0, vcc_lo, v0, s70
	s_wait_alu 0xfffd
	v_add_co_ci_u32_e64 v1, null, s71, v1, vcc_lo
	s_delay_alu instid0(VALU_DEP_2) | instskip(SKIP_1) | instid1(VALU_DEP_2)
	v_add_co_u32 v0, vcc_lo, v0, -8
	s_wait_alu 0xfffd
	v_add_co_ci_u32_e64 v1, null, -1, v1, vcc_lo
	s_delay_alu instid0(VALU_DEP_2) | instskip(NEXT) | instid1(VALU_DEP_2)
	v_cndmask_b32_e64 v0, v0, v2, s16
	v_cndmask_b32_e64 v1, v1, v3, s16
	s_xor_b32 exec_lo, exec_lo, s38
	s_cbranch_execnz .LBB44_126
; %bb.59:                               ;   in Loop: Header=BB44_4 Depth=1
	s_or_b32 exec_lo, exec_lo, s38
	s_and_saveexec_b32 s38, s18
	s_wait_alu 0xfffe
	s_xor_b32 s38, exec_lo, s38
	s_cbranch_execnz .LBB44_127
.LBB44_60:                              ;   in Loop: Header=BB44_4 Depth=1
	s_wait_alu 0xfffe
	s_and_not1_saveexec_b32 s38, s38
	s_cbranch_execnz .LBB44_128
.LBB44_61:                              ;   in Loop: Header=BB44_4 Depth=1
	s_wait_alu 0xfffe
	s_or_b32 exec_lo, exec_lo, s38
	s_and_saveexec_b32 s38, s19
	s_wait_alu 0xfffe
	s_xor_b32 s38, exec_lo, s38
	s_cbranch_execnz .LBB44_129
.LBB44_62:                              ;   in Loop: Header=BB44_4 Depth=1
	s_wait_alu 0xfffe
	s_and_not1_saveexec_b32 s38, s38
	s_cbranch_execnz .LBB44_130
.LBB44_63:                              ;   in Loop: Header=BB44_4 Depth=1
	s_wait_alu 0xfffe
	s_or_b32 exec_lo, exec_lo, s38
	s_and_saveexec_b32 s38, s20
	s_wait_alu 0xfffe
	s_xor_b32 s38, exec_lo, s38
	s_cbranch_execnz .LBB44_131
.LBB44_64:                              ;   in Loop: Header=BB44_4 Depth=1
	s_wait_alu 0xfffe
	s_and_not1_saveexec_b32 s38, s38
	s_cbranch_execz .LBB44_66
.LBB44_65:                              ;   in Loop: Header=BB44_4 Depth=1
	v_add_co_u32 v4, vcc_lo, v0, s52
	s_wait_alu 0xfffd
	v_add_co_ci_u32_e64 v5, null, s53, v1, vcc_lo
	flat_load_b64 v[4:5], v[4:5]
	s_wait_loadcnt_dscnt 0x0
	ds_store_b64 v102, v[4:5] offset:6336
.LBB44_66:                              ;   in Loop: Header=BB44_4 Depth=1
	s_wait_alu 0xfffe
	s_or_b32 exec_lo, exec_lo, s38
	v_add_co_u32 v0, vcc_lo, v0, v107
	s_wait_alu 0xfffd
	v_add_co_ci_u32_e64 v1, null, 0, v1, vcc_lo
	s_lshl_b64 s[70:71], s[56:57], 3
	s_wait_alu 0xfffe
	v_add_co_u32 v0, vcc_lo, v0, s70
	s_wait_alu 0xfffd
	v_add_co_ci_u32_e64 v1, null, s71, v1, vcc_lo
	s_delay_alu instid0(VALU_DEP_2) | instskip(SKIP_1) | instid1(VALU_DEP_2)
	v_add_co_u32 v0, vcc_lo, 0x108, v0
	s_wait_alu 0xfffd
	v_add_co_ci_u32_e64 v1, null, 0, v1, vcc_lo
	s_delay_alu instid0(VALU_DEP_2) | instskip(NEXT) | instid1(VALU_DEP_2)
	v_cndmask_b32_e64 v2, v0, v2, s16
	v_cndmask_b32_e64 v3, v1, v3, s16
.LBB44_67:                              ;   in Loop: Header=BB44_4 Depth=1
	s_mov_b32 s38, 0
	s_wait_loadcnt_dscnt 0x0
	s_barrier_signal -1
	s_barrier_wait -1
	global_inv scope:SCOPE_SE
	s_and_saveexec_b32 s70, s7
	s_wait_alu 0xfffe
	s_xor_b32 s70, exec_lo, s70
; %bb.68:                               ;   in Loop: Header=BB44_4 Depth=1
	s_and_b32 s38, s8, exec_lo
; %bb.69:                               ;   in Loop: Header=BB44_4 Depth=1
	s_wait_alu 0xfffe
	s_or_saveexec_b32 s70, s70
	v_dual_mov_b32 v0, 0 :: v_dual_mov_b32 v1, v85
	s_wait_alu 0xfffe
	s_xor_b32 exec_lo, exec_lo, s70
	s_cbranch_execz .LBB44_71
; %bb.70:                               ;   in Loop: Header=BB44_4 Depth=1
	ds_load_b64 v[4:5], v103
	v_mov_b32_e32 v1, v86
	s_or_b32 s38, s38, exec_lo
	s_wait_dscnt 0x0
	v_xor_b32_e32 v0, 0x80000000, v5
	ds_store_b32 v86, v4
.LBB44_71:                              ;   in Loop: Header=BB44_4 Depth=1
	s_or_b32 exec_lo, exec_lo, s70
	s_wait_alu 0xfffe
	s_and_saveexec_b32 s70, s38
; %bb.72:                               ;   in Loop: Header=BB44_4 Depth=1
	ds_store_b32 v1, v0 offset:4
; %bb.73:                               ;   in Loop: Header=BB44_4 Depth=1
	s_wait_alu 0xfffe
	s_or_b32 exec_lo, exec_lo, s70
	s_mov_b32 s38, 0
	s_and_saveexec_b32 s70, s9
	s_wait_alu 0xfffe
	s_xor_b32 s70, exec_lo, s70
; %bb.74:                               ;   in Loop: Header=BB44_4 Depth=1
	s_and_b32 s38, s10, exec_lo
; %bb.75:                               ;   in Loop: Header=BB44_4 Depth=1
	s_wait_alu 0xfffe
	s_or_saveexec_b32 s70, s70
	v_dual_mov_b32 v0, 0 :: v_dual_mov_b32 v1, v85
	s_wait_alu 0xfffe
	s_xor_b32 exec_lo, exec_lo, s70
	s_cbranch_execz .LBB44_77
; %bb.76:                               ;   in Loop: Header=BB44_4 Depth=1
	ds_load_b64 v[4:5], v104
	v_mov_b32_e32 v1, v87
	s_or_b32 s38, s38, exec_lo
	s_wait_dscnt 0x0
	v_xor_b32_e32 v0, 0x80000000, v5
	ds_store_b32 v87, v4
.LBB44_77:                              ;   in Loop: Header=BB44_4 Depth=1
	s_or_b32 exec_lo, exec_lo, s70
	s_wait_alu 0xfffe
	s_and_saveexec_b32 s70, s38
; %bb.78:                               ;   in Loop: Header=BB44_4 Depth=1
	ds_store_b32 v1, v0 offset:4
; %bb.79:                               ;   in Loop: Header=BB44_4 Depth=1
	s_wait_alu 0xfffe
	s_or_b32 exec_lo, exec_lo, s70
	s_mov_b32 s38, 0
	s_and_saveexec_b32 s70, s11
	s_wait_alu 0xfffe
	s_xor_b32 s70, exec_lo, s70
; %bb.80:                               ;   in Loop: Header=BB44_4 Depth=1
	s_and_b32 s38, s12, exec_lo
; %bb.81:                               ;   in Loop: Header=BB44_4 Depth=1
	s_wait_alu 0xfffe
	s_or_saveexec_b32 s70, s70
	v_dual_mov_b32 v0, 0 :: v_dual_mov_b32 v1, v85
	s_wait_alu 0xfffe
	s_xor_b32 exec_lo, exec_lo, s70
	s_cbranch_execz .LBB44_83
; %bb.82:                               ;   in Loop: Header=BB44_4 Depth=1
	ds_load_b64 v[4:5], v104 offset:264
	v_mov_b32_e32 v1, v88
	s_or_b32 s38, s38, exec_lo
	s_wait_dscnt 0x0
	v_xor_b32_e32 v0, 0x80000000, v5
	ds_store_b32 v88, v4
.LBB44_83:                              ;   in Loop: Header=BB44_4 Depth=1
	s_or_b32 exec_lo, exec_lo, s70
	s_wait_alu 0xfffe
	s_and_saveexec_b32 s70, s38
; %bb.84:                               ;   in Loop: Header=BB44_4 Depth=1
	ds_store_b32 v1, v0 offset:4
; %bb.85:                               ;   in Loop: Header=BB44_4 Depth=1
	s_wait_alu 0xfffe
	s_or_b32 exec_lo, exec_lo, s70
	s_mov_b32 s38, 0
	s_and_saveexec_b32 s70, s13
	s_wait_alu 0xfffe
	s_xor_b32 s70, exec_lo, s70
; %bb.86:                               ;   in Loop: Header=BB44_4 Depth=1
	s_and_b32 s38, s14, exec_lo
; %bb.87:                               ;   in Loop: Header=BB44_4 Depth=1
	s_wait_alu 0xfffe
	s_or_saveexec_b32 s70, s70
	v_dual_mov_b32 v0, 0 :: v_dual_mov_b32 v1, v85
	s_wait_alu 0xfffe
	s_xor_b32 exec_lo, exec_lo, s70
	s_cbranch_execz .LBB44_89
; %bb.88:                               ;   in Loop: Header=BB44_4 Depth=1
	ds_load_b64 v[4:5], v104 offset:528
	v_mov_b32_e32 v1, v90
	s_or_b32 s38, s38, exec_lo
	s_wait_dscnt 0x0
	v_xor_b32_e32 v0, 0x80000000, v5
	ds_store_b32 v90, v4
.LBB44_89:                              ;   in Loop: Header=BB44_4 Depth=1
	s_or_b32 exec_lo, exec_lo, s70
	s_wait_alu 0xfffe
	s_and_saveexec_b32 s70, s38
; %bb.90:                               ;   in Loop: Header=BB44_4 Depth=1
	ds_store_b32 v1, v0 offset:4
; %bb.91:                               ;   in Loop: Header=BB44_4 Depth=1
	s_wait_alu 0xfffe
	s_or_b32 exec_lo, exec_lo, s70
	s_wait_loadcnt_dscnt 0x0
	s_barrier_signal -1
	s_barrier_wait -1
	global_inv scope:SCOPE_SE
	ds_load_b64 v[0:1], v103
	ds_load_b128 v[4:7], v91 offset:256
	ds_load_2addr_b64 v[8:11], v104 offset1:33
	ds_load_b128 v[12:15], v91 offset:272
	ds_load_b64 v[18:19], v104 offset:528
	s_wait_loadcnt_dscnt 0x0
	s_barrier_signal -1
	s_barrier_wait -1
	global_inv scope:SCOPE_SE
	v_mul_f32_e32 v20, v5, v1
	v_dual_mul_f32 v1, v4, v1 :: v_dual_mul_f32 v22, v13, v11
	v_mul_f32_e32 v11, v12, v11
	s_delay_alu instid0(VALU_DEP_3) | instskip(SKIP_3) | instid1(VALU_DEP_4)
	v_fma_f32 v4, v4, v0, -v20
	v_mul_f32_e32 v21, v7, v9
	v_mul_f32_e32 v9, v6, v9
	v_dual_fmac_f32 v1, v5, v0 :: v_dual_mul_f32 v0, v15, v19
	v_add_f32_e32 v4, 0, v4
	s_delay_alu instid0(VALU_DEP_4) | instskip(NEXT) | instid1(VALU_DEP_4)
	v_fma_f32 v5, v6, v8, -v21
	v_dual_fmac_f32 v9, v7, v8 :: v_dual_mul_f32 v6, v14, v19
	s_delay_alu instid0(VALU_DEP_4) | instskip(SKIP_1) | instid1(VALU_DEP_4)
	v_add_f32_e32 v1, 0, v1
	v_fma_f32 v7, v12, v10, -v22
	v_dual_add_f32 v4, v4, v5 :: v_dual_fmac_f32 v11, v13, v10
	v_fma_f32 v0, v14, v18, -v0
	v_fmac_f32_e32 v6, v15, v18
	s_delay_alu instid0(VALU_DEP_3) | instskip(NEXT) | instid1(VALU_DEP_1)
	v_dual_add_f32 v4, v4, v7 :: v_dual_add_f32 v1, v1, v9
	v_dual_add_f32 v0, v4, v0 :: v_dual_add_f32 v1, v1, v11
	s_delay_alu instid0(VALU_DEP_1)
	v_add_f32_e32 v1, v1, v6
	ds_store_b64 v92, v[0:1]
	s_wait_loadcnt_dscnt 0x0
	s_barrier_signal -1
	s_barrier_wait -1
	global_inv scope:SCOPE_SE
	s_and_saveexec_b32 s38, s21
	s_cbranch_execz .LBB44_93
; %bb.92:                               ;   in Loop: Header=BB44_4 Depth=1
	ds_load_2addr_b64 v[4:7], v89 offset1:7
	ds_load_2addr_b64 v[8:11], v89 offset0:1 offset1:2
	ds_load_2addr_b64 v[12:15], v89 offset0:3 offset1:4
	;; [unrolled: 1-line block ×3, first 2 shown]
	s_wait_dscnt 0x2
	v_dual_add_f32 v0, v8, v4 :: v_dual_add_f32 v1, v9, v5
	s_delay_alu instid0(VALU_DEP_1) | instskip(SKIP_1) | instid1(VALU_DEP_1)
	v_dual_add_f32 v0, v10, v0 :: v_dual_add_f32 v1, v11, v1
	s_wait_dscnt 0x1
	v_dual_add_f32 v0, v0, v12 :: v_dual_add_f32 v1, v1, v13
	s_delay_alu instid0(VALU_DEP_1) | instskip(SKIP_1) | instid1(VALU_DEP_1)
	v_dual_add_f32 v0, v0, v14 :: v_dual_add_f32 v1, v1, v15
	s_wait_dscnt 0x0
	v_dual_add_f32 v0, v0, v18 :: v_dual_add_f32 v1, v1, v19
	s_delay_alu instid0(VALU_DEP_1) | instskip(NEXT) | instid1(VALU_DEP_1)
	v_dual_add_f32 v0, v0, v20 :: v_dual_add_f32 v1, v1, v21
	v_dual_add_f32 v46, v0, v6 :: v_dual_add_f32 v47, v1, v7
.LBB44_93:                              ;   in Loop: Header=BB44_4 Depth=1
	s_wait_alu 0xfffe
	s_or_b32 exec_lo, exec_lo, s38
	v_add_co_u32 v18, vcc_lo, v2, s64
	s_wait_alu 0xfffd
	v_add_co_ci_u32_e64 v19, null, s65, v3, vcc_lo
	s_and_not1_b32 vcc_lo, exec_lo, s72
	s_mov_b32 s38, -1
	s_wait_loadcnt 0x0
	s_barrier_signal -1
	s_barrier_wait -1
	global_inv scope:SCOPE_SE
	s_wait_alu 0xfffe
	s_cbranch_vccnz .LBB44_95
; %bb.94:                               ;   in Loop: Header=BB44_4 Depth=1
	v_add_co_u32 v0, vcc_lo, v18, s48
	s_wait_alu 0xfffd
	v_add_co_ci_u32_e64 v1, null, s49, v19, vcc_lo
	s_mov_b32 s38, 0
	v_add_co_u32 v2, vcc_lo, v0, s48
	s_wait_alu 0xfffd
	v_add_co_ci_u32_e64 v3, null, s49, v1, vcc_lo
	s_delay_alu instid0(VALU_DEP_2) | instskip(SKIP_1) | instid1(VALU_DEP_2)
	v_add_co_u32 v4, vcc_lo, v2, s48
	s_wait_alu 0xfffd
	v_add_co_ci_u32_e64 v5, null, s49, v3, vcc_lo
	s_clause 0x3
	flat_load_b64 v[6:7], v[18:19]
	flat_load_b64 v[0:1], v[0:1]
	;; [unrolled: 1-line block ×4, first 2 shown]
	s_wait_loadcnt_dscnt 0x303
	ds_store_b64 v102, v[6:7]
	s_wait_loadcnt_dscnt 0x203
	ds_store_b64 v102, v[0:1] offset:2112
	s_wait_loadcnt_dscnt 0x103
	ds_store_b64 v102, v[2:3] offset:4224
	;; [unrolled: 2-line block ×3, first 2 shown]
.LBB44_95:                              ;   in Loop: Header=BB44_4 Depth=1
	s_wait_alu 0xfffe
	s_and_not1_b32 vcc_lo, exec_lo, s38
	s_wait_alu 0xfffe
	s_cbranch_vccnz .LBB44_107
; %bb.96:                               ;   in Loop: Header=BB44_4 Depth=1
	s_and_saveexec_b32 s38, s3
	s_wait_alu 0xfffe
	s_xor_b32 s38, exec_lo, s38
; %bb.97:                               ;   in Loop: Header=BB44_4 Depth=1
	v_mov_b32_e32 v32, v33
	ds_store_b64 v102, v[32:33]
; %bb.98:                               ;   in Loop: Header=BB44_4 Depth=1
	s_wait_alu 0xfffe
	s_or_saveexec_b32 s38, s38
	v_add_co_u32 v0, vcc_lo, v18, v38
	s_wait_alu 0xfffd
	v_add_co_ci_u32_e64 v1, null, v19, v39, vcc_lo
	s_lshl_b64 s[70:71], s[40:41], 3
	s_wait_alu 0xfffe
	v_add_co_u32 v0, vcc_lo, v0, s70
	s_wait_alu 0xfffd
	v_add_co_ci_u32_e64 v1, null, s71, v1, vcc_lo
	s_delay_alu instid0(VALU_DEP_2) | instskip(SKIP_1) | instid1(VALU_DEP_2)
	v_add_co_u32 v0, vcc_lo, 0xfffffef8, v0
	s_wait_alu 0xfffd
	v_add_co_ci_u32_e64 v1, null, -1, v1, vcc_lo
	s_delay_alu instid0(VALU_DEP_2) | instskip(NEXT) | instid1(VALU_DEP_2)
	v_cndmask_b32_e64 v0, v0, v18, s16
	v_cndmask_b32_e64 v1, v1, v19, s16
	s_xor_b32 exec_lo, exec_lo, s38
	s_cbranch_execnz .LBB44_132
; %bb.99:                               ;   in Loop: Header=BB44_4 Depth=1
	s_or_b32 exec_lo, exec_lo, s38
	s_and_saveexec_b32 s38, s4
	s_wait_alu 0xfffe
	s_xor_b32 s38, exec_lo, s38
	s_cbranch_execnz .LBB44_133
.LBB44_100:                             ;   in Loop: Header=BB44_4 Depth=1
	s_wait_alu 0xfffe
	s_and_not1_saveexec_b32 s38, s38
	s_cbranch_execnz .LBB44_134
.LBB44_101:                             ;   in Loop: Header=BB44_4 Depth=1
	s_wait_alu 0xfffe
	s_or_b32 exec_lo, exec_lo, s38
	s_and_saveexec_b32 s38, s5
	s_wait_alu 0xfffe
	s_xor_b32 s38, exec_lo, s38
	s_cbranch_execnz .LBB44_135
.LBB44_102:                             ;   in Loop: Header=BB44_4 Depth=1
	s_wait_alu 0xfffe
	s_and_not1_saveexec_b32 s38, s38
	s_cbranch_execnz .LBB44_136
.LBB44_103:                             ;   in Loop: Header=BB44_4 Depth=1
	s_wait_alu 0xfffe
	s_or_b32 exec_lo, exec_lo, s38
	s_and_saveexec_b32 s38, s6
	s_wait_alu 0xfffe
	s_xor_b32 s38, exec_lo, s38
	s_cbranch_execnz .LBB44_137
.LBB44_104:                             ;   in Loop: Header=BB44_4 Depth=1
	s_wait_alu 0xfffe
	s_and_not1_saveexec_b32 s38, s38
	s_cbranch_execz .LBB44_106
.LBB44_105:                             ;   in Loop: Header=BB44_4 Depth=1
	v_add_co_u32 v2, vcc_lo, v0, s52
	s_wait_alu 0xfffd
	v_add_co_ci_u32_e64 v3, null, s53, v1, vcc_lo
	flat_load_b64 v[2:3], v[2:3]
	s_wait_loadcnt_dscnt 0x0
	ds_store_b64 v102, v[2:3] offset:6336
.LBB44_106:                             ;   in Loop: Header=BB44_4 Depth=1
	s_wait_alu 0xfffe
	s_or_b32 exec_lo, exec_lo, s38
	v_add_co_u32 v0, vcc_lo, v0, v107
	s_wait_alu 0xfffd
	v_add_co_ci_u32_e64 v1, null, 0, v1, vcc_lo
	s_lshl_b64 s[70:71], s[56:57], 3
	s_wait_alu 0xfffe
	v_add_co_u32 v0, vcc_lo, v0, s70
	s_wait_alu 0xfffd
	v_add_co_ci_u32_e64 v1, null, s71, v1, vcc_lo
	s_delay_alu instid0(VALU_DEP_2) | instskip(SKIP_1) | instid1(VALU_DEP_2)
	v_add_co_u32 v0, vcc_lo, 0x108, v0
	s_wait_alu 0xfffd
	v_add_co_ci_u32_e64 v1, null, 0, v1, vcc_lo
	s_delay_alu instid0(VALU_DEP_2) | instskip(NEXT) | instid1(VALU_DEP_2)
	v_cndmask_b32_e64 v18, v0, v18, s16
	v_cndmask_b32_e64 v19, v1, v19, s16
.LBB44_107:                             ;   in Loop: Header=BB44_4 Depth=1
	s_wait_loadcnt_dscnt 0x0
	s_barrier_signal -1
	s_barrier_wait -1
	global_inv scope:SCOPE_SE
	ds_load_b64 v[24:25], v105
	ds_load_b64 v[26:27], v102
	ds_load_b64 v[28:29], v102 offset:2112
	ds_load_2addr_b64 v[20:23], v101 offset0:8 offset1:16
	ds_load_b64 v[30:31], v102 offset:6336
	ds_load_b64 v[48:49], v102 offset:4224
	;; [unrolled: 1-line block ×3, first 2 shown]
	ds_load_b128 v[8:11], v91 offset:256
	ds_load_b128 v[0:3], v91 offset:272
	ds_load_2addr_b64 v[12:15], v93 offset1:1
	ds_load_2addr_b64 v[4:7], v93 offset0:2 offset1:3
	s_wait_loadcnt_dscnt 0x0
	s_barrier_signal -1
	s_barrier_wait -1
	global_inv scope:SCOPE_SE
	v_mul_f32_e32 v32, v25, v27
	v_dual_mul_f32 v27, v24, v27 :: v_dual_mul_f32 v52, v21, v29
	v_mul_f32_e32 v29, v20, v29
	v_mul_f32_e32 v53, v23, v49
	;; [unrolled: 1-line block ×3, first 2 shown]
	v_fma_f32 v24, v24, v26, -v32
	v_dual_fmac_f32 v27, v25, v26 :: v_dual_mul_f32 v26, v50, v31
	v_mul_f32_e32 v25, v22, v49
	v_fma_f32 v20, v20, v28, -v52
	v_fmac_f32_e32 v29, v21, v28
	v_fma_f32 v22, v22, v48, -v53
	v_dual_add_f32 v21, 0, v24 :: v_dual_add_f32 v24, 0, v27
	v_fmac_f32_e32 v26, v51, v30
	s_delay_alu instid0(VALU_DEP_2) | instskip(NEXT) | instid1(VALU_DEP_1)
	v_dual_add_f32 v20, v21, v20 :: v_dual_add_f32 v21, v24, v29
	v_dual_add_f32 v20, v20, v22 :: v_dual_fmac_f32 v25, v23, v48
	v_fma_f32 v23, v50, v30, -v54
	s_delay_alu instid0(VALU_DEP_1) | instskip(NEXT) | instid1(VALU_DEP_1)
	v_dual_add_f32 v20, v20, v23 :: v_dual_add_f32 v21, v21, v25
	v_add_f32_e32 v21, v21, v26
	ds_store_b64 v92, v[20:21]
	s_wait_loadcnt_dscnt 0x0
	s_barrier_signal -1
	s_barrier_wait -1
	global_inv scope:SCOPE_SE
	s_and_saveexec_b32 s38, s21
	s_cbranch_execz .LBB44_109
; %bb.108:                              ;   in Loop: Header=BB44_4 Depth=1
	ds_load_2addr_b64 v[20:23], v89 offset1:1
	ds_load_2addr_b64 v[24:27], v89 offset0:2 offset1:3
	ds_load_2addr_b64 v[28:31], v89 offset0:4 offset1:5
	s_wait_dscnt 0x2
	v_dual_add_f32 v20, v46, v20 :: v_dual_add_f32 v21, v47, v21
	s_delay_alu instid0(VALU_DEP_1) | instskip(NEXT) | instid1(VALU_DEP_2)
	v_add_f32_e32 v46, v21, v23
	v_add_f32_e32 v32, v20, v22
	ds_load_2addr_b64 v[20:23], v89 offset0:6 offset1:7
	s_wait_dscnt 0x2
	v_dual_add_f32 v25, v46, v25 :: v_dual_add_f32 v24, v32, v24
	s_delay_alu instid0(VALU_DEP_1) | instskip(SKIP_1) | instid1(VALU_DEP_1)
	v_dual_add_f32 v25, v25, v27 :: v_dual_add_f32 v24, v24, v26
	s_wait_dscnt 0x1
	v_dual_add_f32 v25, v25, v29 :: v_dual_add_f32 v24, v24, v28
	s_delay_alu instid0(VALU_DEP_1) | instskip(SKIP_1) | instid1(VALU_DEP_1)
	v_dual_add_f32 v25, v25, v31 :: v_dual_add_f32 v24, v24, v30
	s_wait_dscnt 0x0
	v_dual_add_f32 v21, v25, v21 :: v_dual_add_f32 v20, v24, v20
	s_delay_alu instid0(VALU_DEP_1)
	v_dual_add_f32 v47, v21, v23 :: v_dual_add_f32 v46, v20, v22
.LBB44_109:                             ;   in Loop: Header=BB44_4 Depth=1
	s_wait_alu 0xfffe
	s_or_b32 exec_lo, exec_lo, s38
	v_dual_mul_f32 v20, v13, v9 :: v_dual_mul_f32 v21, v15, v11
	v_dual_mul_f32 v15, v15, v10 :: v_dual_mul_f32 v22, v5, v1
	s_wait_loadcnt 0x0
	s_delay_alu instid0(VALU_DEP_2) | instskip(NEXT) | instid1(VALU_DEP_2)
	v_dual_fmac_f32 v20, v12, v8 :: v_dual_fmac_f32 v21, v14, v10
	v_fma_f32 v11, v14, v11, -v15
	v_mul_f32_e32 v5, v5, v0
	v_fmac_f32_e32 v22, v4, v0
	s_delay_alu instid0(VALU_DEP_4)
	v_add_f32_e32 v10, 0, v20
	v_mul_f32_e32 v13, v13, v8
	s_barrier_signal -1
	v_fma_f32 v1, v4, v1, -v5
	s_barrier_wait -1
	v_add_f32_e32 v0, v10, v21
	v_fma_f32 v8, v12, v9, -v13
	v_mul_f32_e32 v9, v7, v3
	global_inv scope:SCOPE_SE
	v_dual_mul_f32 v7, v7, v2 :: v_dual_add_f32 v8, 0, v8
	v_fmac_f32_e32 v9, v6, v2
	v_add_f32_e32 v0, v0, v22
	s_delay_alu instid0(VALU_DEP_3) | instskip(NEXT) | instid1(VALU_DEP_4)
	v_fma_f32 v2, v6, v3, -v7
	v_add_f32_e32 v4, v8, v11
	s_delay_alu instid0(VALU_DEP_1) | instskip(NEXT) | instid1(VALU_DEP_1)
	v_add_f32_e32 v1, v4, v1
	v_dual_add_f32 v0, v0, v9 :: v_dual_add_f32 v1, v1, v2
	ds_store_b64 v92, v[0:1]
	s_wait_loadcnt_dscnt 0x0
	s_barrier_signal -1
	s_barrier_wait -1
	global_inv scope:SCOPE_SE
	s_and_saveexec_b32 s38, s15
	s_cbranch_execz .LBB44_111
; %bb.110:                              ;   in Loop: Header=BB44_4 Depth=1
	ds_load_2addr_b64 v[0:3], v89 offset1:1
	ds_load_2addr_b64 v[4:7], v89 offset0:2 offset1:3
	ds_load_2addr_b64 v[8:11], v89 offset0:4 offset1:5
	s_wait_dscnt 0x2
	v_dual_add_f32 v0, v46, v0 :: v_dual_add_f32 v1, v47, v1
	s_delay_alu instid0(VALU_DEP_1) | instskip(SKIP_3) | instid1(VALU_DEP_1)
	v_dual_add_f32 v12, v0, v2 :: v_dual_add_f32 v13, v1, v3
	ds_load_2addr_b64 v[0:3], v89 offset0:6 offset1:7
	s_wait_dscnt 0x2
	v_dual_add_f32 v4, v12, v4 :: v_dual_add_f32 v5, v13, v5
	v_dual_add_f32 v4, v4, v6 :: v_dual_add_f32 v5, v5, v7
	s_wait_dscnt 0x1
	s_delay_alu instid0(VALU_DEP_1) | instskip(NEXT) | instid1(VALU_DEP_1)
	v_dual_add_f32 v4, v4, v8 :: v_dual_add_f32 v5, v5, v9
	v_dual_add_f32 v4, v4, v10 :: v_dual_add_f32 v5, v5, v11
	s_wait_dscnt 0x0
	s_delay_alu instid0(VALU_DEP_1) | instskip(NEXT) | instid1(VALU_DEP_1)
	v_dual_add_f32 v0, v4, v0 :: v_dual_add_f32 v1, v5, v1
	v_dual_add_f32 v46, v0, v2 :: v_dual_add_f32 v47, v1, v3
.LBB44_111:                             ;   in Loop: Header=BB44_4 Depth=1
	s_wait_alu 0xfffe
	s_or_b32 exec_lo, exec_lo, s38
	s_mul_u64 s[70:71], s[42:43], s[34:35]
	s_and_not1_b32 vcc_lo, exec_lo, s73
	s_wait_alu 0xfffe
	s_lshl_b64 s[70:71], s[70:71], 3
	s_wait_loadcnt 0x0
	s_wait_alu 0xfffe
	s_add_nc_u64 s[70:71], s[44:45], s[70:71]
	s_barrier_signal -1
	s_barrier_wait -1
	global_inv scope:SCOPE_SE
	s_cbranch_vccnz .LBB44_118
; %bb.112:                              ;   in Loop: Header=BB44_4 Depth=1
	v_add_co_u32 v0, vcc_lo, v18, s68
	s_wait_alu 0xfffd
	v_add_co_ci_u32_e64 v1, null, s69, v19, vcc_lo
	v_lshlrev_b32_e32 v2, 3, v82
	s_delay_alu instid0(VALU_DEP_3) | instskip(SKIP_1) | instid1(VALU_DEP_3)
	v_add_co_u32 v0, vcc_lo, v0, v40
	s_wait_alu 0xfffd
	v_add_co_ci_u32_e64 v1, null, v1, v41, vcc_lo
	s_lshl_b64 s[76:77], s[40:41], 3
	v_add_co_u32 v0, vcc_lo, v0, v42
	s_wait_alu 0xfffd
	v_add_co_ci_u32_e64 v1, null, v1, v43, vcc_lo
	s_mov_b32 s35, ttmp9
	s_wait_alu 0xfffe
	v_add_co_u32 v3, vcc_lo, v0, s76
	s_wait_alu 0xfffd
	v_add_co_ci_u32_e64 v4, null, s77, v1, vcc_lo
	v_add_co_u32 v0, vcc_lo, v0, v2
	s_wait_alu 0xfffd
	v_add_co_ci_u32_e64 v1, null, 0, v1, vcc_lo
	v_add_co_u32 v2, vcc_lo, 0xfffffef8, v3
	s_wait_alu 0xfffd
	v_add_co_ci_u32_e64 v3, null, -1, v4, vcc_lo
	v_add_co_u32 v0, vcc_lo, 0xffffff00, v0
	s_wait_alu 0xfffd
	v_add_co_ci_u32_e64 v1, null, -1, v1, vcc_lo
	v_add_co_u32 v108, vcc_lo, v16, s66
	s_wait_alu 0xfffd
	v_add_co_ci_u32_e64 v109, null, s67, v17, vcc_lo
	s_delay_alu instid0(VALU_DEP_3)
	v_cndmask_b32_e64 v1, v1, v3, s1
	v_cndmask_b32_e64 v0, v0, v2, s1
	s_mov_b32 s38, 0
	s_branch .LBB44_114
.LBB44_113:                             ;   in Loop: Header=BB44_114 Depth=2
	s_wait_alu 0xfffe
	s_or_b32 exec_lo, exec_lo, s76
	v_mul_f32_e32 v32, v49, v1
	v_dual_mul_f32 v1, v48, v1 :: v_dual_mul_f32 v110, v53, v3
	v_mul_f32_e32 v3, v52, v3
	s_add_co_i32 s35, s35, -1
	s_delay_alu instid0(VALU_DEP_3) | instskip(SKIP_3) | instid1(VALU_DEP_4)
	v_fma_f32 v32, v48, v0, -v32
	v_mul_f32_e32 v111, v55, v5
	v_dual_mul_f32 v5, v54, v5 :: v_dual_mul_f32 v48, v51, v7
	v_fma_f32 v52, v52, v2, -v110
	v_add_f32_e32 v32, v46, v32
	v_dual_mul_f32 v7, v50, v7 :: v_dual_mul_f32 v46, v63, v13
	v_mul_f32_e32 v13, v62, v13
	s_delay_alu instid0(VALU_DEP_3)
	v_dual_fmac_f32 v3, v53, v2 :: v_dual_add_f32 v32, v32, v52
	v_fma_f32 v2, v50, v6, -v48
	v_fmac_f32_e32 v1, v49, v0
	v_fma_f32 v0, v54, v4, -v111
	v_mul_f32_e32 v49, v61, v15
	v_mul_f32_e32 v15, v60, v15
	v_fmac_f32_e32 v13, v63, v12
	s_add_co_i32 s38, s38, 64
	v_add_f32_e32 v0, v32, v0
	s_cmp_eq_u32 s35, 0
	s_wait_loadcnt 0x0
	s_wait_storecnt 0x0
	s_barrier_signal -1
	s_barrier_wait -1
	v_dual_add_f32 v0, v0, v2 :: v_dual_add_f32 v1, v47, v1
	v_mul_f32_e32 v2, v59, v9
	global_inv scope:SCOPE_SE
	v_fma_f32 v2, v58, v8, -v2
	v_fmac_f32_e32 v5, v55, v4
	v_fma_f32 v4, v60, v14, -v49
	v_add_f32_e32 v1, v1, v3
	v_fma_f32 v3, v62, v12, -v46
	s_delay_alu instid0(VALU_DEP_1) | instskip(NEXT) | instid1(VALU_DEP_1)
	v_add_f32_e32 v0, v0, v3
	v_dual_mul_f32 v3, v57, v11 :: v_dual_add_f32 v0, v0, v4
	v_dual_mul_f32 v4, v58, v9 :: v_dual_fmac_f32 v15, v61, v14
	s_delay_alu instid0(VALU_DEP_2) | instskip(SKIP_1) | instid1(VALU_DEP_4)
	v_add_f32_e32 v0, v0, v2
	v_mul_f32_e32 v2, v71, v17
	v_fma_f32 v3, v56, v10, -v3
	v_fmac_f32_e32 v7, v51, v6
	v_dual_add_f32 v1, v1, v5 :: v_dual_fmac_f32 v4, v59, v8
	s_delay_alu instid0(VALU_DEP_4) | instskip(NEXT) | instid1(VALU_DEP_4)
	v_fma_f32 v2, v70, v16, -v2
	v_add_f32_e32 v0, v0, v3
	v_mul_f32_e32 v3, v69, v19
	s_delay_alu instid0(VALU_DEP_4)
	v_add_f32_e32 v1, v1, v7
	v_mul_f32_e32 v5, v56, v11
	v_mul_f32_e32 v6, v74, v31
	v_add_f32_e32 v0, v0, v2
	v_fma_f32 v2, v68, v18, -v3
	v_mul_f32_e32 v3, v67, v21
	v_add_f32_e32 v1, v1, v13
	v_fmac_f32_e32 v5, v57, v10
	v_fmac_f32_e32 v6, v75, v30
	v_add_f32_e32 v0, v0, v2
	v_fma_f32 v2, v66, v20, -v3
	v_mul_f32_e32 v3, v65, v23
	s_delay_alu instid0(VALU_DEP_2) | instskip(NEXT) | instid1(VALU_DEP_2)
	v_dual_add_f32 v1, v1, v15 :: v_dual_add_f32 v0, v0, v2
	v_fma_f32 v2, v64, v22, -v3
	v_mul_f32_e32 v3, v81, v25
	s_delay_alu instid0(VALU_DEP_3) | instskip(NEXT) | instid1(VALU_DEP_3)
	v_dual_add_f32 v1, v1, v4 :: v_dual_mul_f32 v4, v70, v17
	v_add_f32_e32 v0, v0, v2
	s_delay_alu instid0(VALU_DEP_3) | instskip(SKIP_1) | instid1(VALU_DEP_4)
	v_fma_f32 v2, v80, v24, -v3
	v_mul_f32_e32 v3, v79, v27
	v_fmac_f32_e32 v4, v71, v16
	s_delay_alu instid0(VALU_DEP_3) | instskip(NEXT) | instid1(VALU_DEP_3)
	v_add_f32_e32 v0, v0, v2
	v_fma_f32 v2, v78, v26, -v3
	v_add_f32_e32 v1, v1, v5
	v_mul_f32_e32 v5, v68, v19
	s_delay_alu instid0(VALU_DEP_3) | instskip(NEXT) | instid1(VALU_DEP_3)
	v_dual_mul_f32 v3, v78, v27 :: v_dual_add_f32 v0, v0, v2
	v_add_f32_e32 v1, v1, v4
	s_delay_alu instid0(VALU_DEP_3) | instskip(NEXT) | instid1(VALU_DEP_3)
	v_dual_fmac_f32 v5, v69, v18 :: v_dual_mul_f32 v4, v66, v21
	v_dual_mul_f32 v2, v76, v29 :: v_dual_fmac_f32 v3, v79, v26
	s_delay_alu instid0(VALU_DEP_2) | instskip(NEXT) | instid1(VALU_DEP_2)
	v_dual_add_f32 v1, v1, v5 :: v_dual_fmac_f32 v4, v67, v20
	v_dual_mul_f32 v5, v64, v23 :: v_dual_fmac_f32 v2, v77, v28
	s_delay_alu instid0(VALU_DEP_2) | instskip(NEXT) | instid1(VALU_DEP_2)
	v_add_f32_e32 v1, v1, v4
	v_dual_fmac_f32 v5, v65, v22 :: v_dual_mul_f32 v4, v80, v25
	s_delay_alu instid0(VALU_DEP_1) | instskip(NEXT) | instid1(VALU_DEP_2)
	v_add_f32_e32 v1, v1, v5
	v_fmac_f32_e32 v4, v81, v24
	v_mul_f32_e32 v5, v77, v29
	s_delay_alu instid0(VALU_DEP_2) | instskip(NEXT) | instid1(VALU_DEP_2)
	v_add_f32_e32 v1, v1, v4
	v_fma_f32 v4, v76, v28, -v5
	v_mul_f32_e32 v5, v75, v31
	s_delay_alu instid0(VALU_DEP_2) | instskip(NEXT) | instid1(VALU_DEP_2)
	v_dual_add_f32 v1, v1, v3 :: v_dual_add_f32 v0, v0, v4
	v_fma_f32 v3, v74, v30, -v5
	s_delay_alu instid0(VALU_DEP_1) | instskip(SKIP_1) | instid1(VALU_DEP_2)
	v_dual_add_f32 v1, v1, v2 :: v_dual_add_f32 v46, v0, v3
	v_add_co_u32 v0, vcc_lo, v72, s60
	v_add_f32_e32 v47, v1, v6
	s_wait_alu 0xfffd
	v_add_co_ci_u32_e64 v1, null, s61, v73, vcc_lo
	s_cbranch_scc1 .LBB44_118
.LBB44_114:                             ;   Parent Loop BB44_4 Depth=1
                                        ; =>  This Inner Loop Header: Depth=2
	s_and_saveexec_b32 s76, s0
	s_cbranch_execz .LBB44_116
; %bb.115:                              ;   in Loop: Header=BB44_114 Depth=2
	s_wait_alu 0xfffe
	s_mul_u64 s[78:79], s[36:37], s[38:39]
	s_wait_alu 0xfffe
	s_lshl_b64 s[78:79], s[78:79], 3
	s_wait_alu 0xfffe
	v_add_co_u32 v2, vcc_lo, v108, s78
	s_wait_alu 0xfffd
	v_add_co_ci_u32_e64 v3, null, s79, v109, vcc_lo
	flat_load_b64 v[2:3], v[2:3]
	s_wait_loadcnt_dscnt 0x0
	ds_store_b64 v94, v[2:3]
.LBB44_116:                             ;   in Loop: Header=BB44_114 Depth=2
	s_wait_alu 0xfffe
	s_or_b32 exec_lo, exec_lo, s76
	v_add_co_u32 v2, vcc_lo, v0, s58
	s_wait_alu 0xfffd
	v_add_co_ci_u32_e64 v3, null, s59, v1, vcc_lo
	s_wait_loadcnt_dscnt 0x0
	s_barrier_signal -1
	s_barrier_wait -1
	global_inv scope:SCOPE_SE
	s_clause 0x1
	flat_load_b64 v[48:49], v[0:1]
	flat_load_b64 v[52:53], v[2:3]
	v_add_co_u32 v0, vcc_lo, v2, s58
	s_wait_alu 0xfffd
	v_add_co_ci_u32_e64 v1, null, s59, v3, vcc_lo
	s_delay_alu instid0(VALU_DEP_2) | instskip(SKIP_1) | instid1(VALU_DEP_2)
	v_add_co_u32 v8, vcc_lo, v0, s58
	s_wait_alu 0xfffd
	v_add_co_ci_u32_e64 v9, null, s59, v1, vcc_lo
	s_clause 0x1
	flat_load_b64 v[54:55], v[0:1]
	flat_load_b64 v[50:51], v[8:9]
	ds_load_b64 v[10:11], v84
	ds_load_b128 v[0:3], v95
	ds_load_b128 v[4:7], v95 offset:16
	v_add_co_u32 v8, vcc_lo, v8, s60
	s_wait_alu 0xfffd
	v_add_co_ci_u32_e64 v9, null, s61, v9, vcc_lo
	s_delay_alu instid0(VALU_DEP_2) | instskip(SKIP_1) | instid1(VALU_DEP_2)
	v_add_co_u32 v16, vcc_lo, v8, s58
	s_wait_alu 0xfffd
	v_add_co_ci_u32_e64 v17, null, s59, v9, vcc_lo
	s_wait_loadcnt_dscnt 0x302
	v_mul_f32_e32 v12, v49, v11
	v_mul_f32_e32 v13, v49, v10
	s_wait_loadcnt 0x2
	v_mul_f32_e32 v14, v53, v11
	s_wait_loadcnt 0x1
	v_dual_mul_f32 v15, v53, v10 :: v_dual_mul_f32 v18, v55, v11
	s_wait_loadcnt 0x0
	v_mul_f32_e32 v20, v51, v11
	v_mul_f32_e32 v19, v55, v10
	;; [unrolled: 1-line block ×3, first 2 shown]
	v_fmac_f32_e32 v12, v48, v10
	v_fma_f32 v13, v48, v11, -v13
	v_fmac_f32_e32 v14, v52, v10
	v_fma_f32 v15, v52, v11, -v15
	v_fmac_f32_e32 v18, v54, v10
	v_fmac_f32_e32 v20, v50, v10
	v_add_co_u32 v10, vcc_lo, v16, s58
	v_fma_f32 v19, v54, v11, -v19
	v_fma_f32 v21, v50, v11, -v21
	s_wait_alu 0xfffd
	v_add_co_ci_u32_e64 v11, null, s59, v17, vcc_lo
	ds_store_2addr_b64 v96, v[12:13], v[14:15] offset1:67
	ds_store_2addr_b64 v96, v[18:19], v[20:21] offset0:134 offset1:201
	s_wait_dscnt 0x0
	s_barrier_signal -1
	s_barrier_wait -1
	global_inv scope:SCOPE_SE
	ds_load_2addr_b64 v[110:113], v97 offset1:1
	ds_load_2addr_b64 v[114:117], v97 offset0:2 offset1:3
	s_wait_loadcnt_dscnt 0x0
	s_barrier_signal -1
	s_barrier_wait -1
	global_inv scope:SCOPE_SE
	flat_load_b64 v[62:63], v[8:9]
	v_add_co_u32 v8, vcc_lo, v10, s58
	s_wait_alu 0xfffd
	v_add_co_ci_u32_e64 v9, null, s59, v11, vcc_lo
	s_clause 0x2
	flat_load_b64 v[60:61], v[16:17]
	flat_load_b64 v[58:59], v[10:11]
	;; [unrolled: 1-line block ×3, first 2 shown]
	ds_load_b64 v[10:11], v84
	ds_load_b128 v[12:15], v95 offset:128
	v_add_co_u32 v16, vcc_lo, v8, s60
	s_wait_alu 0xfffd
	v_add_co_ci_u32_e64 v17, null, s61, v9, vcc_lo
	s_delay_alu instid0(VALU_DEP_2) | instskip(SKIP_1) | instid1(VALU_DEP_2)
	v_add_co_u32 v18, vcc_lo, v16, s58
	s_wait_alu 0xfffd
	v_add_co_ci_u32_e64 v19, null, s59, v17, vcc_lo
	s_delay_alu instid0(VALU_DEP_2) | instskip(SKIP_1) | instid1(VALU_DEP_2)
	v_add_co_u32 v28, vcc_lo, v18, s58
	s_wait_alu 0xfffd
	v_add_co_ci_u32_e64 v29, null, s59, v19, vcc_lo
	s_wait_loadcnt_dscnt 0x301
	v_mul_f32_e32 v20, v63, v11
	v_mul_f32_e32 v8, v63, v10
	s_wait_loadcnt 0x1
	v_dual_mul_f32 v22, v61, v11 :: v_dual_mul_f32 v25, v59, v10
	v_dual_mul_f32 v9, v61, v10 :: v_dual_mul_f32 v24, v59, v11
	s_wait_loadcnt 0x0
	v_mul_f32_e32 v27, v57, v10
	v_mul_f32_e32 v26, v57, v11
	v_fmac_f32_e32 v20, v62, v10
	v_fma_f32 v21, v62, v11, -v8
	v_fmac_f32_e32 v22, v60, v10
	v_fma_f32 v23, v60, v11, -v9
	;; [unrolled: 2-line block ×4, first 2 shown]
	ds_load_b128 v[8:11], v95 offset:144
	ds_store_2addr_b64 v96, v[20:21], v[22:23] offset1:67
	ds_store_2addr_b64 v96, v[24:25], v[26:27] offset0:134 offset1:201
	s_wait_dscnt 0x0
	s_barrier_signal -1
	s_barrier_wait -1
	global_inv scope:SCOPE_SE
	ds_load_2addr_b64 v[118:121], v97 offset1:1
	ds_load_2addr_b64 v[122:125], v97 offset0:2 offset1:3
	s_wait_loadcnt_dscnt 0x0
	s_barrier_signal -1
	s_barrier_wait -1
	global_inv scope:SCOPE_SE
	flat_load_b64 v[70:71], v[16:17]
	v_add_co_u32 v16, vcc_lo, v28, s58
	s_wait_alu 0xfffd
	v_add_co_ci_u32_e64 v17, null, s59, v29, vcc_lo
	s_clause 0x1
	flat_load_b64 v[68:69], v[18:19]
	flat_load_b64 v[66:67], v[28:29]
	;; [unrolled: 1-line block ×3, first 2 shown]
	ds_load_b64 v[20:21], v84
	v_add_co_u32 v24, vcc_lo, v16, s60
	s_wait_alu 0xfffd
	v_add_co_ci_u32_e64 v25, null, s61, v17, vcc_lo
	ds_load_b128 v[16:19], v95 offset:256
	v_add_co_u32 v26, vcc_lo, v24, s58
	s_wait_alu 0xfffd
	v_add_co_ci_u32_e64 v27, null, s59, v25, vcc_lo
	v_add_f32_e32 v118, 0, v118
	s_delay_alu instid0(VALU_DEP_3) | instskip(SKIP_1) | instid1(VALU_DEP_3)
	v_add_co_u32 v76, vcc_lo, v26, s58
	s_wait_alu 0xfffd
	v_add_co_ci_u32_e64 v77, null, s59, v27, vcc_lo
	s_delay_alu instid0(VALU_DEP_3)
	v_dual_add_f32 v119, 0, v119 :: v_dual_add_f32 v118, v118, v120
	s_wait_loadcnt_dscnt 0x301
	v_mul_f32_e32 v28, v71, v21
	v_mul_f32_e32 v22, v71, v20
	s_wait_loadcnt 0x2
	v_mul_f32_e32 v30, v69, v21
	s_wait_loadcnt 0x1
	v_dual_mul_f32 v23, v69, v20 :: v_dual_mul_f32 v72, v67, v21
	v_mul_f32_e32 v32, v67, v20
	s_wait_loadcnt 0x0
	v_mul_f32_e32 v74, v65, v21
	v_mul_f32_e32 v75, v65, v20
	v_fmac_f32_e32 v28, v70, v20
	v_fma_f32 v29, v70, v21, -v22
	v_fmac_f32_e32 v30, v68, v20
	v_fma_f32 v31, v68, v21, -v23
	;; [unrolled: 2-line block ×4, first 2 shown]
	ds_load_b128 v[20:23], v95 offset:272
	ds_store_2addr_b64 v96, v[28:29], v[30:31] offset1:67
	ds_store_2addr_b64 v96, v[72:73], v[74:75] offset0:134 offset1:201
	v_add_co_u32 v72, vcc_lo, v76, s58
	s_wait_alu 0xfffd
	v_add_co_ci_u32_e64 v73, null, s59, v77, vcc_lo
	s_wait_dscnt 0x0
	s_barrier_signal -1
	s_barrier_wait -1
	global_inv scope:SCOPE_SE
	ds_load_2addr_b64 v[126:129], v97 offset1:1
	ds_load_2addr_b64 v[130:133], v97 offset0:2 offset1:3
	s_wait_loadcnt_dscnt 0x0
	s_barrier_signal -1
	s_barrier_wait -1
	global_inv scope:SCOPE_SE
	flat_load_b64 v[80:81], v[24:25]
	flat_load_b64 v[78:79], v[26:27]
	flat_load_b64 v[76:77], v[76:77]
	flat_load_b64 v[74:75], v[72:73]
	ds_load_b64 v[28:29], v84
	ds_load_b128 v[24:27], v95 offset:384
	s_wait_loadcnt_dscnt 0x201
	v_dual_mul_f32 v31, v79, v28 :: v_dual_mul_f32 v134, v81, v29
	v_mul_f32_e32 v30, v81, v28
	v_mul_f32_e32 v136, v79, v29
	s_wait_loadcnt 0x1
	v_mul_f32_e32 v32, v77, v28
	v_mul_f32_e32 v138, v77, v29
	s_wait_loadcnt 0x0
	v_mul_f32_e32 v140, v75, v29
	v_mul_f32_e32 v141, v75, v28
	v_fma_f32 v135, v80, v29, -v30
	v_fma_f32 v137, v78, v29, -v31
	v_fmac_f32_e32 v134, v80, v28
	v_fmac_f32_e32 v136, v78, v28
	v_fma_f32 v139, v76, v29, -v32
	v_fmac_f32_e32 v138, v76, v28
	v_fmac_f32_e32 v140, v74, v28
	v_fma_f32 v141, v74, v29, -v141
	v_add_f32_e32 v32, 0, v110
	v_add_f32_e32 v110, 0, v111
	ds_load_b128 v[28:31], v95 offset:400
	ds_store_2addr_b64 v96, v[134:135], v[136:137] offset1:67
	ds_store_2addr_b64 v96, v[138:139], v[140:141] offset0:134 offset1:201
	s_wait_dscnt 0x0
	s_barrier_signal -1
	s_barrier_wait -1
	global_inv scope:SCOPE_SE
	ds_load_2addr_b64 v[134:137], v97 offset1:1
	v_add_f32_e32 v110, v110, v113
	s_delay_alu instid0(VALU_DEP_1)
	v_dual_add_f32 v32, v32, v112 :: v_dual_add_f32 v115, v110, v115
	ds_load_2addr_b64 v[110:113], v97 offset0:2 offset1:3
	v_add_f32_e32 v32, v32, v114
	s_wait_loadcnt_dscnt 0x0
	s_barrier_signal -1
	v_add_f32_e32 v115, v115, v117
	s_delay_alu instid0(VALU_DEP_2) | instskip(SKIP_2) | instid1(VALU_DEP_3)
	v_dual_add_f32 v117, 0, v126 :: v_dual_add_f32 v114, v32, v116
	v_add_f32_e32 v32, v119, v121
	v_add_f32_e32 v116, v118, v122
	v_dual_add_f32 v118, 0, v127 :: v_dual_add_f32 v117, v117, v128
	s_barrier_wait -1
	s_delay_alu instid0(VALU_DEP_3) | instskip(SKIP_1) | instid1(VALU_DEP_3)
	v_dual_add_f32 v32, v32, v123 :: v_dual_add_f32 v119, 0, v134
	v_add_f32_e32 v120, 0, v135
	v_dual_add_f32 v118, v118, v129 :: v_dual_add_f32 v121, v117, v130
	s_delay_alu instid0(VALU_DEP_3) | instskip(NEXT) | instid1(VALU_DEP_3)
	v_add_f32_e32 v117, v32, v125
	v_dual_add_f32 v119, v119, v136 :: v_dual_add_f32 v120, v120, v137
	s_delay_alu instid0(VALU_DEP_3) | instskip(SKIP_4) | instid1(VALU_DEP_2)
	v_add_f32_e32 v118, v118, v131
	v_add_f32_e32 v116, v116, v124
	global_inv scope:SCOPE_SE
	v_dual_add_f32 v32, v119, v110 :: v_dual_add_f32 v119, v120, v111
	v_dual_add_f32 v110, v121, v132 :: v_dual_add_f32 v111, v118, v133
	;; [unrolled: 1-line block ×3, first 2 shown]
	ds_store_2addr_b64 v106, v[114:115], v[116:117] offset1:16
	ds_store_2addr_b64 v106, v[110:111], v[112:113] offset0:32 offset1:48
	s_wait_loadcnt_dscnt 0x0
	s_barrier_signal -1
	s_barrier_wait -1
	global_inv scope:SCOPE_SE
	s_and_saveexec_b32 s76, s22
	s_cbranch_execz .LBB44_113
; %bb.117:                              ;   in Loop: Header=BB44_114 Depth=2
	ds_load_b64 v[122:123], v98
	ds_load_2addr_b64 v[110:113], v98 offset0:1 offset1:2
	ds_load_2addr_b64 v[114:117], v98 offset0:3 offset1:4
	;; [unrolled: 1-line block ×3, first 2 shown]
	s_wait_dscnt 0x2
	v_add_f32_e32 v32, v110, v122
	v_add_f32_e32 v110, v111, v123
	s_delay_alu instid0(VALU_DEP_2) | instskip(NEXT) | instid1(VALU_DEP_2)
	v_add_f32_e32 v32, v112, v32
	v_add_f32_e32 v122, v113, v110
	ds_load_2addr_b64 v[110:113], v98 offset0:7 offset1:8
	s_wait_dscnt 0x2
	v_add_f32_e32 v32, v32, v114
	v_add_f32_e32 v114, v122, v115
	s_delay_alu instid0(VALU_DEP_2) | instskip(NEXT) | instid1(VALU_DEP_2)
	v_add_f32_e32 v32, v32, v116
	v_add_f32_e32 v122, v114, v117
	ds_load_2addr_b64 v[114:117], v98 offset0:9 offset1:10
	;; [unrolled: 7-line block ×4, first 2 shown]
	s_wait_dscnt 0x2
	v_add_f32_e32 v32, v32, v114
	v_add_f32_e32 v114, v122, v115
	s_delay_alu instid0(VALU_DEP_2) | instskip(NEXT) | instid1(VALU_DEP_2)
	v_add_f32_e32 v32, v32, v116
	v_add_f32_e32 v116, v114, v117
	ds_load_b64 v[114:115], v99
	s_wait_dscnt 0x2
	v_add_f32_e32 v32, v32, v118
	v_add_f32_e32 v116, v116, v119
	s_delay_alu instid0(VALU_DEP_2) | instskip(NEXT) | instid1(VALU_DEP_2)
	v_add_f32_e32 v32, v32, v120
	v_add_f32_e32 v116, v116, v121
	s_wait_dscnt 0x1
	s_delay_alu instid0(VALU_DEP_2) | instskip(NEXT) | instid1(VALU_DEP_2)
	v_add_f32_e32 v110, v32, v110
	v_dual_add_f32 v111, v116, v111 :: v_dual_add_nc_u32 v32, s38, v82
	s_delay_alu instid0(VALU_DEP_1) | instskip(NEXT) | instid1(VALU_DEP_2)
	v_dual_add_f32 v112, v110, v112 :: v_dual_add_f32 v113, v111, v113
	v_lshlrev_b64_e32 v[110:111], 3, v[32:33]
	s_wait_dscnt 0x0
	s_delay_alu instid0(VALU_DEP_2) | instskip(NEXT) | instid1(VALU_DEP_2)
	v_dual_add_f32 v112, v112, v114 :: v_dual_add_f32 v113, v113, v115
	v_add_co_u32 v110, vcc_lo, s70, v110
	s_wait_alu 0xfffd
	s_delay_alu instid0(VALU_DEP_3)
	v_add_co_ci_u32_e64 v111, null, s71, v111, vcc_lo
	global_store_b64 v[110:111], v[112:113], off
	s_branch .LBB44_113
.LBB44_118:                             ;   in Loop: Header=BB44_4 Depth=1
	ds_store_b64 v100, v[46:47]
	s_wait_loadcnt_dscnt 0x0
	s_barrier_signal -1
	s_barrier_wait -1
	global_inv scope:SCOPE_SE
	s_and_saveexec_b32 s35, s74
	s_cbranch_execz .LBB44_2
; %bb.119:                              ;   in Loop: Header=BB44_4 Depth=1
	ds_load_2addr_b64 v[0:3], v83 offset1:67
	ds_load_2addr_b64 v[4:7], v83 offset0:134 offset1:201
	s_wait_dscnt 0x1
	v_dual_add_f32 v0, v2, v0 :: v_dual_add_f32 v1, v3, v1
	s_wait_alu 0xfffe
	v_add_co_u32 v2, vcc_lo, s70, v44
	s_wait_alu 0xfffd
	v_add_co_ci_u32_e64 v3, null, s71, v45, vcc_lo
	s_wait_dscnt 0x0
	v_dual_add_f32 v0, v4, v0 :: v_dual_add_f32 v1, v5, v1
	s_delay_alu instid0(VALU_DEP_1)
	v_dual_add_f32 v0, v0, v6 :: v_dual_add_f32 v1, v1, v7
	global_store_b64 v[2:3], v[0:1], off
	s_branch .LBB44_2
.LBB44_120:                             ;   in Loop: Header=BB44_4 Depth=1
	flat_load_b64 v[4:5], v[2:3]
	s_wait_loadcnt_dscnt 0x0
	ds_store_b64 v102, v[4:5]
	s_or_b32 exec_lo, exec_lo, s38
	s_and_saveexec_b32 s38, s4
	s_wait_alu 0xfffe
	s_xor_b32 s38, exec_lo, s38
	s_cbranch_execz .LBB44_20
.LBB44_121:                             ;   in Loop: Header=BB44_4 Depth=1
	v_mov_b32_e32 v32, v33
	ds_store_b64 v102, v[32:33] offset:2112
	s_wait_alu 0xfffe
	s_and_not1_saveexec_b32 s38, s38
	s_cbranch_execz .LBB44_21
.LBB44_122:                             ;   in Loop: Header=BB44_4 Depth=1
	v_add_co_u32 v4, vcc_lo, v2, s48
	s_wait_alu 0xfffd
	v_add_co_ci_u32_e64 v5, null, s49, v3, vcc_lo
	flat_load_b64 v[4:5], v[4:5]
	s_wait_loadcnt_dscnt 0x0
	ds_store_b64 v102, v[4:5] offset:2112
	s_wait_alu 0xfffe
	s_or_b32 exec_lo, exec_lo, s38
	s_and_saveexec_b32 s38, s5
	s_wait_alu 0xfffe
	s_xor_b32 s38, exec_lo, s38
	s_cbranch_execz .LBB44_22
.LBB44_123:                             ;   in Loop: Header=BB44_4 Depth=1
	v_mov_b32_e32 v32, v33
	ds_store_b64 v102, v[32:33] offset:4224
	s_wait_alu 0xfffe
	s_and_not1_saveexec_b32 s38, s38
	s_cbranch_execz .LBB44_23
.LBB44_124:                             ;   in Loop: Header=BB44_4 Depth=1
	v_add_co_u32 v4, vcc_lo, v2, s50
	s_wait_alu 0xfffd
	v_add_co_ci_u32_e64 v5, null, s51, v3, vcc_lo
	flat_load_b64 v[4:5], v[4:5]
	s_wait_loadcnt_dscnt 0x0
	ds_store_b64 v102, v[4:5] offset:4224
	s_wait_alu 0xfffe
	s_or_b32 exec_lo, exec_lo, s38
	s_and_saveexec_b32 s38, s6
	s_wait_alu 0xfffe
	s_xor_b32 s38, exec_lo, s38
	s_cbranch_execz .LBB44_24
.LBB44_125:                             ;   in Loop: Header=BB44_4 Depth=1
	v_mov_b32_e32 v32, v33
	ds_store_b64 v102, v[32:33] offset:6336
	s_wait_alu 0xfffe
	s_and_not1_saveexec_b32 s38, s38
	s_cbranch_execnz .LBB44_25
	s_branch .LBB44_26
.LBB44_126:                             ;   in Loop: Header=BB44_4 Depth=1
	flat_load_b64 v[4:5], v[0:1]
	s_wait_loadcnt_dscnt 0x0
	ds_store_b64 v102, v[4:5]
	s_or_b32 exec_lo, exec_lo, s38
	s_and_saveexec_b32 s38, s18
	s_wait_alu 0xfffe
	s_xor_b32 s38, exec_lo, s38
	s_cbranch_execz .LBB44_60
.LBB44_127:                             ;   in Loop: Header=BB44_4 Depth=1
	v_mov_b32_e32 v32, v33
	ds_store_b64 v102, v[32:33] offset:2112
	s_wait_alu 0xfffe
	s_and_not1_saveexec_b32 s38, s38
	s_cbranch_execz .LBB44_61
.LBB44_128:                             ;   in Loop: Header=BB44_4 Depth=1
	v_add_co_u32 v4, vcc_lo, v0, s48
	s_wait_alu 0xfffd
	v_add_co_ci_u32_e64 v5, null, s49, v1, vcc_lo
	flat_load_b64 v[4:5], v[4:5]
	s_wait_loadcnt_dscnt 0x0
	ds_store_b64 v102, v[4:5] offset:2112
	s_wait_alu 0xfffe
	s_or_b32 exec_lo, exec_lo, s38
	s_and_saveexec_b32 s38, s19
	s_wait_alu 0xfffe
	s_xor_b32 s38, exec_lo, s38
	s_cbranch_execz .LBB44_62
.LBB44_129:                             ;   in Loop: Header=BB44_4 Depth=1
	v_mov_b32_e32 v32, v33
	ds_store_b64 v102, v[32:33] offset:4224
	s_wait_alu 0xfffe
	s_and_not1_saveexec_b32 s38, s38
	s_cbranch_execz .LBB44_63
.LBB44_130:                             ;   in Loop: Header=BB44_4 Depth=1
	v_add_co_u32 v4, vcc_lo, v0, s50
	s_wait_alu 0xfffd
	v_add_co_ci_u32_e64 v5, null, s51, v1, vcc_lo
	flat_load_b64 v[4:5], v[4:5]
	s_wait_loadcnt_dscnt 0x0
	ds_store_b64 v102, v[4:5] offset:4224
	s_wait_alu 0xfffe
	s_or_b32 exec_lo, exec_lo, s38
	s_and_saveexec_b32 s38, s20
	s_wait_alu 0xfffe
	s_xor_b32 s38, exec_lo, s38
	s_cbranch_execz .LBB44_64
.LBB44_131:                             ;   in Loop: Header=BB44_4 Depth=1
	v_mov_b32_e32 v32, v33
	ds_store_b64 v102, v[32:33] offset:6336
	s_wait_alu 0xfffe
	s_and_not1_saveexec_b32 s38, s38
	s_cbranch_execnz .LBB44_65
	s_branch .LBB44_66
.LBB44_132:                             ;   in Loop: Header=BB44_4 Depth=1
	flat_load_b64 v[2:3], v[0:1]
	s_wait_loadcnt_dscnt 0x0
	ds_store_b64 v102, v[2:3]
	s_or_b32 exec_lo, exec_lo, s38
	s_and_saveexec_b32 s38, s4
	s_wait_alu 0xfffe
	s_xor_b32 s38, exec_lo, s38
	s_cbranch_execz .LBB44_100
.LBB44_133:                             ;   in Loop: Header=BB44_4 Depth=1
	v_mov_b32_e32 v32, v33
	ds_store_b64 v102, v[32:33] offset:2112
	s_wait_alu 0xfffe
	s_and_not1_saveexec_b32 s38, s38
	s_cbranch_execz .LBB44_101
.LBB44_134:                             ;   in Loop: Header=BB44_4 Depth=1
	v_add_co_u32 v2, vcc_lo, v0, s48
	s_wait_alu 0xfffd
	v_add_co_ci_u32_e64 v3, null, s49, v1, vcc_lo
	flat_load_b64 v[2:3], v[2:3]
	s_wait_loadcnt_dscnt 0x0
	ds_store_b64 v102, v[2:3] offset:2112
	s_wait_alu 0xfffe
	s_or_b32 exec_lo, exec_lo, s38
	s_and_saveexec_b32 s38, s5
	s_wait_alu 0xfffe
	s_xor_b32 s38, exec_lo, s38
	s_cbranch_execz .LBB44_102
.LBB44_135:                             ;   in Loop: Header=BB44_4 Depth=1
	v_mov_b32_e32 v32, v33
	ds_store_b64 v102, v[32:33] offset:4224
	s_wait_alu 0xfffe
	s_and_not1_saveexec_b32 s38, s38
	s_cbranch_execz .LBB44_103
.LBB44_136:                             ;   in Loop: Header=BB44_4 Depth=1
	v_add_co_u32 v2, vcc_lo, v0, s50
	s_wait_alu 0xfffd
	v_add_co_ci_u32_e64 v3, null, s51, v1, vcc_lo
	flat_load_b64 v[2:3], v[2:3]
	s_wait_loadcnt_dscnt 0x0
	ds_store_b64 v102, v[2:3] offset:4224
	s_wait_alu 0xfffe
	s_or_b32 exec_lo, exec_lo, s38
	s_and_saveexec_b32 s38, s6
	s_wait_alu 0xfffe
	s_xor_b32 s38, exec_lo, s38
	s_cbranch_execz .LBB44_104
.LBB44_137:                             ;   in Loop: Header=BB44_4 Depth=1
	v_mov_b32_e32 v32, v33
	ds_store_b64 v102, v[32:33] offset:6336
	s_wait_alu 0xfffe
	s_and_not1_saveexec_b32 s38, s38
	s_cbranch_execnz .LBB44_105
	s_branch .LBB44_106
.LBB44_138:
	s_nop 0
	s_sendmsg sendmsg(MSG_DEALLOC_VGPRS)
	s_endpgm
	.section	.rodata,"a",@progbits
	.p2align	6, 0x0
	.amdhsa_kernel _ZL26rocblas_hemvn_kernel_lowerILb1ELi64ELi4ELi33ELi32ELi16El19rocblas_complex_numIfEPKPKS1_PS1_EviT6_lT7_lT5_lS8_lS9_lS7_lT8_i
		.amdhsa_group_segment_fixed_size 9600
		.amdhsa_private_segment_fixed_size 0
		.amdhsa_kernarg_size 376
		.amdhsa_user_sgpr_count 2
		.amdhsa_user_sgpr_dispatch_ptr 0
		.amdhsa_user_sgpr_queue_ptr 0
		.amdhsa_user_sgpr_kernarg_segment_ptr 1
		.amdhsa_user_sgpr_dispatch_id 0
		.amdhsa_user_sgpr_private_segment_size 0
		.amdhsa_wavefront_size32 1
		.amdhsa_uses_dynamic_stack 0
		.amdhsa_enable_private_segment 0
		.amdhsa_system_sgpr_workgroup_id_x 1
		.amdhsa_system_sgpr_workgroup_id_y 0
		.amdhsa_system_sgpr_workgroup_id_z 1
		.amdhsa_system_sgpr_workgroup_info 0
		.amdhsa_system_vgpr_workitem_id 1
		.amdhsa_next_free_vgpr 142
		.amdhsa_next_free_sgpr 80
		.amdhsa_reserve_vcc 1
		.amdhsa_float_round_mode_32 0
		.amdhsa_float_round_mode_16_64 0
		.amdhsa_float_denorm_mode_32 3
		.amdhsa_float_denorm_mode_16_64 3
		.amdhsa_fp16_overflow 0
		.amdhsa_workgroup_processor_mode 1
		.amdhsa_memory_ordered 1
		.amdhsa_forward_progress 1
		.amdhsa_inst_pref_size 75
		.amdhsa_round_robin_scheduling 0
		.amdhsa_exception_fp_ieee_invalid_op 0
		.amdhsa_exception_fp_denorm_src 0
		.amdhsa_exception_fp_ieee_div_zero 0
		.amdhsa_exception_fp_ieee_overflow 0
		.amdhsa_exception_fp_ieee_underflow 0
		.amdhsa_exception_fp_ieee_inexact 0
		.amdhsa_exception_int_div_zero 0
	.end_amdhsa_kernel
	.section	.text._ZL26rocblas_hemvn_kernel_lowerILb1ELi64ELi4ELi33ELi32ELi16El19rocblas_complex_numIfEPKPKS1_PS1_EviT6_lT7_lT5_lS8_lS9_lS7_lT8_i,"axG",@progbits,_ZL26rocblas_hemvn_kernel_lowerILb1ELi64ELi4ELi33ELi32ELi16El19rocblas_complex_numIfEPKPKS1_PS1_EviT6_lT7_lT5_lS8_lS9_lS7_lT8_i,comdat
.Lfunc_end44:
	.size	_ZL26rocblas_hemvn_kernel_lowerILb1ELi64ELi4ELi33ELi32ELi16El19rocblas_complex_numIfEPKPKS1_PS1_EviT6_lT7_lT5_lS8_lS9_lS7_lT8_i, .Lfunc_end44-_ZL26rocblas_hemvn_kernel_lowerILb1ELi64ELi4ELi33ELi32ELi16El19rocblas_complex_numIfEPKPKS1_PS1_EviT6_lT7_lT5_lS8_lS9_lS7_lT8_i
                                        ; -- End function
	.set _ZL26rocblas_hemvn_kernel_lowerILb1ELi64ELi4ELi33ELi32ELi16El19rocblas_complex_numIfEPKPKS1_PS1_EviT6_lT7_lT5_lS8_lS9_lS7_lT8_i.num_vgpr, 142
	.set _ZL26rocblas_hemvn_kernel_lowerILb1ELi64ELi4ELi33ELi32ELi16El19rocblas_complex_numIfEPKPKS1_PS1_EviT6_lT7_lT5_lS8_lS9_lS7_lT8_i.num_agpr, 0
	.set _ZL26rocblas_hemvn_kernel_lowerILb1ELi64ELi4ELi33ELi32ELi16El19rocblas_complex_numIfEPKPKS1_PS1_EviT6_lT7_lT5_lS8_lS9_lS7_lT8_i.numbered_sgpr, 80
	.set _ZL26rocblas_hemvn_kernel_lowerILb1ELi64ELi4ELi33ELi32ELi16El19rocblas_complex_numIfEPKPKS1_PS1_EviT6_lT7_lT5_lS8_lS9_lS7_lT8_i.num_named_barrier, 0
	.set _ZL26rocblas_hemvn_kernel_lowerILb1ELi64ELi4ELi33ELi32ELi16El19rocblas_complex_numIfEPKPKS1_PS1_EviT6_lT7_lT5_lS8_lS9_lS7_lT8_i.private_seg_size, 0
	.set _ZL26rocblas_hemvn_kernel_lowerILb1ELi64ELi4ELi33ELi32ELi16El19rocblas_complex_numIfEPKPKS1_PS1_EviT6_lT7_lT5_lS8_lS9_lS7_lT8_i.uses_vcc, 1
	.set _ZL26rocblas_hemvn_kernel_lowerILb1ELi64ELi4ELi33ELi32ELi16El19rocblas_complex_numIfEPKPKS1_PS1_EviT6_lT7_lT5_lS8_lS9_lS7_lT8_i.uses_flat_scratch, 1
	.set _ZL26rocblas_hemvn_kernel_lowerILb1ELi64ELi4ELi33ELi32ELi16El19rocblas_complex_numIfEPKPKS1_PS1_EviT6_lT7_lT5_lS8_lS9_lS7_lT8_i.has_dyn_sized_stack, 0
	.set _ZL26rocblas_hemvn_kernel_lowerILb1ELi64ELi4ELi33ELi32ELi16El19rocblas_complex_numIfEPKPKS1_PS1_EviT6_lT7_lT5_lS8_lS9_lS7_lT8_i.has_recursion, 0
	.set _ZL26rocblas_hemvn_kernel_lowerILb1ELi64ELi4ELi33ELi32ELi16El19rocblas_complex_numIfEPKPKS1_PS1_EviT6_lT7_lT5_lS8_lS9_lS7_lT8_i.has_indirect_call, 0
	.section	.AMDGPU.csdata,"",@progbits
; Kernel info:
; codeLenInByte = 9492
; TotalNumSgprs: 82
; NumVgprs: 142
; ScratchSize: 0
; MemoryBound: 1
; FloatMode: 240
; IeeeMode: 1
; LDSByteSize: 9600 bytes/workgroup (compile time only)
; SGPRBlocks: 0
; VGPRBlocks: 17
; NumSGPRsForWavesPerEU: 82
; NumVGPRsForWavesPerEU: 142
; Occupancy: 10
; WaveLimiterHint : 1
; COMPUTE_PGM_RSRC2:SCRATCH_EN: 0
; COMPUTE_PGM_RSRC2:USER_SGPR: 2
; COMPUTE_PGM_RSRC2:TRAP_HANDLER: 0
; COMPUTE_PGM_RSRC2:TGID_X_EN: 1
; COMPUTE_PGM_RSRC2:TGID_Y_EN: 0
; COMPUTE_PGM_RSRC2:TGID_Z_EN: 1
; COMPUTE_PGM_RSRC2:TIDIG_COMP_CNT: 1
	.section	.text._ZL36rocblas_hemvn_kernel_lower_block_sumILi64El19rocblas_complex_numIfEPKPS1_S1_EviT1_lS5_lT2_lT0_lPT3_i,"axG",@progbits,_ZL36rocblas_hemvn_kernel_lower_block_sumILi64El19rocblas_complex_numIfEPKPS1_S1_EviT1_lS5_lT2_lT0_lPT3_i,comdat
	.globl	_ZL36rocblas_hemvn_kernel_lower_block_sumILi64El19rocblas_complex_numIfEPKPS1_S1_EviT1_lS5_lT2_lT0_lPT3_i ; -- Begin function _ZL36rocblas_hemvn_kernel_lower_block_sumILi64El19rocblas_complex_numIfEPKPS1_S1_EviT1_lS5_lT2_lT0_lPT3_i
	.p2align	8
	.type	_ZL36rocblas_hemvn_kernel_lower_block_sumILi64El19rocblas_complex_numIfEPKPS1_S1_EviT1_lS5_lT2_lT0_lPT3_i,@function
_ZL36rocblas_hemvn_kernel_lower_block_sumILi64El19rocblas_complex_numIfEPKPS1_S1_EviT1_lS5_lT2_lT0_lPT3_i: ; @_ZL36rocblas_hemvn_kernel_lower_block_sumILi64El19rocblas_complex_numIfEPKPS1_S1_EviT1_lS5_lT2_lT0_lPT3_i
; %bb.0:
	s_load_b32 s20, s[0:1], 0x50
	s_lshr_b32 s2, ttmp7, 16
	s_wait_kmcnt 0x0
	s_cmp_ge_u32 s2, s20
	s_cbranch_scc1 .LBB45_21
; %bb.1:
	s_clause 0x5
	s_load_b64 s[8:9], s[0:1], 0x4
	s_load_b64 s[10:11], s[0:1], 0x18
	s_load_b32 s16, s[0:1], 0x0
	s_load_b128 s[4:7], s[0:1], 0x30
	s_load_b64 s[12:13], s[0:1], 0x28
	s_load_b64 s[18:19], s[0:1], 0x48
	s_add_nc_u64 s[14:15], s[0:1], 0x58
	s_wait_kmcnt 0x0
	s_or_b32 s3, s8, s9
	s_delay_alu instid0(SALU_CYCLE_1) | instskip(NEXT) | instid1(SALU_CYCLE_1)
	s_bitset0_b32 s3, 31
	s_cmp_eq_u32 s3, 0
	s_cselect_b32 s21, -1, 0
	s_cmp_lg_u32 s3, 0
	s_mov_b32 s3, 0
	s_cselect_b32 s22, -1, 0
	s_cmp_neq_f32 s10, 1.0
	s_cselect_b32 s23, -1, 0
	s_cmp_neq_f32 s11, 0
	s_cselect_b32 s24, -1, 0
	s_lshl_b32 s17, ttmp9, 6
	s_cmp_neq_f32 s10, 0
	v_or_b32_e32 v0, s17, v0
	s_cselect_b32 s25, -1, 0
	s_ashr_i32 s1, s17, 31
	s_delay_alu instid0(VALU_DEP_1)
	v_mad_co_u64_u32 v[1:2], null, s16, ttmp9, v[0:1]
	v_mul_lo_u32 v5, s7, v0
	v_mad_co_u64_u32 v[3:4], null, s6, v0, 0
	v_cmp_gt_i32_e64 s0, s16, v0
	s_mul_i32 s6, s6, s1
	s_ashr_i32 s17, s16, 31
	v_ashrrev_i32_e32 v2, 31, v1
	s_or_b32 s7, s23, s24
	s_lshl_b64 s[4:5], s[4:5], 3
	s_wait_alu 0xfffe
	v_add3_u32 v4, v4, s6, v5
	s_or_b32 s6, s25, s24
	v_lshlrev_b64_e32 v[0:1], 3, v[1:2]
	s_wait_alu 0xfffe
	v_cndmask_b32_e64 v6, 0, 1, s6
	s_or_b32 s1, s7, s22
	s_xor_b32 s22, s6, -1
	s_lshl_b64 s[6:7], s[16:17], 3
	v_add_co_u32 v2, vcc_lo, s18, v0
	s_delay_alu instid0(VALU_DEP_1) | instskip(SKIP_1) | instid1(VALU_DEP_3)
	v_add_co_ci_u32_e64 v5, null, s19, v1, vcc_lo
	v_lshlrev_b64_e32 v[0:1], 3, v[3:4]
	v_add_co_u32 v2, vcc_lo, v2, 4
	s_wait_alu 0xfffd
	s_delay_alu instid0(VALU_DEP_3)
	v_add_co_ci_u32_e64 v3, null, 0, v5, vcc_lo
	s_branch .LBB45_5
.LBB45_2:                               ;   in Loop: Header=BB45_5 Depth=1
	v_add_co_u32 v7, vcc_lo, s16, v0
	s_wait_alu 0xfffd
	v_add_co_ci_u32_e64 v8, null, s17, v1, vcc_lo
	flat_store_b64 v[7:8], v[4:5]
.LBB45_3:                               ;   in Loop: Header=BB45_5 Depth=1
	s_or_b32 exec_lo, exec_lo, s23
.LBB45_4:                               ;   in Loop: Header=BB45_5 Depth=1
	s_add_co_i32 s2, s2, 0x10000
	s_wait_alu 0xfffe
	s_cmp_lt_u32 s2, s20
	s_cbranch_scc0 .LBB45_21
.LBB45_5:                               ; =>This Loop Header: Depth=1
                                        ;     Child Loop BB45_16 Depth 2
	s_wait_alu 0xfffe
	s_and_not1_b32 vcc_lo, exec_lo, s1
	s_wait_alu 0xfffe
	s_cbranch_vccnz .LBB45_4
; %bb.6:                                ;   in Loop: Header=BB45_5 Depth=1
	s_lshl_b64 s[16:17], s[2:3], 3
	s_and_not1_b32 vcc_lo, exec_lo, s21
	s_wait_alu 0xfffe
	s_add_nc_u64 s[16:17], s[12:13], s[16:17]
	s_mov_b32 s18, -1
	s_load_b64 s[16:17], s[16:17], 0x0
	s_wait_kmcnt 0x0
	s_add_nc_u64 s[16:17], s[16:17], s[4:5]
	s_cbranch_vccnz .LBB45_12
; %bb.7:                                ;   in Loop: Header=BB45_5 Depth=1
	s_and_saveexec_b32 s18, s0
	s_cbranch_execz .LBB45_11
; %bb.8:                                ;   in Loop: Header=BB45_5 Depth=1
	v_cmp_ne_u32_e32 vcc_lo, 1, v6
	v_dual_mov_b32 v4, 0 :: v_dual_mov_b32 v5, 0
	s_cbranch_vccnz .LBB45_10
; %bb.9:                                ;   in Loop: Header=BB45_5 Depth=1
	s_wait_alu 0xfffe
	v_add_co_u32 v4, vcc_lo, s16, v0
	s_wait_alu 0xfffd
	v_add_co_ci_u32_e64 v5, null, s17, v1, vcc_lo
	flat_load_b64 v[7:8], v[4:5]
	s_wait_loadcnt_dscnt 0x0
	v_mul_f32_e32 v5, s10, v8
	s_delay_alu instid0(VALU_DEP_1) | instskip(NEXT) | instid1(VALU_DEP_1)
	v_dual_mul_f32 v4, s11, v8 :: v_dual_fmac_f32 v5, s11, v7
	v_fma_f32 v4, v7, s10, -v4
.LBB45_10:                              ;   in Loop: Header=BB45_5 Depth=1
	s_wait_alu 0xfffe
	v_add_co_u32 v7, vcc_lo, s16, v0
	s_wait_alu 0xfffd
	v_add_co_ci_u32_e64 v8, null, s17, v1, vcc_lo
	flat_store_b64 v[7:8], v[4:5]
.LBB45_11:                              ;   in Loop: Header=BB45_5 Depth=1
	s_wait_alu 0xfffe
	s_or_b32 exec_lo, exec_lo, s18
	s_mov_b32 s18, 0
.LBB45_12:                              ;   in Loop: Header=BB45_5 Depth=1
	s_wait_alu 0xfffe
	s_and_not1_b32 vcc_lo, exec_lo, s18
	s_wait_alu 0xfffe
	s_cbranch_vccnz .LBB45_4
; %bb.13:                               ;   in Loop: Header=BB45_5 Depth=1
	s_and_saveexec_b32 s23, s0
	s_cbranch_execz .LBB45_3
; %bb.14:                               ;   in Loop: Header=BB45_5 Depth=1
	s_load_b32 s18, s[14:15], 0x0
	v_dual_mov_b32 v7, 0 :: v_dual_mov_b32 v8, 0
	s_wait_kmcnt 0x0
	s_cmp_ge_i32 ttmp9, s18
	s_cbranch_scc1 .LBB45_17
; %bb.15:                               ;   in Loop: Header=BB45_5 Depth=1
	s_mov_b32 s19, s3
	v_mov_b32_e32 v7, 0
	s_wait_alu 0xfffe
	s_mul_u64 s[26:27], s[6:7], s[18:19]
	s_mov_b32 s24, ttmp9
	s_wait_alu 0xfffe
	v_mad_co_u64_u32 v[4:5], null, s26, s2, v[2:3]
	s_delay_alu instid0(VALU_DEP_1) | instskip(NEXT) | instid1(VALU_DEP_1)
	v_mad_co_u64_u32 v[8:9], null, s27, s2, v[5:6]
	v_dual_mov_b32 v5, v8 :: v_dual_mov_b32 v8, 0
.LBB45_16:                              ;   Parent Loop BB45_5 Depth=1
                                        ; =>  This Inner Loop Header: Depth=2
	global_load_b64 v[9:10], v[4:5], off offset:-4
	v_add_co_u32 v4, vcc_lo, v4, s6
	s_wait_alu 0xfffd
	v_add_co_ci_u32_e64 v5, null, s7, v5, vcc_lo
	s_add_co_i32 s24, s24, 1
	s_delay_alu instid0(SALU_CYCLE_1)
	s_cmp_ge_i32 s24, s18
	s_wait_loadcnt 0x0
	v_dual_add_f32 v8, v8, v9 :: v_dual_add_f32 v7, v7, v10
	s_cbranch_scc0 .LBB45_16
.LBB45_17:                              ;   in Loop: Header=BB45_5 Depth=1
	s_delay_alu instid0(VALU_DEP_1) | instskip(SKIP_3) | instid1(VALU_DEP_2)
	v_mul_f32_e32 v5, s8, v7
	v_mul_f32_e32 v4, s9, v7
	s_and_b32 vcc_lo, exec_lo, s22
	s_mov_b32 s18, -1
	v_fmac_f32_e32 v5, s9, v8
	s_delay_alu instid0(VALU_DEP_2)
	v_fma_f32 v4, v8, s8, -v4
	s_wait_alu 0xfffe
	s_cbranch_vccz .LBB45_19
; %bb.18:                               ;   in Loop: Header=BB45_5 Depth=1
	s_mov_b32 s18, 0
.LBB45_19:                              ;   in Loop: Header=BB45_5 Depth=1
	s_wait_alu 0xfffe
	s_and_not1_b32 vcc_lo, exec_lo, s18
	s_wait_alu 0xfffe
	s_cbranch_vccnz .LBB45_2
; %bb.20:                               ;   in Loop: Header=BB45_5 Depth=1
	v_add_co_u32 v7, vcc_lo, s16, v0
	s_wait_alu 0xfffd
	v_add_co_ci_u32_e64 v8, null, s17, v1, vcc_lo
	flat_load_b64 v[7:8], v[7:8]
	s_wait_loadcnt_dscnt 0x0
	v_mul_f32_e32 v9, s11, v8
	v_mul_f32_e32 v8, s10, v8
	s_delay_alu instid0(VALU_DEP_1) | instskip(NEXT) | instid1(VALU_DEP_3)
	v_fmac_f32_e32 v8, s11, v7
	v_fma_f32 v9, v7, s10, -v9
	s_delay_alu instid0(VALU_DEP_1)
	v_dual_add_f32 v5, v5, v8 :: v_dual_add_f32 v4, v4, v9
	s_branch .LBB45_2
.LBB45_21:
	s_endpgm
	.section	.rodata,"a",@progbits
	.p2align	6, 0x0
	.amdhsa_kernel _ZL36rocblas_hemvn_kernel_lower_block_sumILi64El19rocblas_complex_numIfEPKPS1_S1_EviT1_lS5_lT2_lT0_lPT3_i
		.amdhsa_group_segment_fixed_size 0
		.amdhsa_private_segment_fixed_size 0
		.amdhsa_kernarg_size 344
		.amdhsa_user_sgpr_count 2
		.amdhsa_user_sgpr_dispatch_ptr 0
		.amdhsa_user_sgpr_queue_ptr 0
		.amdhsa_user_sgpr_kernarg_segment_ptr 1
		.amdhsa_user_sgpr_dispatch_id 0
		.amdhsa_user_sgpr_private_segment_size 0
		.amdhsa_wavefront_size32 1
		.amdhsa_uses_dynamic_stack 0
		.amdhsa_enable_private_segment 0
		.amdhsa_system_sgpr_workgroup_id_x 1
		.amdhsa_system_sgpr_workgroup_id_y 0
		.amdhsa_system_sgpr_workgroup_id_z 1
		.amdhsa_system_sgpr_workgroup_info 0
		.amdhsa_system_vgpr_workitem_id 0
		.amdhsa_next_free_vgpr 11
		.amdhsa_next_free_sgpr 28
		.amdhsa_reserve_vcc 1
		.amdhsa_float_round_mode_32 0
		.amdhsa_float_round_mode_16_64 0
		.amdhsa_float_denorm_mode_32 3
		.amdhsa_float_denorm_mode_16_64 3
		.amdhsa_fp16_overflow 0
		.amdhsa_workgroup_processor_mode 1
		.amdhsa_memory_ordered 1
		.amdhsa_forward_progress 1
		.amdhsa_inst_pref_size 7
		.amdhsa_round_robin_scheduling 0
		.amdhsa_exception_fp_ieee_invalid_op 0
		.amdhsa_exception_fp_denorm_src 0
		.amdhsa_exception_fp_ieee_div_zero 0
		.amdhsa_exception_fp_ieee_overflow 0
		.amdhsa_exception_fp_ieee_underflow 0
		.amdhsa_exception_fp_ieee_inexact 0
		.amdhsa_exception_int_div_zero 0
	.end_amdhsa_kernel
	.section	.text._ZL36rocblas_hemvn_kernel_lower_block_sumILi64El19rocblas_complex_numIfEPKPS1_S1_EviT1_lS5_lT2_lT0_lPT3_i,"axG",@progbits,_ZL36rocblas_hemvn_kernel_lower_block_sumILi64El19rocblas_complex_numIfEPKPS1_S1_EviT1_lS5_lT2_lT0_lPT3_i,comdat
.Lfunc_end45:
	.size	_ZL36rocblas_hemvn_kernel_lower_block_sumILi64El19rocblas_complex_numIfEPKPS1_S1_EviT1_lS5_lT2_lT0_lPT3_i, .Lfunc_end45-_ZL36rocblas_hemvn_kernel_lower_block_sumILi64El19rocblas_complex_numIfEPKPS1_S1_EviT1_lS5_lT2_lT0_lPT3_i
                                        ; -- End function
	.set _ZL36rocblas_hemvn_kernel_lower_block_sumILi64El19rocblas_complex_numIfEPKPS1_S1_EviT1_lS5_lT2_lT0_lPT3_i.num_vgpr, 11
	.set _ZL36rocblas_hemvn_kernel_lower_block_sumILi64El19rocblas_complex_numIfEPKPS1_S1_EviT1_lS5_lT2_lT0_lPT3_i.num_agpr, 0
	.set _ZL36rocblas_hemvn_kernel_lower_block_sumILi64El19rocblas_complex_numIfEPKPS1_S1_EviT1_lS5_lT2_lT0_lPT3_i.numbered_sgpr, 28
	.set _ZL36rocblas_hemvn_kernel_lower_block_sumILi64El19rocblas_complex_numIfEPKPS1_S1_EviT1_lS5_lT2_lT0_lPT3_i.num_named_barrier, 0
	.set _ZL36rocblas_hemvn_kernel_lower_block_sumILi64El19rocblas_complex_numIfEPKPS1_S1_EviT1_lS5_lT2_lT0_lPT3_i.private_seg_size, 0
	.set _ZL36rocblas_hemvn_kernel_lower_block_sumILi64El19rocblas_complex_numIfEPKPS1_S1_EviT1_lS5_lT2_lT0_lPT3_i.uses_vcc, 1
	.set _ZL36rocblas_hemvn_kernel_lower_block_sumILi64El19rocblas_complex_numIfEPKPS1_S1_EviT1_lS5_lT2_lT0_lPT3_i.uses_flat_scratch, 0
	.set _ZL36rocblas_hemvn_kernel_lower_block_sumILi64El19rocblas_complex_numIfEPKPS1_S1_EviT1_lS5_lT2_lT0_lPT3_i.has_dyn_sized_stack, 0
	.set _ZL36rocblas_hemvn_kernel_lower_block_sumILi64El19rocblas_complex_numIfEPKPS1_S1_EviT1_lS5_lT2_lT0_lPT3_i.has_recursion, 0
	.set _ZL36rocblas_hemvn_kernel_lower_block_sumILi64El19rocblas_complex_numIfEPKPS1_S1_EviT1_lS5_lT2_lT0_lPT3_i.has_indirect_call, 0
	.section	.AMDGPU.csdata,"",@progbits
; Kernel info:
; codeLenInByte = 864
; TotalNumSgprs: 30
; NumVgprs: 11
; ScratchSize: 0
; MemoryBound: 0
; FloatMode: 240
; IeeeMode: 1
; LDSByteSize: 0 bytes/workgroup (compile time only)
; SGPRBlocks: 0
; VGPRBlocks: 1
; NumSGPRsForWavesPerEU: 30
; NumVGPRsForWavesPerEU: 11
; Occupancy: 16
; WaveLimiterHint : 1
; COMPUTE_PGM_RSRC2:SCRATCH_EN: 0
; COMPUTE_PGM_RSRC2:USER_SGPR: 2
; COMPUTE_PGM_RSRC2:TRAP_HANDLER: 0
; COMPUTE_PGM_RSRC2:TGID_X_EN: 1
; COMPUTE_PGM_RSRC2:TGID_Y_EN: 0
; COMPUTE_PGM_RSRC2:TGID_Z_EN: 1
; COMPUTE_PGM_RSRC2:TIDIG_COMP_CNT: 0
	.section	.text._ZL26rocblas_hemvn_kernel_lowerILb1ELi64ELi4ELi33ELi32ELi16Ei19rocblas_complex_numIfEPKPKS1_PS1_EviT6_lT7_lT5_lS8_lS9_lS7_lT8_i,"axG",@progbits,_ZL26rocblas_hemvn_kernel_lowerILb1ELi64ELi4ELi33ELi32ELi16Ei19rocblas_complex_numIfEPKPKS1_PS1_EviT6_lT7_lT5_lS8_lS9_lS7_lT8_i,comdat
	.globl	_ZL26rocblas_hemvn_kernel_lowerILb1ELi64ELi4ELi33ELi32ELi16Ei19rocblas_complex_numIfEPKPKS1_PS1_EviT6_lT7_lT5_lS8_lS9_lS7_lT8_i ; -- Begin function _ZL26rocblas_hemvn_kernel_lowerILb1ELi64ELi4ELi33ELi32ELi16Ei19rocblas_complex_numIfEPKPKS1_PS1_EviT6_lT7_lT5_lS8_lS9_lS7_lT8_i
	.p2align	8
	.type	_ZL26rocblas_hemvn_kernel_lowerILb1ELi64ELi4ELi33ELi32ELi16Ei19rocblas_complex_numIfEPKPKS1_PS1_EviT6_lT7_lT5_lS8_lS9_lS7_lT8_i,@function
_ZL26rocblas_hemvn_kernel_lowerILb1ELi64ELi4ELi33ELi32ELi16Ei19rocblas_complex_numIfEPKPKS1_PS1_EviT6_lT7_lT5_lS8_lS9_lS7_lT8_i: ; @_ZL26rocblas_hemvn_kernel_lowerILb1ELi64ELi4ELi33ELi32ELi16Ei19rocblas_complex_numIfEPKPKS1_PS1_EviT6_lT7_lT5_lS8_lS9_lS7_lT8_i
; %bb.0:
	s_clause 0x1
	s_load_b64 s[2:3], s[0:1], 0x84
	s_load_b32 s23, s[0:1], 0x70
	s_lshr_b32 s34, ttmp7, 16
	s_wait_kmcnt 0x0
	s_lshr_b32 s4, s2, 16
	s_and_b32 s2, s2, 0xffff
	s_and_b32 s3, s3, 0xffff
	s_mul_i32 s2, s4, s2
	s_delay_alu instid0(SALU_CYCLE_1) | instskip(NEXT) | instid1(SALU_CYCLE_1)
	s_mul_i32 s2, s2, s3
	s_cmp_lg_u32 s2, 0x100
	s_cselect_b32 s2, -1, 0
	s_cmp_ge_u32 s34, s23
	s_cselect_b32 s3, -1, 0
	s_delay_alu instid0(SALU_CYCLE_1) | instskip(NEXT) | instid1(SALU_CYCLE_1)
	s_or_b32 s2, s2, s3
	s_and_b32 vcc_lo, exec_lo, s2
	s_cbranch_vccnz .LBB46_138
; %bb.1:
	s_clause 0x5
	s_load_b64 s[4:5], s[0:1], 0x4
	s_load_b32 s2, s[0:1], 0x0
	s_load_b32 s54, s[0:1], 0x28
	s_load_b64 s[6:7], s[0:1], 0x58
	s_load_b128 s[24:27], s[0:1], 0x18
	s_load_b64 s[8:9], s[0:1], 0x68
	s_add_nc_u64 s[10:11], s[0:1], 0x78
	s_clause 0x1
	s_load_b128 s[28:31], s[0:1], 0x38
	s_load_b32 s22, s[0:1], 0x48
	s_load_b32 s10, s[10:11], 0x0
	v_dual_mov_b32 v33, 0 :: v_dual_and_b32 v84, 0x3ff, v0
	v_bfe_u32 v3, v0, 10, 10
	v_and_b32_e32 v1, 31, v0
	s_mov_b32 s35, 0
	s_delay_alu instid0(VALU_DEP_3)
	v_lshlrev_b32_e32 v85, 3, v84
	s_mov_b32 s11, s35
	v_lshl_add_u32 v16, v3, 6, v84
	v_mul_u32_u24_e32 v22, 33, v1
	v_lshlrev_b32_e32 v17, 3, v1
	v_and_b32_e32 v24, 15, v0
	s_wait_kmcnt 0x0
	s_or_b32 s0, s4, s5
	s_ashr_i32 s3, s2, 31
	s_bitset0_b32 s0, 31
	s_ashr_i32 s55, s54, 31
	s_cmp_eq_u32 s0, 0
	v_lshrrev_b32_e32 v10, 5, v16
	s_cselect_b32 s33, -1, 0
	s_cmp_lg_u32 s0, 0
	v_lshlrev_b32_e32 v91, 3, v22
	s_cselect_b32 s60, -1, 0
	s_cmp_neq_f32 s6, 1.0
	v_lshlrev_b32_e32 v23, 3, v10
	s_mul_i32 s4, s2, ttmp9
	v_lshl_or_b32 v15, v1, 8, v17
	s_cselect_b32 s50, -1, 0
	s_cmp_neq_f32 s7, 0
	v_and_b32_e32 v19, 0x7fe0, v16
	v_add_nc_u32_e32 v94, v91, v23
	s_mul_u64 s[38:39], s[10:11], s[2:3]
	s_cselect_b32 s51, -1, 0
	s_lshr_b32 s1, s3, 26
	s_add_co_i32 s5, s10, -1
	s_add_co_i32 s1, s2, s1
	s_lshl_b32 s56, ttmp9, 6
	s_and_not1_b32 s1, s1, 63
	v_add_nc_u32_e32 v2, s56, v84
	s_sub_co_i32 s1, s2, s1
	s_cmp_eq_u32 ttmp9, s5
	v_lshlrev_b32_e32 v14, 2, v10
	s_cselect_b32 s36, s1, 0
	v_mad_co_u64_u32 v[4:5], null, s54, v10, v[1:2]
	s_cmp_eq_u32 s36, 0
	v_mul_u32_u24_e32 v18, 0x108, v10
	s_cselect_b32 s72, -1, 0
	s_cmp_lg_u32 s36, 0
	v_add_nc_u32_e32 v11, 8, v10
	s_cselect_b32 s1, -1, 0
	s_ashr_i32 s5, s4, 31
	s_sub_co_i32 s20, s36, 32
	s_lshl_b64 s[2:3], s[4:5], 3
	v_add_nc_u32_e32 v12, 16, v10
	s_add_nc_u64 s[40:41], s[8:9], s[2:3]
	v_sub_co_u32 v8, s3, 0, v1
	s_delay_alu instid0(VALU_DEP_1)
	v_sub_co_ci_u32_e64 v9, null, 0, 0, s3
	v_add_nc_u32_e32 v13, 24, v10
	v_cmp_le_i32_e64 s3, s36, v10
	v_mul_u32_u24_e32 v21, 0x420, v10
	v_add_nc_u32_e32 v88, v15, v19
	v_add_nc_u32_e32 v93, 0x2380, v19
	v_cmp_le_i32_e64 s17, s20, v10
	v_cmp_eq_u32_e64 s21, 1, v10
	v_mul_i32_i24_e32 v19, 0xffffffe8, v10
	v_mad_u32_u24 v95, v10, 24, v94
	v_mul_lo_u32 v10, v3, s54
	v_cmp_ge_u32_e64 s7, v14, v1
	v_cmp_eq_u32_e64 s8, v14, v1
	v_or_b32_e32 v20, 1, v14
	v_or_b32_e32 v15, 2, v14
	;; [unrolled: 1-line block ×3, first 2 shown]
	v_lshrrev_b32_e32 v22, 4, v16
	v_mul_lo_u32 v6, s22, v2
	v_cmp_le_i32_e32 vcc_lo, s36, v84
	s_mul_i32 s48, s22, s56
	v_cmp_ge_u32_e64 s13, v14, v1
	v_cmp_eq_u32_e64 s14, v14, v1
	v_or_b32_e32 v14, 32, v1
	v_ashrrev_i32_e32 v5, 31, v4
	v_lshl_add_u32 v10, v10, 2, v84
	s_ashr_i32 s49, s48, 31
	v_and_b32_e32 v0, 48, v0
	v_lshlrev_b32_e32 v25, 5, v22
	s_and_b32 s1, s1, vcc_lo
	v_cmp_le_i32_e64 s5, s36, v12
	v_cmp_gt_i32_e64 s16, s36, v14
	v_cmp_le_i32_e64 s19, s20, v12
	s_sub_nc_u64 s[66:67], 0, s[48:49]
	v_sub_co_u32 v12, vcc_lo, 0, v4
	v_sub_co_u32 v14, s48, 0, v84
	v_cmp_eq_u32_e64 s0, 0, v3
	v_ashrrev_i32_e32 v7, 31, v6
	v_cmp_le_i32_e64 s4, s36, v11
	v_cmp_le_i32_e64 s6, s36, v13
	v_cmp_ge_u32_e64 s11, v15, v1
	v_cmp_eq_u32_e64 s12, v15, v1
	v_cmp_le_i32_e64 s18, s20, v11
	v_cmp_le_i32_e64 s20, s20, v13
	v_sub_co_ci_u32_e64 v13, null, 0, v5, vcc_lo
	v_ashrrev_i32_e32 v11, 31, v10
	v_sub_co_ci_u32_e64 v15, null, 0, 0, s48
	v_lshl_add_u32 v97, v3, 5, 0x2180
	v_mad_u32_u24 v98, 0x860, v3, v85
	v_mad_u32_u24 v102, 0x218, v3, v85
	v_ashrrev_i32_e32 v3, 31, v2
	s_mul_i32 s58, s54, s56
	s_lshl_b32 s42, s54, 3
	s_lshl_b32 s44, s54, 4
	s_mul_i32 s46, s54, 24
	v_cmp_ge_u32_e64 s9, v20, v1
	v_cmp_eq_u32_e64 s10, v20, v1
	v_mul_u32_u24_e32 v20, 0x108, v20
	s_lshl_b32 s62, s54, 5
	v_lshlrev_b32_e32 v0, 3, v0
	v_or_b32_e32 v26, 0x78, v85
	v_mad_u32_u24 v99, 0x218, v24, v25
	v_mul_i32_i24_e32 v22, 0xffffffe8, v22
	s_ashr_i32 s57, s56, 31
	s_ashr_i32 s59, s58, 31
	;; [unrolled: 1-line block ×7, first 2 shown]
	s_xor_b32 s52, s1, -1
	s_cmp_gt_i32 ttmp9, 0
	v_lshlrev_b64_e32 v[34:35], 3, v[6:7]
	v_lshlrev_b64_e32 v[36:37], 3, v[4:5]
	;; [unrolled: 1-line block ×7, first 2 shown]
	v_add_nc_u32_e32 v86, 0x2380, v85
	v_cmp_gt_i32_e64 s2, s36, v1
	v_mad_u32_u24 v87, 0x108, v1, v17
	v_add_nc_u32_e32 v89, 8, v88
	v_add_nc_u32_e32 v90, 16, v88
	;; [unrolled: 1-line block ×3, first 2 shown]
	v_cmp_gt_u32_e64 s15, 32, v16
	s_cselect_b32 s73, -1, 0
	s_lshl_b32 s74, s22, 6
	v_add_nc_u32_e32 v96, 0x2180, v85
	v_cmp_gt_u32_e64 s22, 64, v16
	v_mad_u32_u24 v100, 0x218, v24, v0
	v_mad_u32_u24 v101, 0x218, v24, v26
	v_add_nc_u32_e32 v103, 0x2380, v23
	v_add_nc_u32_e32 v104, v17, v18
	;; [unrolled: 1-line block ×6, first 2 shown]
	v_lshlrev_b32_e32 v109, 3, v1
	s_sub_nc_u64 s[64:65], 0, s[62:63]
	s_sub_nc_u64 s[68:69], 0, s[58:59]
	s_or_b32 s61, s50, s51
	s_and_b32 s75, s0, s52
	s_lshl_b64 s[48:49], s[54:55], 6
	s_wait_alu 0xfffe
	s_sub_nc_u64 s[50:51], 0, s[36:37]
	s_lshl_b64 s[52:53], s[54:55], 3
	s_mul_u64 s[54:55], s[54:55], 0x68
	s_or_b32 s76, s61, s60
	s_lshl_b64 s[30:31], s[30:31], 3
	s_lshl_b64 s[26:27], s[26:27], 3
	;; [unrolled: 1-line block ×8, first 2 shown]
	s_branch .LBB46_4
.LBB46_2:                               ;   in Loop: Header=BB46_4 Depth=1
	s_wait_alu 0xfffe
	s_or_b32 exec_lo, exec_lo, s70
.LBB46_3:                               ;   in Loop: Header=BB46_4 Depth=1
	s_add_co_i32 s34, s34, 0x10000
	s_delay_alu instid0(SALU_CYCLE_1)
	s_cmp_lt_u32 s34, s23
	s_cbranch_scc0 .LBB46_138
.LBB46_4:                               ; =>This Loop Header: Depth=1
                                        ;     Child Loop BB46_114 Depth 2
	s_and_not1_b32 vcc_lo, exec_lo, s76
	s_wait_alu 0xfffe
	s_cbranch_vccnz .LBB46_3
; %bb.5:                                ;   in Loop: Header=BB46_4 Depth=1
	s_and_b32 vcc_lo, exec_lo, s33
	s_mov_b32 s68, -1
	s_wait_alu 0xfffe
	s_cbranch_vccz .LBB46_7
; %bb.6:                                ;   in Loop: Header=BB46_4 Depth=1
	s_mov_b32 s68, 0
.LBB46_7:                               ;   in Loop: Header=BB46_4 Depth=1
	s_wait_alu 0xfffe
	s_and_not1_b32 vcc_lo, exec_lo, s68
	s_wait_alu 0xfffe
	s_cbranch_vccnz .LBB46_3
; %bb.8:                                ;   in Loop: Header=BB46_4 Depth=1
	s_lshl_b64 s[68:69], s[34:35], 3
	s_wait_alu 0xfffe
	s_add_nc_u64 s[70:71], s[28:29], s[68:69]
	s_add_nc_u64 s[68:69], s[24:25], s[68:69]
	s_clause 0x1
	global_load_b64 v[2:3], v33, s[70:71]
	global_load_b64 v[0:1], v33, s[68:69]
	s_wait_loadcnt 0x1
	v_add_co_u32 v2, vcc_lo, v2, s30
	s_wait_alu 0xfffd
	v_add_co_ci_u32_e64 v3, null, s31, v3, vcc_lo
	s_delay_alu instid0(VALU_DEP_2) | instskip(SKIP_1) | instid1(VALU_DEP_2)
	v_add_co_u32 v16, vcc_lo, v2, v34
	s_wait_alu 0xfffd
	v_add_co_ci_u32_e64 v17, null, v3, v35, vcc_lo
	s_and_saveexec_b32 s68, s0
	s_cbranch_execz .LBB46_13
; %bb.9:                                ;   in Loop: Header=BB46_4 Depth=1
	s_and_saveexec_b32 s69, s1
	s_wait_alu 0xfffe
	s_xor_b32 s69, exec_lo, s69
; %bb.10:                               ;   in Loop: Header=BB46_4 Depth=1
	v_mov_b32_e32 v32, v33
	ds_store_b64 v86, v[32:33]
; %bb.11:                               ;   in Loop: Header=BB46_4 Depth=1
	s_wait_alu 0xfffe
	s_and_not1_saveexec_b32 s69, s69
	s_cbranch_execz .LBB46_13
; %bb.12:                               ;   in Loop: Header=BB46_4 Depth=1
	flat_load_b64 v[2:3], v[16:17]
	s_wait_loadcnt_dscnt 0x0
	ds_store_b64 v86, v[2:3]
.LBB46_13:                              ;   in Loop: Header=BB46_4 Depth=1
	s_wait_alu 0xfffe
	s_or_b32 exec_lo, exec_lo, s68
	s_wait_loadcnt 0x0
	v_add_co_u32 v0, vcc_lo, v0, s26
	s_wait_alu 0xfffd
	v_add_co_ci_u32_e64 v1, null, s27, v1, vcc_lo
	s_mov_b32 s68, -1
	v_add_co_u32 v0, vcc_lo, v0, s56
	s_wait_alu 0xfffd
	v_add_co_ci_u32_e64 v1, null, s57, v1, vcc_lo
	s_delay_alu instid0(VALU_DEP_2) | instskip(SKIP_1) | instid1(VALU_DEP_2)
	v_add_co_u32 v0, vcc_lo, v0, v36
	s_wait_alu 0xfffd
	v_add_co_ci_u32_e64 v1, null, v1, v37, vcc_lo
	s_delay_alu instid0(VALU_DEP_2) | instskip(SKIP_1) | instid1(VALU_DEP_2)
	v_add_co_u32 v0, vcc_lo, v0, s58
	s_wait_alu 0xfffd
	v_add_co_ci_u32_e64 v1, null, s59, v1, vcc_lo
	s_and_not1_b32 vcc_lo, exec_lo, s72
	s_wait_alu 0xfffe
	s_cbranch_vccnz .LBB46_15
; %bb.14:                               ;   in Loop: Header=BB46_4 Depth=1
	s_lshl_b64 s[68:69], s[42:43], 3
	s_wait_alu 0xfffe
	v_add_co_u32 v2, vcc_lo, v0, s68
	s_wait_alu 0xfffd
	v_add_co_ci_u32_e64 v3, null, s69, v1, vcc_lo
	s_mov_b32 s68, 0
	v_add_co_u32 v4, vcc_lo, v2, s48
	s_wait_alu 0xfffd
	v_add_co_ci_u32_e64 v5, null, s49, v3, vcc_lo
	s_delay_alu instid0(VALU_DEP_2) | instskip(SKIP_1) | instid1(VALU_DEP_2)
	v_add_co_u32 v6, vcc_lo, v4, s48
	s_wait_alu 0xfffd
	v_add_co_ci_u32_e64 v7, null, s49, v5, vcc_lo
	s_clause 0x3
	flat_load_b64 v[8:9], v[0:1]
	flat_load_b64 v[2:3], v[2:3]
	flat_load_b64 v[4:5], v[4:5]
	flat_load_b64 v[6:7], v[6:7]
	s_wait_loadcnt_dscnt 0x303
	ds_store_b64 v104, v[8:9]
	s_wait_loadcnt_dscnt 0x203
	ds_store_b64 v104, v[2:3] offset:2112
	s_wait_loadcnt_dscnt 0x103
	ds_store_b64 v104, v[4:5] offset:4224
	;; [unrolled: 2-line block ×3, first 2 shown]
.LBB46_15:                              ;   in Loop: Header=BB46_4 Depth=1
	s_wait_alu 0xfffe
	s_and_not1_b32 vcc_lo, exec_lo, s68
	s_wait_alu 0xfffe
	s_cbranch_vccnz .LBB46_27
; %bb.16:                               ;   in Loop: Header=BB46_4 Depth=1
	s_and_saveexec_b32 s68, s3
	s_wait_alu 0xfffe
	s_xor_b32 s68, exec_lo, s68
; %bb.17:                               ;   in Loop: Header=BB46_4 Depth=1
	v_mov_b32_e32 v32, v33
	ds_store_b64 v104, v[32:33]
; %bb.18:                               ;   in Loop: Header=BB46_4 Depth=1
	s_wait_alu 0xfffe
	s_or_saveexec_b32 s68, s68
	v_add_co_u32 v2, vcc_lo, v0, v38
	s_wait_alu 0xfffd
	v_add_co_ci_u32_e64 v3, null, v1, v39, vcc_lo
	s_lshl_b64 s[70:71], s[36:37], 3
	s_wait_alu 0xfffe
	v_add_co_u32 v2, vcc_lo, v2, s70
	s_wait_alu 0xfffd
	v_add_co_ci_u32_e64 v3, null, s71, v3, vcc_lo
	s_delay_alu instid0(VALU_DEP_2) | instskip(SKIP_1) | instid1(VALU_DEP_2)
	v_add_co_u32 v2, vcc_lo, v2, -8
	s_wait_alu 0xfffd
	v_add_co_ci_u32_e64 v3, null, -1, v3, vcc_lo
	s_delay_alu instid0(VALU_DEP_2) | instskip(NEXT) | instid1(VALU_DEP_2)
	v_cndmask_b32_e64 v2, v2, v0, s2
	v_cndmask_b32_e64 v3, v3, v1, s2
	s_xor_b32 exec_lo, exec_lo, s68
	s_cbranch_execnz .LBB46_120
; %bb.19:                               ;   in Loop: Header=BB46_4 Depth=1
	s_or_b32 exec_lo, exec_lo, s68
	s_and_saveexec_b32 s68, s4
	s_wait_alu 0xfffe
	s_xor_b32 s68, exec_lo, s68
	s_cbranch_execnz .LBB46_121
.LBB46_20:                              ;   in Loop: Header=BB46_4 Depth=1
	s_wait_alu 0xfffe
	s_and_not1_saveexec_b32 s68, s68
	s_cbranch_execnz .LBB46_122
.LBB46_21:                              ;   in Loop: Header=BB46_4 Depth=1
	s_wait_alu 0xfffe
	s_or_b32 exec_lo, exec_lo, s68
	s_and_saveexec_b32 s68, s5
	s_wait_alu 0xfffe
	s_xor_b32 s68, exec_lo, s68
	s_cbranch_execnz .LBB46_123
.LBB46_22:                              ;   in Loop: Header=BB46_4 Depth=1
	s_wait_alu 0xfffe
	s_and_not1_saveexec_b32 s68, s68
	s_cbranch_execnz .LBB46_124
.LBB46_23:                              ;   in Loop: Header=BB46_4 Depth=1
	s_wait_alu 0xfffe
	s_or_b32 exec_lo, exec_lo, s68
	s_and_saveexec_b32 s68, s6
	s_wait_alu 0xfffe
	s_xor_b32 s68, exec_lo, s68
	s_cbranch_execnz .LBB46_125
.LBB46_24:                              ;   in Loop: Header=BB46_4 Depth=1
	s_wait_alu 0xfffe
	s_and_not1_saveexec_b32 s68, s68
	s_cbranch_execz .LBB46_26
.LBB46_25:                              ;   in Loop: Header=BB46_4 Depth=1
	s_lshl_b64 s[70:71], s[46:47], 3
	s_wait_alu 0xfffe
	v_add_co_u32 v4, vcc_lo, v2, s70
	s_wait_alu 0xfffd
	v_add_co_ci_u32_e64 v5, null, s71, v3, vcc_lo
	flat_load_b64 v[4:5], v[4:5]
	s_wait_loadcnt_dscnt 0x0
	ds_store_b64 v104, v[4:5] offset:6336
.LBB46_26:                              ;   in Loop: Header=BB46_4 Depth=1
	s_wait_alu 0xfffe
	s_or_b32 exec_lo, exec_lo, s68
	v_add_co_u32 v2, vcc_lo, v2, v109
	s_wait_alu 0xfffd
	v_add_co_ci_u32_e64 v3, null, 0, v3, vcc_lo
	s_lshl_b64 s[68:69], s[50:51], 3
	s_wait_alu 0xfffe
	v_add_co_u32 v2, vcc_lo, v2, s68
	s_wait_alu 0xfffd
	v_add_co_ci_u32_e64 v3, null, s69, v3, vcc_lo
	s_delay_alu instid0(VALU_DEP_2) | instskip(SKIP_1) | instid1(VALU_DEP_2)
	v_add_co_u32 v2, vcc_lo, v2, 8
	s_wait_alu 0xfffd
	v_add_co_ci_u32_e64 v3, null, 0, v3, vcc_lo
	s_delay_alu instid0(VALU_DEP_2) | instskip(NEXT) | instid1(VALU_DEP_2)
	v_cndmask_b32_e64 v0, v2, v0, s2
	v_cndmask_b32_e64 v1, v3, v1, s2
.LBB46_27:                              ;   in Loop: Header=BB46_4 Depth=1
	s_mov_b32 s68, 0
	s_wait_dscnt 0x0
	s_barrier_signal -1
	s_barrier_wait -1
	global_inv scope:SCOPE_SE
	s_and_saveexec_b32 s69, s7
	s_wait_alu 0xfffe
	s_xor_b32 s69, exec_lo, s69
; %bb.28:                               ;   in Loop: Header=BB46_4 Depth=1
	s_and_b32 s68, s8, exec_lo
; %bb.29:                               ;   in Loop: Header=BB46_4 Depth=1
	s_wait_alu 0xfffe
	s_or_saveexec_b32 s69, s69
	v_dual_mov_b32 v2, 0 :: v_dual_mov_b32 v3, v87
	s_wait_alu 0xfffe
	s_xor_b32 exec_lo, exec_lo, s69
	s_cbranch_execz .LBB46_31
; %bb.30:                               ;   in Loop: Header=BB46_4 Depth=1
	ds_load_b64 v[4:5], v105
	v_mov_b32_e32 v3, v88
	s_or_b32 s68, s68, exec_lo
	s_wait_dscnt 0x0
	v_xor_b32_e32 v2, 0x80000000, v5
	ds_store_b32 v88, v4
.LBB46_31:                              ;   in Loop: Header=BB46_4 Depth=1
	s_or_b32 exec_lo, exec_lo, s69
	s_wait_alu 0xfffe
	s_and_saveexec_b32 s69, s68
; %bb.32:                               ;   in Loop: Header=BB46_4 Depth=1
	ds_store_b32 v3, v2 offset:4
; %bb.33:                               ;   in Loop: Header=BB46_4 Depth=1
	s_wait_alu 0xfffe
	s_or_b32 exec_lo, exec_lo, s69
	s_mov_b32 s68, 0
	s_and_saveexec_b32 s69, s9
	s_wait_alu 0xfffe
	s_xor_b32 s69, exec_lo, s69
; %bb.34:                               ;   in Loop: Header=BB46_4 Depth=1
	s_and_b32 s68, s10, exec_lo
; %bb.35:                               ;   in Loop: Header=BB46_4 Depth=1
	s_wait_alu 0xfffe
	s_or_saveexec_b32 s69, s69
	v_dual_mov_b32 v2, 0 :: v_dual_mov_b32 v3, v87
	s_wait_alu 0xfffe
	s_xor_b32 exec_lo, exec_lo, s69
	s_cbranch_execz .LBB46_37
; %bb.36:                               ;   in Loop: Header=BB46_4 Depth=1
	ds_load_b64 v[4:5], v106
	v_mov_b32_e32 v3, v89
	s_or_b32 s68, s68, exec_lo
	s_wait_dscnt 0x0
	v_xor_b32_e32 v2, 0x80000000, v5
	ds_store_b32 v89, v4
.LBB46_37:                              ;   in Loop: Header=BB46_4 Depth=1
	s_or_b32 exec_lo, exec_lo, s69
	s_wait_alu 0xfffe
	s_and_saveexec_b32 s69, s68
; %bb.38:                               ;   in Loop: Header=BB46_4 Depth=1
	ds_store_b32 v3, v2 offset:4
; %bb.39:                               ;   in Loop: Header=BB46_4 Depth=1
	s_wait_alu 0xfffe
	s_or_b32 exec_lo, exec_lo, s69
	s_mov_b32 s68, 0
	s_and_saveexec_b32 s69, s11
	s_wait_alu 0xfffe
	s_xor_b32 s69, exec_lo, s69
; %bb.40:                               ;   in Loop: Header=BB46_4 Depth=1
	s_and_b32 s68, s12, exec_lo
; %bb.41:                               ;   in Loop: Header=BB46_4 Depth=1
	s_wait_alu 0xfffe
	s_or_saveexec_b32 s69, s69
	v_dual_mov_b32 v2, 0 :: v_dual_mov_b32 v3, v87
	s_wait_alu 0xfffe
	s_xor_b32 exec_lo, exec_lo, s69
	s_cbranch_execz .LBB46_43
; %bb.42:                               ;   in Loop: Header=BB46_4 Depth=1
	ds_load_b64 v[4:5], v106 offset:264
	v_mov_b32_e32 v3, v90
	s_or_b32 s68, s68, exec_lo
	s_wait_dscnt 0x0
	v_xor_b32_e32 v2, 0x80000000, v5
	ds_store_b32 v90, v4
.LBB46_43:                              ;   in Loop: Header=BB46_4 Depth=1
	s_or_b32 exec_lo, exec_lo, s69
	s_wait_alu 0xfffe
	s_and_saveexec_b32 s69, s68
; %bb.44:                               ;   in Loop: Header=BB46_4 Depth=1
	ds_store_b32 v3, v2 offset:4
; %bb.45:                               ;   in Loop: Header=BB46_4 Depth=1
	s_wait_alu 0xfffe
	s_or_b32 exec_lo, exec_lo, s69
	s_mov_b32 s68, 0
	s_and_saveexec_b32 s69, s13
	s_wait_alu 0xfffe
	s_xor_b32 s69, exec_lo, s69
; %bb.46:                               ;   in Loop: Header=BB46_4 Depth=1
	s_and_b32 s68, s14, exec_lo
; %bb.47:                               ;   in Loop: Header=BB46_4 Depth=1
	s_wait_alu 0xfffe
	s_or_saveexec_b32 s69, s69
	v_dual_mov_b32 v2, 0 :: v_dual_mov_b32 v3, v87
	s_wait_alu 0xfffe
	s_xor_b32 exec_lo, exec_lo, s69
	s_cbranch_execz .LBB46_49
; %bb.48:                               ;   in Loop: Header=BB46_4 Depth=1
	ds_load_b64 v[4:5], v106 offset:528
	v_mov_b32_e32 v3, v92
	s_or_b32 s68, s68, exec_lo
	s_wait_dscnt 0x0
	v_xor_b32_e32 v2, 0x80000000, v5
	ds_store_b32 v92, v4
.LBB46_49:                              ;   in Loop: Header=BB46_4 Depth=1
	s_or_b32 exec_lo, exec_lo, s69
	s_wait_alu 0xfffe
	s_and_saveexec_b32 s69, s68
; %bb.50:                               ;   in Loop: Header=BB46_4 Depth=1
	ds_store_b32 v3, v2 offset:4
; %bb.51:                               ;   in Loop: Header=BB46_4 Depth=1
	s_wait_alu 0xfffe
	s_or_b32 exec_lo, exec_lo, s69
	s_wait_loadcnt_dscnt 0x0
	s_barrier_signal -1
	s_barrier_wait -1
	global_inv scope:SCOPE_SE
	ds_load_b64 v[14:15], v105
	ds_load_b128 v[2:5], v93
	ds_load_2addr_b64 v[6:9], v106 offset1:33
	ds_load_b128 v[10:13], v93 offset:16
	ds_load_b64 v[18:19], v106 offset:528
	s_wait_loadcnt_dscnt 0x0
	s_barrier_signal -1
	s_barrier_wait -1
	global_inv scope:SCOPE_SE
	v_dual_mov_b32 v49, 0 :: v_dual_mul_f32 v20, v3, v15
	v_dual_mul_f32 v15, v2, v15 :: v_dual_mul_f32 v22, v11, v9
	v_mul_f32_e32 v9, v10, v9
	s_delay_alu instid0(VALU_DEP_3) | instskip(SKIP_1) | instid1(VALU_DEP_4)
	v_fma_f32 v2, v2, v14, -v20
	v_mul_f32_e32 v21, v5, v7
	v_fmac_f32_e32 v15, v3, v14
	s_delay_alu instid0(VALU_DEP_4) | instskip(SKIP_3) | instid1(VALU_DEP_1)
	v_fmac_f32_e32 v9, v11, v8
	v_fma_f32 v10, v10, v8, -v22
	v_dual_add_f32 v2, 0, v2 :: v_dual_mul_f32 v7, v4, v7
	v_fma_f32 v4, v4, v6, -v21
	v_dual_add_f32 v2, v2, v4 :: v_dual_fmac_f32 v7, v5, v6
	v_mul_f32_e32 v6, v12, v19
	v_add_f32_e32 v5, 0, v15
	s_delay_alu instid0(VALU_DEP_3) | instskip(NEXT) | instid1(VALU_DEP_3)
	v_dual_mul_f32 v3, v13, v19 :: v_dual_add_f32 v2, v2, v10
	v_fmac_f32_e32 v6, v13, v18
	s_delay_alu instid0(VALU_DEP_3) | instskip(NEXT) | instid1(VALU_DEP_3)
	v_add_f32_e32 v4, v5, v7
	v_fma_f32 v3, v12, v18, -v3
	s_delay_alu instid0(VALU_DEP_2) | instskip(SKIP_1) | instid1(VALU_DEP_2)
	v_add_f32_e32 v4, v4, v9
	v_mov_b32_e32 v48, 0
	v_dual_add_f32 v2, v2, v3 :: v_dual_add_f32 v3, v4, v6
	ds_store_b64 v94, v[2:3]
	s_wait_loadcnt_dscnt 0x0
	s_barrier_signal -1
	s_barrier_wait -1
	global_inv scope:SCOPE_SE
	s_and_saveexec_b32 s68, s15
	s_cbranch_execz .LBB46_53
; %bb.52:                               ;   in Loop: Header=BB46_4 Depth=1
	ds_load_2addr_b64 v[2:5], v91 offset1:7
	ds_load_2addr_b64 v[6:9], v91 offset0:1 offset1:2
	ds_load_2addr_b64 v[10:13], v91 offset0:3 offset1:4
	;; [unrolled: 1-line block ×3, first 2 shown]
	s_wait_dscnt 0x2
	v_dual_add_f32 v2, v6, v2 :: v_dual_add_f32 v3, v7, v3
	s_delay_alu instid0(VALU_DEP_1) | instskip(SKIP_1) | instid1(VALU_DEP_1)
	v_dual_add_f32 v2, v8, v2 :: v_dual_add_f32 v3, v9, v3
	s_wait_dscnt 0x1
	v_dual_add_f32 v2, v2, v10 :: v_dual_add_f32 v3, v3, v11
	s_delay_alu instid0(VALU_DEP_1) | instskip(SKIP_1) | instid1(VALU_DEP_1)
	v_dual_add_f32 v2, v2, v12 :: v_dual_add_f32 v3, v3, v13
	s_wait_dscnt 0x0
	v_dual_add_f32 v2, v2, v18 :: v_dual_add_f32 v3, v3, v19
	s_delay_alu instid0(VALU_DEP_1) | instskip(NEXT) | instid1(VALU_DEP_1)
	v_dual_add_f32 v2, v2, v20 :: v_dual_add_f32 v3, v3, v21
	v_dual_add_f32 v48, v2, v4 :: v_dual_add_f32 v49, v3, v5
.LBB46_53:                              ;   in Loop: Header=BB46_4 Depth=1
	s_wait_alu 0xfffe
	s_or_b32 exec_lo, exec_lo, s68
	v_add_co_u32 v0, vcc_lo, v0, s60
	s_wait_alu 0xfffd
	v_add_co_ci_u32_e64 v1, null, s61, v1, vcc_lo
	s_and_not1_b32 vcc_lo, exec_lo, s72
	s_mov_b32 s68, -1
	s_wait_loadcnt 0x0
	s_barrier_signal -1
	s_barrier_wait -1
	global_inv scope:SCOPE_SE
	s_wait_alu 0xfffe
	s_cbranch_vccnz .LBB46_55
; %bb.54:                               ;   in Loop: Header=BB46_4 Depth=1
	s_lshl_b64 s[68:69], s[42:43], 3
	s_wait_alu 0xfffe
	v_add_co_u32 v2, vcc_lo, v0, s68
	s_wait_alu 0xfffd
	v_add_co_ci_u32_e64 v3, null, s69, v1, vcc_lo
	s_mov_b32 s68, 0
	v_add_co_u32 v4, vcc_lo, v2, s48
	s_wait_alu 0xfffd
	v_add_co_ci_u32_e64 v5, null, s49, v3, vcc_lo
	s_delay_alu instid0(VALU_DEP_2) | instskip(SKIP_1) | instid1(VALU_DEP_2)
	v_add_co_u32 v6, vcc_lo, v4, s48
	s_wait_alu 0xfffd
	v_add_co_ci_u32_e64 v7, null, s49, v5, vcc_lo
	s_clause 0x3
	flat_load_b64 v[8:9], v[0:1] offset:256
	flat_load_b64 v[2:3], v[2:3] offset:256
	;; [unrolled: 1-line block ×4, first 2 shown]
	s_wait_loadcnt_dscnt 0x303
	ds_store_b64 v104, v[8:9]
	s_wait_loadcnt_dscnt 0x203
	ds_store_b64 v104, v[2:3] offset:2112
	s_wait_loadcnt_dscnt 0x103
	ds_store_b64 v104, v[4:5] offset:4224
	;; [unrolled: 2-line block ×3, first 2 shown]
.LBB46_55:                              ;   in Loop: Header=BB46_4 Depth=1
	v_add_co_u32 v2, vcc_lo, 0x100, v0
	s_wait_alu 0xfffd
	v_add_co_ci_u32_e64 v3, null, 0, v1, vcc_lo
	s_wait_alu 0xfffe
	s_and_not1_b32 vcc_lo, exec_lo, s68
	s_wait_alu 0xfffe
	s_cbranch_vccnz .LBB46_67
; %bb.56:                               ;   in Loop: Header=BB46_4 Depth=1
	s_and_saveexec_b32 s68, s17
	s_wait_alu 0xfffe
	s_xor_b32 s68, exec_lo, s68
; %bb.57:                               ;   in Loop: Header=BB46_4 Depth=1
	v_mov_b32_e32 v32, v33
	ds_store_b64 v104, v[32:33]
; %bb.58:                               ;   in Loop: Header=BB46_4 Depth=1
	s_wait_alu 0xfffe
	s_or_saveexec_b32 s68, s68
	v_add_co_u32 v0, vcc_lo, v0, v38
	s_wait_alu 0xfffd
	v_add_co_ci_u32_e64 v1, null, v1, v39, vcc_lo
	s_lshl_b64 s[70:71], s[36:37], 3
	s_wait_alu 0xfffe
	v_add_co_u32 v0, vcc_lo, v0, s70
	s_wait_alu 0xfffd
	v_add_co_ci_u32_e64 v1, null, s71, v1, vcc_lo
	s_delay_alu instid0(VALU_DEP_2) | instskip(SKIP_1) | instid1(VALU_DEP_2)
	v_add_co_u32 v0, vcc_lo, v0, -8
	s_wait_alu 0xfffd
	v_add_co_ci_u32_e64 v1, null, -1, v1, vcc_lo
	s_delay_alu instid0(VALU_DEP_2) | instskip(NEXT) | instid1(VALU_DEP_2)
	v_cndmask_b32_e64 v0, v0, v2, s16
	v_cndmask_b32_e64 v1, v1, v3, s16
	s_xor_b32 exec_lo, exec_lo, s68
	s_cbranch_execnz .LBB46_126
; %bb.59:                               ;   in Loop: Header=BB46_4 Depth=1
	s_or_b32 exec_lo, exec_lo, s68
	s_and_saveexec_b32 s68, s18
	s_wait_alu 0xfffe
	s_xor_b32 s68, exec_lo, s68
	s_cbranch_execnz .LBB46_127
.LBB46_60:                              ;   in Loop: Header=BB46_4 Depth=1
	s_wait_alu 0xfffe
	s_and_not1_saveexec_b32 s68, s68
	s_cbranch_execnz .LBB46_128
.LBB46_61:                              ;   in Loop: Header=BB46_4 Depth=1
	s_wait_alu 0xfffe
	s_or_b32 exec_lo, exec_lo, s68
	s_and_saveexec_b32 s68, s19
	s_wait_alu 0xfffe
	s_xor_b32 s68, exec_lo, s68
	s_cbranch_execnz .LBB46_129
.LBB46_62:                              ;   in Loop: Header=BB46_4 Depth=1
	s_wait_alu 0xfffe
	s_and_not1_saveexec_b32 s68, s68
	s_cbranch_execnz .LBB46_130
.LBB46_63:                              ;   in Loop: Header=BB46_4 Depth=1
	s_wait_alu 0xfffe
	s_or_b32 exec_lo, exec_lo, s68
	s_and_saveexec_b32 s68, s20
	s_wait_alu 0xfffe
	s_xor_b32 s68, exec_lo, s68
	s_cbranch_execnz .LBB46_131
.LBB46_64:                              ;   in Loop: Header=BB46_4 Depth=1
	s_wait_alu 0xfffe
	s_and_not1_saveexec_b32 s68, s68
	s_cbranch_execz .LBB46_66
.LBB46_65:                              ;   in Loop: Header=BB46_4 Depth=1
	s_lshl_b64 s[70:71], s[46:47], 3
	s_wait_alu 0xfffe
	v_add_co_u32 v4, vcc_lo, v0, s70
	s_wait_alu 0xfffd
	v_add_co_ci_u32_e64 v5, null, s71, v1, vcc_lo
	flat_load_b64 v[4:5], v[4:5]
	s_wait_loadcnt_dscnt 0x0
	ds_store_b64 v104, v[4:5] offset:6336
.LBB46_66:                              ;   in Loop: Header=BB46_4 Depth=1
	s_wait_alu 0xfffe
	s_or_b32 exec_lo, exec_lo, s68
	v_add_co_u32 v0, vcc_lo, v0, v109
	s_wait_alu 0xfffd
	v_add_co_ci_u32_e64 v1, null, 0, v1, vcc_lo
	s_lshl_b64 s[68:69], s[50:51], 3
	s_wait_alu 0xfffe
	v_add_co_u32 v0, vcc_lo, v0, s68
	s_wait_alu 0xfffd
	v_add_co_ci_u32_e64 v1, null, s69, v1, vcc_lo
	s_delay_alu instid0(VALU_DEP_2) | instskip(SKIP_1) | instid1(VALU_DEP_2)
	v_add_co_u32 v0, vcc_lo, 0x108, v0
	s_wait_alu 0xfffd
	v_add_co_ci_u32_e64 v1, null, 0, v1, vcc_lo
	s_delay_alu instid0(VALU_DEP_2) | instskip(NEXT) | instid1(VALU_DEP_2)
	v_cndmask_b32_e64 v2, v0, v2, s16
	v_cndmask_b32_e64 v3, v1, v3, s16
.LBB46_67:                              ;   in Loop: Header=BB46_4 Depth=1
	s_mov_b32 s68, 0
	s_wait_loadcnt_dscnt 0x0
	s_barrier_signal -1
	s_barrier_wait -1
	global_inv scope:SCOPE_SE
	s_and_saveexec_b32 s69, s7
	s_wait_alu 0xfffe
	s_xor_b32 s69, exec_lo, s69
; %bb.68:                               ;   in Loop: Header=BB46_4 Depth=1
	s_and_b32 s68, s8, exec_lo
; %bb.69:                               ;   in Loop: Header=BB46_4 Depth=1
	s_wait_alu 0xfffe
	s_or_saveexec_b32 s69, s69
	v_dual_mov_b32 v0, 0 :: v_dual_mov_b32 v1, v87
	s_wait_alu 0xfffe
	s_xor_b32 exec_lo, exec_lo, s69
	s_cbranch_execz .LBB46_71
; %bb.70:                               ;   in Loop: Header=BB46_4 Depth=1
	ds_load_b64 v[4:5], v105
	v_mov_b32_e32 v1, v88
	s_or_b32 s68, s68, exec_lo
	s_wait_dscnt 0x0
	v_xor_b32_e32 v0, 0x80000000, v5
	ds_store_b32 v88, v4
.LBB46_71:                              ;   in Loop: Header=BB46_4 Depth=1
	s_or_b32 exec_lo, exec_lo, s69
	s_wait_alu 0xfffe
	s_and_saveexec_b32 s69, s68
; %bb.72:                               ;   in Loop: Header=BB46_4 Depth=1
	ds_store_b32 v1, v0 offset:4
; %bb.73:                               ;   in Loop: Header=BB46_4 Depth=1
	s_wait_alu 0xfffe
	s_or_b32 exec_lo, exec_lo, s69
	s_mov_b32 s68, 0
	s_and_saveexec_b32 s69, s9
	s_wait_alu 0xfffe
	s_xor_b32 s69, exec_lo, s69
; %bb.74:                               ;   in Loop: Header=BB46_4 Depth=1
	s_and_b32 s68, s10, exec_lo
; %bb.75:                               ;   in Loop: Header=BB46_4 Depth=1
	s_wait_alu 0xfffe
	s_or_saveexec_b32 s69, s69
	v_dual_mov_b32 v0, 0 :: v_dual_mov_b32 v1, v87
	s_wait_alu 0xfffe
	s_xor_b32 exec_lo, exec_lo, s69
	s_cbranch_execz .LBB46_77
; %bb.76:                               ;   in Loop: Header=BB46_4 Depth=1
	ds_load_b64 v[4:5], v106
	v_mov_b32_e32 v1, v89
	s_or_b32 s68, s68, exec_lo
	s_wait_dscnt 0x0
	v_xor_b32_e32 v0, 0x80000000, v5
	ds_store_b32 v89, v4
.LBB46_77:                              ;   in Loop: Header=BB46_4 Depth=1
	s_or_b32 exec_lo, exec_lo, s69
	s_wait_alu 0xfffe
	s_and_saveexec_b32 s69, s68
; %bb.78:                               ;   in Loop: Header=BB46_4 Depth=1
	ds_store_b32 v1, v0 offset:4
; %bb.79:                               ;   in Loop: Header=BB46_4 Depth=1
	s_wait_alu 0xfffe
	s_or_b32 exec_lo, exec_lo, s69
	s_mov_b32 s68, 0
	s_and_saveexec_b32 s69, s11
	s_wait_alu 0xfffe
	s_xor_b32 s69, exec_lo, s69
; %bb.80:                               ;   in Loop: Header=BB46_4 Depth=1
	s_and_b32 s68, s12, exec_lo
; %bb.81:                               ;   in Loop: Header=BB46_4 Depth=1
	s_wait_alu 0xfffe
	s_or_saveexec_b32 s69, s69
	v_dual_mov_b32 v0, 0 :: v_dual_mov_b32 v1, v87
	s_wait_alu 0xfffe
	s_xor_b32 exec_lo, exec_lo, s69
	s_cbranch_execz .LBB46_83
; %bb.82:                               ;   in Loop: Header=BB46_4 Depth=1
	ds_load_b64 v[4:5], v106 offset:264
	v_mov_b32_e32 v1, v90
	s_or_b32 s68, s68, exec_lo
	s_wait_dscnt 0x0
	v_xor_b32_e32 v0, 0x80000000, v5
	ds_store_b32 v90, v4
.LBB46_83:                              ;   in Loop: Header=BB46_4 Depth=1
	s_or_b32 exec_lo, exec_lo, s69
	s_wait_alu 0xfffe
	s_and_saveexec_b32 s69, s68
; %bb.84:                               ;   in Loop: Header=BB46_4 Depth=1
	ds_store_b32 v1, v0 offset:4
; %bb.85:                               ;   in Loop: Header=BB46_4 Depth=1
	s_wait_alu 0xfffe
	s_or_b32 exec_lo, exec_lo, s69
	s_mov_b32 s68, 0
	s_and_saveexec_b32 s69, s13
	s_wait_alu 0xfffe
	s_xor_b32 s69, exec_lo, s69
; %bb.86:                               ;   in Loop: Header=BB46_4 Depth=1
	s_and_b32 s68, s14, exec_lo
; %bb.87:                               ;   in Loop: Header=BB46_4 Depth=1
	s_wait_alu 0xfffe
	s_or_saveexec_b32 s69, s69
	v_dual_mov_b32 v0, 0 :: v_dual_mov_b32 v1, v87
	s_wait_alu 0xfffe
	s_xor_b32 exec_lo, exec_lo, s69
	s_cbranch_execz .LBB46_89
; %bb.88:                               ;   in Loop: Header=BB46_4 Depth=1
	ds_load_b64 v[4:5], v106 offset:528
	v_mov_b32_e32 v1, v92
	s_or_b32 s68, s68, exec_lo
	s_wait_dscnt 0x0
	v_xor_b32_e32 v0, 0x80000000, v5
	ds_store_b32 v92, v4
.LBB46_89:                              ;   in Loop: Header=BB46_4 Depth=1
	s_or_b32 exec_lo, exec_lo, s69
	s_wait_alu 0xfffe
	s_and_saveexec_b32 s69, s68
; %bb.90:                               ;   in Loop: Header=BB46_4 Depth=1
	ds_store_b32 v1, v0 offset:4
; %bb.91:                               ;   in Loop: Header=BB46_4 Depth=1
	s_wait_alu 0xfffe
	s_or_b32 exec_lo, exec_lo, s69
	s_wait_loadcnt_dscnt 0x0
	s_barrier_signal -1
	s_barrier_wait -1
	global_inv scope:SCOPE_SE
	ds_load_b64 v[0:1], v105
	ds_load_b128 v[4:7], v93 offset:256
	ds_load_2addr_b64 v[8:11], v106 offset1:33
	ds_load_b128 v[12:15], v93 offset:272
	ds_load_b64 v[18:19], v106 offset:528
	s_wait_loadcnt_dscnt 0x0
	s_barrier_signal -1
	s_barrier_wait -1
	global_inv scope:SCOPE_SE
	v_mul_f32_e32 v20, v5, v1
	v_dual_mul_f32 v1, v4, v1 :: v_dual_mul_f32 v22, v13, v11
	v_mul_f32_e32 v11, v12, v11
	s_delay_alu instid0(VALU_DEP_3) | instskip(SKIP_3) | instid1(VALU_DEP_4)
	v_fma_f32 v4, v4, v0, -v20
	v_mul_f32_e32 v21, v7, v9
	v_mul_f32_e32 v9, v6, v9
	v_dual_fmac_f32 v1, v5, v0 :: v_dual_mul_f32 v0, v15, v19
	v_add_f32_e32 v4, 0, v4
	s_delay_alu instid0(VALU_DEP_4) | instskip(NEXT) | instid1(VALU_DEP_4)
	v_fma_f32 v5, v6, v8, -v21
	v_dual_fmac_f32 v9, v7, v8 :: v_dual_mul_f32 v6, v14, v19
	s_delay_alu instid0(VALU_DEP_4) | instskip(SKIP_1) | instid1(VALU_DEP_4)
	v_add_f32_e32 v1, 0, v1
	v_fma_f32 v7, v12, v10, -v22
	v_dual_add_f32 v4, v4, v5 :: v_dual_fmac_f32 v11, v13, v10
	v_fma_f32 v0, v14, v18, -v0
	v_fmac_f32_e32 v6, v15, v18
	s_delay_alu instid0(VALU_DEP_3) | instskip(NEXT) | instid1(VALU_DEP_1)
	v_dual_add_f32 v4, v4, v7 :: v_dual_add_f32 v1, v1, v9
	v_dual_add_f32 v0, v4, v0 :: v_dual_add_f32 v1, v1, v11
	s_delay_alu instid0(VALU_DEP_1)
	v_add_f32_e32 v1, v1, v6
	ds_store_b64 v94, v[0:1]
	s_wait_loadcnt_dscnt 0x0
	s_barrier_signal -1
	s_barrier_wait -1
	global_inv scope:SCOPE_SE
	s_and_saveexec_b32 s68, s21
	s_cbranch_execz .LBB46_93
; %bb.92:                               ;   in Loop: Header=BB46_4 Depth=1
	ds_load_2addr_b64 v[4:7], v91 offset1:7
	ds_load_2addr_b64 v[8:11], v91 offset0:1 offset1:2
	ds_load_2addr_b64 v[12:15], v91 offset0:3 offset1:4
	;; [unrolled: 1-line block ×3, first 2 shown]
	s_wait_dscnt 0x2
	v_dual_add_f32 v0, v8, v4 :: v_dual_add_f32 v1, v9, v5
	s_delay_alu instid0(VALU_DEP_1) | instskip(SKIP_1) | instid1(VALU_DEP_1)
	v_dual_add_f32 v0, v10, v0 :: v_dual_add_f32 v1, v11, v1
	s_wait_dscnt 0x1
	v_dual_add_f32 v0, v0, v12 :: v_dual_add_f32 v1, v1, v13
	s_delay_alu instid0(VALU_DEP_1) | instskip(SKIP_1) | instid1(VALU_DEP_1)
	v_dual_add_f32 v0, v0, v14 :: v_dual_add_f32 v1, v1, v15
	s_wait_dscnt 0x0
	v_dual_add_f32 v0, v0, v18 :: v_dual_add_f32 v1, v1, v19
	s_delay_alu instid0(VALU_DEP_1) | instskip(NEXT) | instid1(VALU_DEP_1)
	v_dual_add_f32 v0, v0, v20 :: v_dual_add_f32 v1, v1, v21
	v_dual_add_f32 v48, v0, v6 :: v_dual_add_f32 v49, v1, v7
.LBB46_93:                              ;   in Loop: Header=BB46_4 Depth=1
	s_wait_alu 0xfffe
	s_or_b32 exec_lo, exec_lo, s68
	v_add_co_u32 v18, vcc_lo, v2, s62
	s_wait_alu 0xfffd
	v_add_co_ci_u32_e64 v19, null, s63, v3, vcc_lo
	s_and_not1_b32 vcc_lo, exec_lo, s72
	s_mov_b32 s68, -1
	s_wait_loadcnt 0x0
	s_barrier_signal -1
	s_barrier_wait -1
	global_inv scope:SCOPE_SE
	s_wait_alu 0xfffe
	s_cbranch_vccnz .LBB46_95
; %bb.94:                               ;   in Loop: Header=BB46_4 Depth=1
	s_lshl_b64 s[68:69], s[42:43], 3
	s_wait_alu 0xfffe
	v_add_co_u32 v0, vcc_lo, v18, s68
	s_wait_alu 0xfffd
	v_add_co_ci_u32_e64 v1, null, s69, v19, vcc_lo
	s_mov_b32 s68, 0
	v_add_co_u32 v2, vcc_lo, v0, s48
	s_wait_alu 0xfffd
	v_add_co_ci_u32_e64 v3, null, s49, v1, vcc_lo
	s_delay_alu instid0(VALU_DEP_2) | instskip(SKIP_1) | instid1(VALU_DEP_2)
	v_add_co_u32 v4, vcc_lo, v2, s48
	s_wait_alu 0xfffd
	v_add_co_ci_u32_e64 v5, null, s49, v3, vcc_lo
	s_clause 0x3
	flat_load_b64 v[6:7], v[18:19]
	flat_load_b64 v[0:1], v[0:1]
	;; [unrolled: 1-line block ×4, first 2 shown]
	s_wait_loadcnt_dscnt 0x303
	ds_store_b64 v104, v[6:7]
	s_wait_loadcnt_dscnt 0x203
	ds_store_b64 v104, v[0:1] offset:2112
	s_wait_loadcnt_dscnt 0x103
	ds_store_b64 v104, v[2:3] offset:4224
	;; [unrolled: 2-line block ×3, first 2 shown]
.LBB46_95:                              ;   in Loop: Header=BB46_4 Depth=1
	s_wait_alu 0xfffe
	s_and_not1_b32 vcc_lo, exec_lo, s68
	s_wait_alu 0xfffe
	s_cbranch_vccnz .LBB46_107
; %bb.96:                               ;   in Loop: Header=BB46_4 Depth=1
	s_and_saveexec_b32 s68, s3
	s_wait_alu 0xfffe
	s_xor_b32 s68, exec_lo, s68
; %bb.97:                               ;   in Loop: Header=BB46_4 Depth=1
	v_mov_b32_e32 v32, v33
	ds_store_b64 v104, v[32:33]
; %bb.98:                               ;   in Loop: Header=BB46_4 Depth=1
	s_wait_alu 0xfffe
	s_or_saveexec_b32 s68, s68
	v_add_co_u32 v0, vcc_lo, v18, v38
	s_wait_alu 0xfffd
	v_add_co_ci_u32_e64 v1, null, v19, v39, vcc_lo
	s_lshl_b64 s[70:71], s[36:37], 3
	s_wait_alu 0xfffe
	v_add_co_u32 v0, vcc_lo, v0, s70
	s_wait_alu 0xfffd
	v_add_co_ci_u32_e64 v1, null, s71, v1, vcc_lo
	s_delay_alu instid0(VALU_DEP_2) | instskip(SKIP_1) | instid1(VALU_DEP_2)
	v_add_co_u32 v0, vcc_lo, 0xfffffef8, v0
	s_wait_alu 0xfffd
	v_add_co_ci_u32_e64 v1, null, -1, v1, vcc_lo
	s_delay_alu instid0(VALU_DEP_2) | instskip(NEXT) | instid1(VALU_DEP_2)
	v_cndmask_b32_e64 v0, v0, v18, s16
	v_cndmask_b32_e64 v1, v1, v19, s16
	s_xor_b32 exec_lo, exec_lo, s68
	s_cbranch_execnz .LBB46_132
; %bb.99:                               ;   in Loop: Header=BB46_4 Depth=1
	s_or_b32 exec_lo, exec_lo, s68
	s_and_saveexec_b32 s68, s4
	s_wait_alu 0xfffe
	s_xor_b32 s68, exec_lo, s68
	s_cbranch_execnz .LBB46_133
.LBB46_100:                             ;   in Loop: Header=BB46_4 Depth=1
	s_wait_alu 0xfffe
	s_and_not1_saveexec_b32 s68, s68
	s_cbranch_execnz .LBB46_134
.LBB46_101:                             ;   in Loop: Header=BB46_4 Depth=1
	s_wait_alu 0xfffe
	s_or_b32 exec_lo, exec_lo, s68
	s_and_saveexec_b32 s68, s5
	s_wait_alu 0xfffe
	s_xor_b32 s68, exec_lo, s68
	s_cbranch_execnz .LBB46_135
.LBB46_102:                             ;   in Loop: Header=BB46_4 Depth=1
	s_wait_alu 0xfffe
	s_and_not1_saveexec_b32 s68, s68
	s_cbranch_execnz .LBB46_136
.LBB46_103:                             ;   in Loop: Header=BB46_4 Depth=1
	s_wait_alu 0xfffe
	s_or_b32 exec_lo, exec_lo, s68
	s_and_saveexec_b32 s68, s6
	s_wait_alu 0xfffe
	s_xor_b32 s68, exec_lo, s68
	s_cbranch_execnz .LBB46_137
.LBB46_104:                             ;   in Loop: Header=BB46_4 Depth=1
	s_wait_alu 0xfffe
	s_and_not1_saveexec_b32 s68, s68
	s_cbranch_execz .LBB46_106
.LBB46_105:                             ;   in Loop: Header=BB46_4 Depth=1
	s_lshl_b64 s[70:71], s[46:47], 3
	s_wait_alu 0xfffe
	v_add_co_u32 v2, vcc_lo, v0, s70
	s_wait_alu 0xfffd
	v_add_co_ci_u32_e64 v3, null, s71, v1, vcc_lo
	flat_load_b64 v[2:3], v[2:3]
	s_wait_loadcnt_dscnt 0x0
	ds_store_b64 v104, v[2:3] offset:6336
.LBB46_106:                             ;   in Loop: Header=BB46_4 Depth=1
	s_wait_alu 0xfffe
	s_or_b32 exec_lo, exec_lo, s68
	v_add_co_u32 v0, vcc_lo, v0, v109
	s_wait_alu 0xfffd
	v_add_co_ci_u32_e64 v1, null, 0, v1, vcc_lo
	s_lshl_b64 s[68:69], s[50:51], 3
	s_wait_alu 0xfffe
	v_add_co_u32 v0, vcc_lo, v0, s68
	s_wait_alu 0xfffd
	v_add_co_ci_u32_e64 v1, null, s69, v1, vcc_lo
	s_delay_alu instid0(VALU_DEP_2) | instskip(SKIP_1) | instid1(VALU_DEP_2)
	v_add_co_u32 v0, vcc_lo, 0x108, v0
	s_wait_alu 0xfffd
	v_add_co_ci_u32_e64 v1, null, 0, v1, vcc_lo
	s_delay_alu instid0(VALU_DEP_2) | instskip(NEXT) | instid1(VALU_DEP_2)
	v_cndmask_b32_e64 v18, v0, v18, s16
	v_cndmask_b32_e64 v19, v1, v19, s16
.LBB46_107:                             ;   in Loop: Header=BB46_4 Depth=1
	s_wait_loadcnt_dscnt 0x0
	s_barrier_signal -1
	s_barrier_wait -1
	global_inv scope:SCOPE_SE
	ds_load_b64 v[24:25], v107
	ds_load_b64 v[26:27], v104
	ds_load_b64 v[28:29], v104 offset:2112
	ds_load_2addr_b64 v[20:23], v103 offset0:8 offset1:16
	ds_load_b64 v[30:31], v104 offset:6336
	ds_load_b64 v[50:51], v104 offset:4224
	ds_load_b64 v[52:53], v103 offset:192
	ds_load_b128 v[8:11], v93 offset:256
	ds_load_b128 v[0:3], v93 offset:272
	ds_load_2addr_b64 v[12:15], v95 offset1:1
	ds_load_2addr_b64 v[4:7], v95 offset0:2 offset1:3
	s_wait_loadcnt_dscnt 0x0
	s_barrier_signal -1
	s_barrier_wait -1
	global_inv scope:SCOPE_SE
	v_mul_f32_e32 v32, v25, v27
	v_dual_mul_f32 v27, v24, v27 :: v_dual_mul_f32 v54, v21, v29
	v_mul_f32_e32 v29, v20, v29
	s_delay_alu instid0(VALU_DEP_3) | instskip(SKIP_1) | instid1(VALU_DEP_4)
	v_fma_f32 v24, v24, v26, -v32
	v_mul_f32_e32 v56, v53, v31
	v_dual_fmac_f32 v27, v25, v26 :: v_dual_mul_f32 v26, v52, v31
	v_fma_f32 v20, v20, v28, -v54
	v_fmac_f32_e32 v29, v21, v28
	v_add_f32_e32 v21, 0, v24
	v_mul_f32_e32 v55, v23, v51
	v_dual_mul_f32 v25, v22, v51 :: v_dual_fmac_f32 v26, v53, v30
	v_add_f32_e32 v24, 0, v27
	s_delay_alu instid0(VALU_DEP_4) | instskip(NEXT) | instid1(VALU_DEP_4)
	v_add_f32_e32 v20, v21, v20
	v_fma_f32 v22, v22, v50, -v55
	s_delay_alu instid0(VALU_DEP_3) | instskip(NEXT) | instid1(VALU_DEP_2)
	v_add_f32_e32 v21, v24, v29
	v_add_f32_e32 v20, v20, v22
	v_fmac_f32_e32 v25, v23, v50
	v_fma_f32 v23, v52, v30, -v56
	s_delay_alu instid0(VALU_DEP_1) | instskip(NEXT) | instid1(VALU_DEP_1)
	v_dual_add_f32 v20, v20, v23 :: v_dual_add_f32 v21, v21, v25
	v_add_f32_e32 v21, v21, v26
	ds_store_b64 v94, v[20:21]
	s_wait_loadcnt_dscnt 0x0
	s_barrier_signal -1
	s_barrier_wait -1
	global_inv scope:SCOPE_SE
	s_and_saveexec_b32 s68, s21
	s_cbranch_execz .LBB46_109
; %bb.108:                              ;   in Loop: Header=BB46_4 Depth=1
	ds_load_2addr_b64 v[20:23], v91 offset1:1
	ds_load_2addr_b64 v[24:27], v91 offset0:2 offset1:3
	ds_load_2addr_b64 v[28:31], v91 offset0:4 offset1:5
	s_wait_dscnt 0x2
	v_dual_add_f32 v20, v48, v20 :: v_dual_add_f32 v21, v49, v21
	s_delay_alu instid0(VALU_DEP_1) | instskip(SKIP_1) | instid1(VALU_DEP_1)
	v_add_f32_e32 v48, v21, v23
	s_wait_dscnt 0x1
	v_add_f32_e32 v25, v48, v25
	s_delay_alu instid0(VALU_DEP_3) | instskip(SKIP_3) | instid1(VALU_DEP_1)
	v_add_f32_e32 v32, v20, v22
	ds_load_2addr_b64 v[20:23], v91 offset0:6 offset1:7
	v_dual_add_f32 v25, v25, v27 :: v_dual_add_f32 v24, v32, v24
	s_wait_dscnt 0x1
	v_dual_add_f32 v25, v25, v29 :: v_dual_add_f32 v24, v24, v26
	s_delay_alu instid0(VALU_DEP_1) | instskip(SKIP_1) | instid1(VALU_DEP_1)
	v_dual_add_f32 v25, v25, v31 :: v_dual_add_f32 v24, v24, v28
	s_wait_dscnt 0x0
	v_dual_add_f32 v21, v25, v21 :: v_dual_add_f32 v24, v24, v30
	s_delay_alu instid0(VALU_DEP_1) | instskip(NEXT) | instid1(VALU_DEP_1)
	v_dual_add_f32 v49, v21, v23 :: v_dual_add_f32 v20, v24, v20
	v_add_f32_e32 v48, v20, v22
.LBB46_109:                             ;   in Loop: Header=BB46_4 Depth=1
	s_wait_alu 0xfffe
	s_or_b32 exec_lo, exec_lo, s68
	v_dual_mul_f32 v20, v13, v9 :: v_dual_mul_f32 v21, v15, v11
	v_dual_mul_f32 v15, v15, v10 :: v_dual_mul_f32 v22, v5, v1
	s_wait_loadcnt 0x0
	s_delay_alu instid0(VALU_DEP_2) | instskip(NEXT) | instid1(VALU_DEP_2)
	v_dual_fmac_f32 v20, v12, v8 :: v_dual_fmac_f32 v21, v14, v10
	v_fma_f32 v11, v14, v11, -v15
	v_mul_f32_e32 v5, v5, v0
	v_fmac_f32_e32 v22, v4, v0
	s_delay_alu instid0(VALU_DEP_4)
	v_add_f32_e32 v10, 0, v20
	v_mul_f32_e32 v13, v13, v8
	s_barrier_signal -1
	v_fma_f32 v1, v4, v1, -v5
	s_barrier_wait -1
	v_add_f32_e32 v0, v10, v21
	v_fma_f32 v8, v12, v9, -v13
	v_mul_f32_e32 v9, v7, v3
	global_inv scope:SCOPE_SE
	v_dual_mul_f32 v7, v7, v2 :: v_dual_add_f32 v8, 0, v8
	v_fmac_f32_e32 v9, v6, v2
	v_add_f32_e32 v0, v0, v22
	s_delay_alu instid0(VALU_DEP_3) | instskip(NEXT) | instid1(VALU_DEP_4)
	v_fma_f32 v2, v6, v3, -v7
	v_add_f32_e32 v4, v8, v11
	s_delay_alu instid0(VALU_DEP_1) | instskip(NEXT) | instid1(VALU_DEP_1)
	v_add_f32_e32 v1, v4, v1
	v_dual_add_f32 v0, v0, v9 :: v_dual_add_f32 v1, v1, v2
	ds_store_b64 v94, v[0:1]
	s_wait_loadcnt_dscnt 0x0
	s_barrier_signal -1
	s_barrier_wait -1
	global_inv scope:SCOPE_SE
	s_and_saveexec_b32 s68, s15
	s_cbranch_execz .LBB46_111
; %bb.110:                              ;   in Loop: Header=BB46_4 Depth=1
	ds_load_2addr_b64 v[0:3], v91 offset1:1
	ds_load_2addr_b64 v[4:7], v91 offset0:2 offset1:3
	ds_load_2addr_b64 v[8:11], v91 offset0:4 offset1:5
	s_wait_dscnt 0x2
	v_dual_add_f32 v0, v48, v0 :: v_dual_add_f32 v1, v49, v1
	s_delay_alu instid0(VALU_DEP_1) | instskip(SKIP_3) | instid1(VALU_DEP_1)
	v_dual_add_f32 v12, v0, v2 :: v_dual_add_f32 v13, v1, v3
	ds_load_2addr_b64 v[0:3], v91 offset0:6 offset1:7
	s_wait_dscnt 0x2
	v_dual_add_f32 v4, v12, v4 :: v_dual_add_f32 v5, v13, v5
	v_dual_add_f32 v4, v4, v6 :: v_dual_add_f32 v5, v5, v7
	s_wait_dscnt 0x1
	s_delay_alu instid0(VALU_DEP_1) | instskip(NEXT) | instid1(VALU_DEP_1)
	v_dual_add_f32 v4, v4, v8 :: v_dual_add_f32 v5, v5, v9
	v_dual_add_f32 v4, v4, v10 :: v_dual_add_f32 v5, v5, v11
	s_wait_dscnt 0x0
	s_delay_alu instid0(VALU_DEP_1) | instskip(NEXT) | instid1(VALU_DEP_1)
	v_dual_add_f32 v0, v4, v0 :: v_dual_add_f32 v1, v5, v1
	v_dual_add_f32 v48, v0, v2 :: v_dual_add_f32 v49, v1, v3
.LBB46_111:                             ;   in Loop: Header=BB46_4 Depth=1
	s_wait_alu 0xfffe
	s_or_b32 exec_lo, exec_lo, s68
	s_mul_u64 s[68:69], s[38:39], s[34:35]
	s_and_not1_b32 vcc_lo, exec_lo, s73
	s_wait_alu 0xfffe
	s_lshl_b64 s[68:69], s[68:69], 3
	s_wait_loadcnt 0x0
	s_wait_alu 0xfffe
	s_add_nc_u64 s[68:69], s[40:41], s[68:69]
	s_barrier_signal -1
	s_barrier_wait -1
	global_inv scope:SCOPE_SE
	s_cbranch_vccnz .LBB46_118
; %bb.112:                              ;   in Loop: Header=BB46_4 Depth=1
	v_add_co_u32 v0, vcc_lo, v18, s66
	s_wait_alu 0xfffd
	v_add_co_ci_u32_e64 v1, null, s67, v19, vcc_lo
	s_lshl_b64 s[70:71], s[36:37], 3
	v_add_co_u32 v0, vcc_lo, v0, v40
	s_wait_alu 0xfffd
	v_add_co_ci_u32_e64 v1, null, v1, v41, vcc_lo
	v_mov_b32_e32 v32, v84
	s_delay_alu instid0(VALU_DEP_3) | instskip(SKIP_1) | instid1(VALU_DEP_3)
	v_add_co_u32 v0, vcc_lo, v0, v42
	s_wait_alu 0xfffd
	v_add_co_ci_u32_e64 v1, null, v1, v43, vcc_lo
	s_mov_b32 s77, ttmp9
	v_add_co_u32 v2, vcc_lo, v0, v44
	s_wait_alu 0xfffd
	v_add_co_ci_u32_e64 v3, null, v1, v45, vcc_lo
	s_wait_alu 0xfffe
	s_delay_alu instid0(VALU_DEP_2) | instskip(SKIP_1) | instid1(VALU_DEP_2)
	v_add_co_u32 v2, vcc_lo, v2, s70
	s_wait_alu 0xfffd
	v_add_co_ci_u32_e64 v3, null, s71, v3, vcc_lo
	v_add_co_u32 v0, vcc_lo, 0xffffff00, v0
	s_wait_alu 0xfffd
	v_add_co_ci_u32_e64 v1, null, -1, v1, vcc_lo
	v_add_co_u32 v2, vcc_lo, 0xfffffef8, v2
	s_wait_alu 0xfffd
	v_add_co_ci_u32_e64 v3, null, -1, v3, vcc_lo
	v_add_co_u32 v110, vcc_lo, v16, s64
	s_wait_alu 0xfffd
	v_add_co_ci_u32_e64 v111, null, s65, v17, vcc_lo
	s_delay_alu instid0(VALU_DEP_3)
	v_cndmask_b32_e64 v1, v1, v3, s1
	v_cndmask_b32_e64 v0, v0, v2, s1
	s_mov_b32 s70, 0
	s_branch .LBB46_114
.LBB46_113:                             ;   in Loop: Header=BB46_114 Depth=2
	s_wait_alu 0xfffe
	s_or_b32 exec_lo, exec_lo, s71
	v_mul_f32_e32 v112, v51, v1
	v_mul_f32_e32 v1, v50, v1
	v_dual_mul_f32 v113, v55, v3 :: v_dual_mul_f32 v114, v57, v5
	v_mul_f32_e32 v3, v54, v3
	s_delay_alu instid0(VALU_DEP_4) | instskip(SKIP_1) | instid1(VALU_DEP_4)
	v_fma_f32 v50, v50, v0, -v112
	v_mul_f32_e32 v112, v53, v7
	v_fma_f32 v54, v54, v2, -v113
	v_mul_f32_e32 v7, v52, v7
	v_mul_f32_e32 v5, v56, v5
	v_dual_add_f32 v48, v48, v50 :: v_dual_fmac_f32 v1, v51, v0
	v_fma_f32 v0, v56, v4, -v114
	v_mul_f32_e32 v50, v65, v13
	v_mul_f32_e32 v13, v64, v13
	s_delay_alu instid0(VALU_DEP_4) | instskip(SKIP_2) | instid1(VALU_DEP_3)
	v_dual_add_f32 v48, v48, v54 :: v_dual_mul_f32 v51, v63, v15
	v_fmac_f32_e32 v3, v55, v2
	v_fma_f32 v2, v52, v6, -v112
	v_dual_mul_f32 v15, v62, v15 :: v_dual_add_f32 v0, v48, v0
	v_add_f32_e32 v1, v49, v1
	v_fmac_f32_e32 v7, v53, v6
	s_add_co_i32 s77, s77, -1
	s_add_co_i32 s70, s70, s74
	s_delay_alu instid0(VALU_DEP_2) | instskip(SKIP_4) | instid1(VALU_DEP_4)
	v_dual_add_f32 v0, v0, v2 :: v_dual_add_f32 v1, v1, v3
	v_fma_f32 v3, v64, v12, -v50
	v_fmac_f32_e32 v5, v57, v4
	v_mul_f32_e32 v2, v61, v9
	v_fma_f32 v4, v62, v14, -v51
	v_dual_fmac_f32 v15, v63, v14 :: v_dual_add_f32 v0, v0, v3
	v_mul_f32_e32 v3, v59, v11
	s_delay_alu instid0(VALU_DEP_4)
	v_fma_f32 v2, v60, v8, -v2
	s_cmp_eq_u32 s77, 0
	s_wait_loadcnt 0x0
	s_wait_storecnt 0x0
	v_dual_add_f32 v0, v0, v4 :: v_dual_add_f32 v1, v1, v5
	v_mul_f32_e32 v4, v60, v9
	s_barrier_signal -1
	s_barrier_wait -1
	s_delay_alu instid0(VALU_DEP_2)
	v_add_f32_e32 v0, v0, v2
	v_mul_f32_e32 v2, v73, v17
	v_fma_f32 v3, v58, v10, -v3
	v_fmac_f32_e32 v13, v65, v12
	v_add_f32_e32 v1, v1, v7
	v_fmac_f32_e32 v4, v61, v8
	v_fma_f32 v2, v72, v16, -v2
	v_add_f32_e32 v0, v0, v3
	v_mul_f32_e32 v3, v71, v19
	v_add_f32_e32 v1, v1, v13
	global_inv scope:SCOPE_SE
	v_mul_f32_e32 v6, v76, v31
	v_add_f32_e32 v0, v0, v2
	v_fma_f32 v2, v70, v18, -v3
	v_mul_f32_e32 v3, v69, v21
	v_add_f32_e32 v1, v1, v15
	v_fmac_f32_e32 v6, v77, v30
	v_add_nc_u32_e32 v32, 64, v32
	v_add_f32_e32 v0, v0, v2
	v_fma_f32 v2, v68, v20, -v3
	v_mul_f32_e32 v5, v58, v11
	s_delay_alu instid0(VALU_DEP_2) | instskip(NEXT) | instid1(VALU_DEP_2)
	v_dual_mul_f32 v3, v67, v23 :: v_dual_add_f32 v0, v0, v2
	v_fmac_f32_e32 v5, v59, v10
	s_delay_alu instid0(VALU_DEP_2) | instskip(SKIP_1) | instid1(VALU_DEP_2)
	v_fma_f32 v2, v66, v22, -v3
	v_dual_add_f32 v1, v1, v4 :: v_dual_mul_f32 v4, v72, v17
	v_dual_mul_f32 v3, v83, v25 :: v_dual_add_f32 v0, v0, v2
	s_delay_alu instid0(VALU_DEP_2) | instskip(NEXT) | instid1(VALU_DEP_3)
	v_add_f32_e32 v1, v1, v5
	v_fmac_f32_e32 v4, v73, v16
	s_delay_alu instid0(VALU_DEP_3) | instskip(SKIP_1) | instid1(VALU_DEP_2)
	v_fma_f32 v2, v82, v24, -v3
	v_mul_f32_e32 v3, v81, v27
	v_dual_add_f32 v1, v1, v4 :: v_dual_add_f32 v0, v0, v2
	s_delay_alu instid0(VALU_DEP_2) | instskip(SKIP_2) | instid1(VALU_DEP_3)
	v_fma_f32 v2, v80, v26, -v3
	v_dual_mul_f32 v5, v70, v19 :: v_dual_mul_f32 v4, v68, v21
	v_mul_f32_e32 v3, v80, v27
	v_add_f32_e32 v0, v0, v2
	s_delay_alu instid0(VALU_DEP_3) | instskip(NEXT) | instid1(VALU_DEP_3)
	v_dual_fmac_f32 v5, v71, v18 :: v_dual_fmac_f32 v4, v69, v20
	v_dual_mul_f32 v2, v78, v29 :: v_dual_fmac_f32 v3, v81, v26
	s_delay_alu instid0(VALU_DEP_2) | instskip(NEXT) | instid1(VALU_DEP_2)
	v_add_f32_e32 v1, v1, v5
	v_dual_mul_f32 v5, v66, v23 :: v_dual_fmac_f32 v2, v79, v28
	s_delay_alu instid0(VALU_DEP_2) | instskip(NEXT) | instid1(VALU_DEP_2)
	v_add_f32_e32 v1, v1, v4
	v_dual_fmac_f32 v5, v67, v22 :: v_dual_mul_f32 v4, v82, v25
	s_delay_alu instid0(VALU_DEP_1) | instskip(SKIP_1) | instid1(VALU_DEP_2)
	v_dual_add_f32 v1, v1, v5 :: v_dual_fmac_f32 v4, v83, v24
	v_mul_f32_e32 v5, v79, v29
	v_add_f32_e32 v1, v1, v4
	s_delay_alu instid0(VALU_DEP_2) | instskip(SKIP_1) | instid1(VALU_DEP_2)
	v_fma_f32 v4, v78, v28, -v5
	v_mul_f32_e32 v5, v77, v31
	v_dual_add_f32 v1, v1, v3 :: v_dual_add_f32 v0, v0, v4
	s_delay_alu instid0(VALU_DEP_2) | instskip(NEXT) | instid1(VALU_DEP_1)
	v_fma_f32 v3, v76, v30, -v5
	v_dual_add_f32 v1, v1, v2 :: v_dual_add_f32 v48, v0, v3
	v_add_co_u32 v0, vcc_lo, v74, s54
	s_delay_alu instid0(VALU_DEP_2)
	v_add_f32_e32 v49, v1, v6
	s_wait_alu 0xfffd
	v_add_co_ci_u32_e64 v1, null, s55, v75, vcc_lo
	s_cbranch_scc1 .LBB46_118
.LBB46_114:                             ;   Parent Loop BB46_4 Depth=1
                                        ; =>  This Inner Loop Header: Depth=2
	s_and_saveexec_b32 s78, s0
	s_cbranch_execz .LBB46_116
; %bb.115:                              ;   in Loop: Header=BB46_114 Depth=2
	s_wait_alu 0xfffe
	s_ashr_i32 s71, s70, 31
	s_wait_alu 0xfffe
	s_lshl_b64 s[80:81], s[70:71], 3
	s_wait_alu 0xfffe
	v_add_co_u32 v2, vcc_lo, v110, s80
	s_wait_alu 0xfffd
	v_add_co_ci_u32_e64 v3, null, s81, v111, vcc_lo
	flat_load_b64 v[2:3], v[2:3]
	s_wait_loadcnt_dscnt 0x0
	ds_store_b64 v96, v[2:3]
.LBB46_116:                             ;   in Loop: Header=BB46_114 Depth=2
	s_or_b32 exec_lo, exec_lo, s78
	v_add_co_u32 v2, vcc_lo, v0, s52
	s_wait_alu 0xfffd
	v_add_co_ci_u32_e64 v3, null, s53, v1, vcc_lo
	s_wait_loadcnt_dscnt 0x0
	s_barrier_signal -1
	s_barrier_wait -1
	global_inv scope:SCOPE_SE
	s_clause 0x1
	flat_load_b64 v[50:51], v[0:1]
	flat_load_b64 v[54:55], v[2:3]
	v_add_co_u32 v0, vcc_lo, v2, s52
	s_wait_alu 0xfffd
	v_add_co_ci_u32_e64 v1, null, s53, v3, vcc_lo
	s_delay_alu instid0(VALU_DEP_2) | instskip(SKIP_1) | instid1(VALU_DEP_2)
	v_add_co_u32 v8, vcc_lo, v0, s52
	s_wait_alu 0xfffd
	v_add_co_ci_u32_e64 v9, null, s53, v1, vcc_lo
	s_clause 0x1
	flat_load_b64 v[56:57], v[0:1]
	flat_load_b64 v[52:53], v[8:9]
	ds_load_b64 v[10:11], v86
	ds_load_b128 v[0:3], v97
	ds_load_b128 v[4:7], v97 offset:16
	v_add_co_u32 v8, vcc_lo, v8, s54
	s_wait_alu 0xfffd
	v_add_co_ci_u32_e64 v9, null, s55, v9, vcc_lo
	s_delay_alu instid0(VALU_DEP_2) | instskip(SKIP_1) | instid1(VALU_DEP_2)
	v_add_co_u32 v16, vcc_lo, v8, s52
	s_wait_alu 0xfffd
	v_add_co_ci_u32_e64 v17, null, s53, v9, vcc_lo
	s_wait_loadcnt_dscnt 0x302
	v_mul_f32_e32 v12, v51, v11
	v_mul_f32_e32 v13, v51, v10
	s_wait_loadcnt 0x2
	v_mul_f32_e32 v14, v55, v11
	s_wait_loadcnt 0x1
	v_dual_mul_f32 v15, v55, v10 :: v_dual_mul_f32 v18, v57, v11
	v_mul_f32_e32 v19, v57, v10
	s_wait_loadcnt 0x0
	v_mul_f32_e32 v20, v53, v11
	v_mul_f32_e32 v21, v53, v10
	v_fmac_f32_e32 v12, v50, v10
	v_fma_f32 v13, v50, v11, -v13
	v_fmac_f32_e32 v14, v54, v10
	v_fma_f32 v15, v54, v11, -v15
	;; [unrolled: 2-line block ×4, first 2 shown]
	v_add_co_u32 v10, vcc_lo, v16, s52
	s_wait_alu 0xfffd
	v_add_co_ci_u32_e64 v11, null, s53, v17, vcc_lo
	ds_store_2addr_b64 v98, v[12:13], v[14:15] offset1:67
	ds_store_2addr_b64 v98, v[18:19], v[20:21] offset0:134 offset1:201
	s_wait_dscnt 0x0
	s_barrier_signal -1
	s_barrier_wait -1
	global_inv scope:SCOPE_SE
	ds_load_2addr_b64 v[112:115], v99 offset1:1
	ds_load_2addr_b64 v[116:119], v99 offset0:2 offset1:3
	s_wait_loadcnt_dscnt 0x0
	s_barrier_signal -1
	s_barrier_wait -1
	global_inv scope:SCOPE_SE
	flat_load_b64 v[64:65], v[8:9]
	v_add_co_u32 v8, vcc_lo, v10, s52
	s_wait_alu 0xfffd
	v_add_co_ci_u32_e64 v9, null, s53, v11, vcc_lo
	s_clause 0x2
	flat_load_b64 v[62:63], v[16:17]
	flat_load_b64 v[60:61], v[10:11]
	;; [unrolled: 1-line block ×3, first 2 shown]
	ds_load_b64 v[10:11], v86
	ds_load_b128 v[12:15], v97 offset:128
	v_add_co_u32 v16, vcc_lo, v8, s54
	s_wait_alu 0xfffd
	v_add_co_ci_u32_e64 v17, null, s55, v9, vcc_lo
	s_delay_alu instid0(VALU_DEP_2) | instskip(SKIP_1) | instid1(VALU_DEP_2)
	v_add_co_u32 v18, vcc_lo, v16, s52
	s_wait_alu 0xfffd
	v_add_co_ci_u32_e64 v19, null, s53, v17, vcc_lo
	v_add_f32_e32 v112, 0, v112
	s_delay_alu instid0(VALU_DEP_3) | instskip(SKIP_1) | instid1(VALU_DEP_3)
	v_add_co_u32 v28, vcc_lo, v18, s52
	s_wait_alu 0xfffd
	v_add_co_ci_u32_e64 v29, null, s53, v19, vcc_lo
	s_delay_alu instid0(VALU_DEP_3) | instskip(NEXT) | instid1(VALU_DEP_1)
	v_dual_add_f32 v112, v112, v114 :: v_dual_add_f32 v113, 0, v113
	v_dual_add_f32 v116, v112, v116 :: v_dual_add_f32 v113, v113, v115
	s_delay_alu instid0(VALU_DEP_1) | instskip(NEXT) | instid1(VALU_DEP_1)
	v_dual_add_f32 v116, v116, v118 :: v_dual_add_f32 v117, v113, v117
	v_add_f32_e32 v117, v117, v119
	s_wait_loadcnt_dscnt 0x301
	v_mul_f32_e32 v20, v65, v11
	v_mul_f32_e32 v8, v65, v10
	s_wait_loadcnt 0x1
	v_dual_mul_f32 v22, v63, v11 :: v_dual_mul_f32 v25, v61, v10
	v_mul_f32_e32 v9, v63, v10
	v_fmac_f32_e32 v20, v64, v10
	s_wait_loadcnt 0x0
	v_dual_mul_f32 v24, v61, v11 :: v_dual_mul_f32 v27, v59, v10
	v_mul_f32_e32 v26, v59, v11
	v_fma_f32 v21, v64, v11, -v8
	v_fmac_f32_e32 v22, v62, v10
	v_fma_f32 v23, v62, v11, -v9
	v_fmac_f32_e32 v24, v60, v10
	;; [unrolled: 2-line block ×3, first 2 shown]
	v_fma_f32 v27, v58, v11, -v27
	ds_load_b128 v[8:11], v97 offset:144
	ds_store_2addr_b64 v98, v[20:21], v[22:23] offset1:67
	ds_store_2addr_b64 v98, v[24:25], v[26:27] offset0:134 offset1:201
	s_wait_dscnt 0x0
	s_barrier_signal -1
	s_barrier_wait -1
	global_inv scope:SCOPE_SE
	ds_load_2addr_b64 v[120:123], v99 offset1:1
	ds_load_2addr_b64 v[124:127], v99 offset0:2 offset1:3
	s_wait_loadcnt_dscnt 0x0
	s_barrier_signal -1
	s_barrier_wait -1
	global_inv scope:SCOPE_SE
	flat_load_b64 v[72:73], v[16:17]
	v_add_co_u32 v16, vcc_lo, v28, s52
	s_wait_alu 0xfffd
	v_add_co_ci_u32_e64 v17, null, s53, v29, vcc_lo
	s_clause 0x1
	flat_load_b64 v[70:71], v[18:19]
	flat_load_b64 v[68:69], v[28:29]
	;; [unrolled: 1-line block ×3, first 2 shown]
	ds_load_b64 v[20:21], v86
	v_add_co_u32 v24, vcc_lo, v16, s54
	s_wait_alu 0xfffd
	v_add_co_ci_u32_e64 v25, null, s55, v17, vcc_lo
	ds_load_b128 v[16:19], v97 offset:256
	v_add_co_u32 v26, vcc_lo, v24, s52
	v_dual_add_f32 v120, 0, v120 :: v_dual_add_f32 v121, 0, v121
	s_wait_alu 0xfffd
	v_add_co_ci_u32_e64 v27, null, s53, v25, vcc_lo
	s_delay_alu instid0(VALU_DEP_3) | instskip(NEXT) | instid1(VALU_DEP_3)
	v_add_co_u32 v78, vcc_lo, v26, s52
	v_add_f32_e32 v120, v120, v122
	v_add_f32_e32 v118, v121, v123
	s_wait_alu 0xfffd
	v_add_co_ci_u32_e64 v79, null, s53, v27, vcc_lo
	s_delay_alu instid0(VALU_DEP_2) | instskip(NEXT) | instid1(VALU_DEP_1)
	v_dual_add_f32 v119, v120, v124 :: v_dual_add_f32 v122, v118, v125
	v_dual_add_f32 v118, v119, v126 :: v_dual_add_f32 v119, v122, v127
	s_wait_loadcnt_dscnt 0x301
	v_mul_f32_e32 v28, v73, v21
	v_mul_f32_e32 v22, v73, v20
	s_wait_loadcnt 0x2
	v_mul_f32_e32 v30, v71, v21
	s_wait_loadcnt 0x1
	v_dual_mul_f32 v23, v71, v20 :: v_dual_mul_f32 v74, v69, v21
	s_wait_loadcnt 0x0
	v_dual_mul_f32 v75, v69, v20 :: v_dual_mul_f32 v76, v67, v21
	v_mul_f32_e32 v77, v67, v20
	v_fmac_f32_e32 v28, v72, v20
	v_fma_f32 v29, v72, v21, -v22
	v_fmac_f32_e32 v30, v70, v20
	v_fma_f32 v31, v70, v21, -v23
	;; [unrolled: 2-line block ×4, first 2 shown]
	ds_load_b128 v[20:23], v97 offset:272
	ds_store_2addr_b64 v98, v[28:29], v[30:31] offset1:67
	ds_store_2addr_b64 v98, v[74:75], v[76:77] offset0:134 offset1:201
	v_add_co_u32 v74, vcc_lo, v78, s52
	s_wait_alu 0xfffd
	v_add_co_ci_u32_e64 v75, null, s53, v79, vcc_lo
	s_wait_dscnt 0x0
	s_barrier_signal -1
	s_barrier_wait -1
	global_inv scope:SCOPE_SE
	ds_load_2addr_b64 v[128:131], v99 offset1:1
	ds_load_2addr_b64 v[132:135], v99 offset0:2 offset1:3
	s_wait_loadcnt_dscnt 0x0
	s_barrier_signal -1
	s_barrier_wait -1
	global_inv scope:SCOPE_SE
	flat_load_b64 v[82:83], v[24:25]
	flat_load_b64 v[80:81], v[26:27]
	;; [unrolled: 1-line block ×4, first 2 shown]
	ds_load_b64 v[28:29], v86
	ds_load_b128 v[24:27], v97 offset:384
	v_dual_add_f32 v121, 0, v129 :: v_dual_add_f32 v120, 0, v128
	s_delay_alu instid0(VALU_DEP_1) | instskip(NEXT) | instid1(VALU_DEP_1)
	v_dual_add_f32 v121, v121, v131 :: v_dual_add_f32 v120, v120, v130
	v_dual_add_f32 v121, v121, v133 :: v_dual_add_f32 v120, v120, v132
	s_wait_loadcnt_dscnt 0x201
	v_dual_mul_f32 v31, v81, v28 :: v_dual_mul_f32 v136, v83, v29
	v_mul_f32_e32 v30, v83, v28
	s_wait_loadcnt 0x1
	v_dual_mul_f32 v138, v81, v29 :: v_dual_mul_f32 v141, v79, v28
	v_mul_f32_e32 v140, v79, v29
	s_wait_loadcnt 0x0
	v_mul_f32_e32 v142, v77, v29
	v_mul_f32_e32 v143, v77, v28
	v_fma_f32 v137, v82, v29, -v30
	v_fma_f32 v139, v80, v29, -v31
	v_fmac_f32_e32 v136, v82, v28
	v_fmac_f32_e32 v138, v80, v28
	v_fma_f32 v141, v78, v29, -v141
	v_fmac_f32_e32 v140, v78, v28
	v_fmac_f32_e32 v142, v76, v28
	v_fma_f32 v143, v76, v29, -v143
	ds_load_b128 v[28:31], v97 offset:400
	ds_store_2addr_b64 v98, v[136:137], v[138:139] offset1:67
	ds_store_2addr_b64 v98, v[140:141], v[142:143] offset0:134 offset1:201
	s_wait_dscnt 0x0
	s_barrier_signal -1
	s_barrier_wait -1
	global_inv scope:SCOPE_SE
	ds_load_2addr_b64 v[136:139], v99 offset1:1
	ds_load_2addr_b64 v[112:115], v99 offset0:2 offset1:3
	s_wait_loadcnt_dscnt 0x0
	s_barrier_signal -1
	s_barrier_wait -1
	global_inv scope:SCOPE_SE
	v_dual_add_f32 v123, 0, v136 :: v_dual_add_f32 v124, 0, v137
	s_delay_alu instid0(VALU_DEP_1) | instskip(NEXT) | instid1(VALU_DEP_1)
	v_dual_add_f32 v123, v123, v138 :: v_dual_add_f32 v124, v124, v139
	v_dual_add_f32 v122, v123, v112 :: v_dual_add_f32 v123, v124, v113
	;; [unrolled: 1-line block ×3, first 2 shown]
	s_delay_alu instid0(VALU_DEP_2)
	v_dual_add_f32 v114, v122, v114 :: v_dual_add_f32 v115, v123, v115
	ds_store_2addr_b64 v108, v[116:117], v[118:119] offset1:16
	ds_store_2addr_b64 v108, v[112:113], v[114:115] offset0:32 offset1:48
	s_wait_loadcnt_dscnt 0x0
	s_barrier_signal -1
	s_barrier_wait -1
	global_inv scope:SCOPE_SE
	s_and_saveexec_b32 s71, s22
	s_cbranch_execz .LBB46_113
; %bb.117:                              ;   in Loop: Header=BB46_114 Depth=2
	ds_load_b64 v[124:125], v100
	ds_load_2addr_b64 v[112:115], v100 offset0:1 offset1:2
	ds_load_2addr_b64 v[116:119], v100 offset0:3 offset1:4
	;; [unrolled: 1-line block ×3, first 2 shown]
	s_wait_dscnt 0x2
	v_dual_add_f32 v112, v112, v124 :: v_dual_add_f32 v113, v113, v125
	s_delay_alu instid0(VALU_DEP_1) | instskip(SKIP_3) | instid1(VALU_DEP_1)
	v_dual_add_f32 v124, v114, v112 :: v_dual_add_f32 v125, v115, v113
	ds_load_2addr_b64 v[112:115], v100 offset0:7 offset1:8
	s_wait_dscnt 0x2
	v_dual_add_f32 v116, v124, v116 :: v_dual_add_f32 v117, v125, v117
	v_dual_add_f32 v124, v116, v118 :: v_dual_add_f32 v125, v117, v119
	ds_load_2addr_b64 v[116:119], v100 offset0:9 offset1:10
	s_wait_dscnt 0x2
	v_dual_add_f32 v120, v124, v120 :: v_dual_add_f32 v121, v125, v121
	s_delay_alu instid0(VALU_DEP_1) | instskip(SKIP_3) | instid1(VALU_DEP_1)
	v_dual_add_f32 v124, v120, v122 :: v_dual_add_f32 v125, v121, v123
	ds_load_2addr_b64 v[120:123], v100 offset0:11 offset1:12
	s_wait_dscnt 0x2
	v_dual_add_f32 v112, v124, v112 :: v_dual_add_f32 v113, v125, v113
	v_dual_add_f32 v124, v112, v114 :: v_dual_add_f32 v125, v113, v115
	ds_load_2addr_b64 v[112:115], v100 offset0:13 offset1:14
	s_wait_dscnt 0x2
	v_dual_add_f32 v116, v124, v116 :: v_dual_add_f32 v117, v125, v117
	s_delay_alu instid0(VALU_DEP_1) | instskip(SKIP_3) | instid1(VALU_DEP_1)
	v_dual_add_f32 v118, v116, v118 :: v_dual_add_f32 v119, v117, v119
	ds_load_b64 v[116:117], v101
	s_wait_dscnt 0x2
	v_dual_add_f32 v118, v118, v120 :: v_dual_add_f32 v119, v119, v121
	v_dual_add_f32 v118, v118, v122 :: v_dual_add_f32 v119, v119, v123
	s_wait_dscnt 0x1
	s_delay_alu instid0(VALU_DEP_1) | instskip(NEXT) | instid1(VALU_DEP_1)
	v_dual_add_f32 v112, v118, v112 :: v_dual_add_f32 v113, v119, v113
	v_dual_add_f32 v114, v112, v114 :: v_dual_add_f32 v115, v113, v115
	v_lshlrev_b64_e32 v[112:113], 3, v[32:33]
	s_wait_dscnt 0x0
	s_delay_alu instid0(VALU_DEP_2) | instskip(NEXT) | instid1(VALU_DEP_2)
	v_dual_add_f32 v114, v114, v116 :: v_dual_add_f32 v115, v115, v117
	v_add_co_u32 v112, vcc_lo, s68, v112
	s_wait_alu 0xfffd
	s_delay_alu instid0(VALU_DEP_3)
	v_add_co_ci_u32_e64 v113, null, s69, v113, vcc_lo
	global_store_b64 v[112:113], v[114:115], off
	s_branch .LBB46_113
.LBB46_118:                             ;   in Loop: Header=BB46_4 Depth=1
	ds_store_b64 v102, v[48:49]
	s_wait_loadcnt_dscnt 0x0
	s_barrier_signal -1
	s_barrier_wait -1
	global_inv scope:SCOPE_SE
	s_and_saveexec_b32 s70, s75
	s_cbranch_execz .LBB46_2
; %bb.119:                              ;   in Loop: Header=BB46_4 Depth=1
	ds_load_2addr_b64 v[0:3], v85 offset1:67
	ds_load_2addr_b64 v[4:7], v85 offset0:134 offset1:201
	s_wait_dscnt 0x1
	v_dual_add_f32 v0, v2, v0 :: v_dual_add_f32 v1, v3, v1
	s_wait_alu 0xfffe
	v_add_co_u32 v2, vcc_lo, s68, v46
	s_wait_alu 0xfffd
	v_add_co_ci_u32_e64 v3, null, s69, v47, vcc_lo
	s_wait_dscnt 0x0
	v_dual_add_f32 v0, v4, v0 :: v_dual_add_f32 v1, v5, v1
	s_delay_alu instid0(VALU_DEP_1)
	v_dual_add_f32 v0, v0, v6 :: v_dual_add_f32 v1, v1, v7
	global_store_b64 v[2:3], v[0:1], off
	s_branch .LBB46_2
.LBB46_120:                             ;   in Loop: Header=BB46_4 Depth=1
	flat_load_b64 v[4:5], v[2:3]
	s_wait_loadcnt_dscnt 0x0
	ds_store_b64 v104, v[4:5]
	s_or_b32 exec_lo, exec_lo, s68
	s_and_saveexec_b32 s68, s4
	s_wait_alu 0xfffe
	s_xor_b32 s68, exec_lo, s68
	s_cbranch_execz .LBB46_20
.LBB46_121:                             ;   in Loop: Header=BB46_4 Depth=1
	v_mov_b32_e32 v32, v33
	ds_store_b64 v104, v[32:33] offset:2112
	s_wait_alu 0xfffe
	s_and_not1_saveexec_b32 s68, s68
	s_cbranch_execz .LBB46_21
.LBB46_122:                             ;   in Loop: Header=BB46_4 Depth=1
	s_lshl_b64 s[70:71], s[42:43], 3
	s_wait_alu 0xfffe
	v_add_co_u32 v4, vcc_lo, v2, s70
	s_wait_alu 0xfffd
	v_add_co_ci_u32_e64 v5, null, s71, v3, vcc_lo
	flat_load_b64 v[4:5], v[4:5]
	s_wait_loadcnt_dscnt 0x0
	ds_store_b64 v104, v[4:5] offset:2112
	s_or_b32 exec_lo, exec_lo, s68
	s_and_saveexec_b32 s68, s5
	s_wait_alu 0xfffe
	s_xor_b32 s68, exec_lo, s68
	s_cbranch_execz .LBB46_22
.LBB46_123:                             ;   in Loop: Header=BB46_4 Depth=1
	v_mov_b32_e32 v32, v33
	ds_store_b64 v104, v[32:33] offset:4224
	s_wait_alu 0xfffe
	s_and_not1_saveexec_b32 s68, s68
	s_cbranch_execz .LBB46_23
.LBB46_124:                             ;   in Loop: Header=BB46_4 Depth=1
	s_lshl_b64 s[70:71], s[44:45], 3
	s_wait_alu 0xfffe
	v_add_co_u32 v4, vcc_lo, v2, s70
	s_wait_alu 0xfffd
	v_add_co_ci_u32_e64 v5, null, s71, v3, vcc_lo
	flat_load_b64 v[4:5], v[4:5]
	s_wait_loadcnt_dscnt 0x0
	ds_store_b64 v104, v[4:5] offset:4224
	s_or_b32 exec_lo, exec_lo, s68
	s_and_saveexec_b32 s68, s6
	s_wait_alu 0xfffe
	s_xor_b32 s68, exec_lo, s68
	s_cbranch_execz .LBB46_24
.LBB46_125:                             ;   in Loop: Header=BB46_4 Depth=1
	v_mov_b32_e32 v32, v33
	ds_store_b64 v104, v[32:33] offset:6336
	s_wait_alu 0xfffe
	s_and_not1_saveexec_b32 s68, s68
	s_cbranch_execnz .LBB46_25
	s_branch .LBB46_26
.LBB46_126:                             ;   in Loop: Header=BB46_4 Depth=1
	flat_load_b64 v[4:5], v[0:1]
	s_wait_loadcnt_dscnt 0x0
	ds_store_b64 v104, v[4:5]
	s_or_b32 exec_lo, exec_lo, s68
	s_and_saveexec_b32 s68, s18
	s_wait_alu 0xfffe
	s_xor_b32 s68, exec_lo, s68
	s_cbranch_execz .LBB46_60
.LBB46_127:                             ;   in Loop: Header=BB46_4 Depth=1
	v_mov_b32_e32 v32, v33
	ds_store_b64 v104, v[32:33] offset:2112
	s_wait_alu 0xfffe
	s_and_not1_saveexec_b32 s68, s68
	s_cbranch_execz .LBB46_61
.LBB46_128:                             ;   in Loop: Header=BB46_4 Depth=1
	s_lshl_b64 s[70:71], s[42:43], 3
	s_wait_alu 0xfffe
	v_add_co_u32 v4, vcc_lo, v0, s70
	s_wait_alu 0xfffd
	v_add_co_ci_u32_e64 v5, null, s71, v1, vcc_lo
	flat_load_b64 v[4:5], v[4:5]
	s_wait_loadcnt_dscnt 0x0
	ds_store_b64 v104, v[4:5] offset:2112
	s_or_b32 exec_lo, exec_lo, s68
	s_and_saveexec_b32 s68, s19
	s_wait_alu 0xfffe
	s_xor_b32 s68, exec_lo, s68
	s_cbranch_execz .LBB46_62
.LBB46_129:                             ;   in Loop: Header=BB46_4 Depth=1
	v_mov_b32_e32 v32, v33
	ds_store_b64 v104, v[32:33] offset:4224
	s_wait_alu 0xfffe
	s_and_not1_saveexec_b32 s68, s68
	s_cbranch_execz .LBB46_63
.LBB46_130:                             ;   in Loop: Header=BB46_4 Depth=1
	s_lshl_b64 s[70:71], s[44:45], 3
	s_wait_alu 0xfffe
	v_add_co_u32 v4, vcc_lo, v0, s70
	s_wait_alu 0xfffd
	v_add_co_ci_u32_e64 v5, null, s71, v1, vcc_lo
	flat_load_b64 v[4:5], v[4:5]
	s_wait_loadcnt_dscnt 0x0
	ds_store_b64 v104, v[4:5] offset:4224
	s_or_b32 exec_lo, exec_lo, s68
	s_and_saveexec_b32 s68, s20
	s_wait_alu 0xfffe
	s_xor_b32 s68, exec_lo, s68
	s_cbranch_execz .LBB46_64
.LBB46_131:                             ;   in Loop: Header=BB46_4 Depth=1
	v_mov_b32_e32 v32, v33
	ds_store_b64 v104, v[32:33] offset:6336
	s_wait_alu 0xfffe
	s_and_not1_saveexec_b32 s68, s68
	s_cbranch_execnz .LBB46_65
	s_branch .LBB46_66
.LBB46_132:                             ;   in Loop: Header=BB46_4 Depth=1
	flat_load_b64 v[2:3], v[0:1]
	s_wait_loadcnt_dscnt 0x0
	ds_store_b64 v104, v[2:3]
	s_or_b32 exec_lo, exec_lo, s68
	s_and_saveexec_b32 s68, s4
	s_wait_alu 0xfffe
	s_xor_b32 s68, exec_lo, s68
	s_cbranch_execz .LBB46_100
.LBB46_133:                             ;   in Loop: Header=BB46_4 Depth=1
	v_mov_b32_e32 v32, v33
	ds_store_b64 v104, v[32:33] offset:2112
	s_wait_alu 0xfffe
	s_and_not1_saveexec_b32 s68, s68
	s_cbranch_execz .LBB46_101
.LBB46_134:                             ;   in Loop: Header=BB46_4 Depth=1
	s_lshl_b64 s[70:71], s[42:43], 3
	s_wait_alu 0xfffe
	v_add_co_u32 v2, vcc_lo, v0, s70
	s_wait_alu 0xfffd
	v_add_co_ci_u32_e64 v3, null, s71, v1, vcc_lo
	flat_load_b64 v[2:3], v[2:3]
	s_wait_loadcnt_dscnt 0x0
	ds_store_b64 v104, v[2:3] offset:2112
	s_or_b32 exec_lo, exec_lo, s68
	s_and_saveexec_b32 s68, s5
	s_wait_alu 0xfffe
	s_xor_b32 s68, exec_lo, s68
	s_cbranch_execz .LBB46_102
.LBB46_135:                             ;   in Loop: Header=BB46_4 Depth=1
	v_mov_b32_e32 v32, v33
	ds_store_b64 v104, v[32:33] offset:4224
	s_wait_alu 0xfffe
	s_and_not1_saveexec_b32 s68, s68
	s_cbranch_execz .LBB46_103
.LBB46_136:                             ;   in Loop: Header=BB46_4 Depth=1
	s_lshl_b64 s[70:71], s[44:45], 3
	s_wait_alu 0xfffe
	v_add_co_u32 v2, vcc_lo, v0, s70
	s_wait_alu 0xfffd
	v_add_co_ci_u32_e64 v3, null, s71, v1, vcc_lo
	flat_load_b64 v[2:3], v[2:3]
	s_wait_loadcnt_dscnt 0x0
	ds_store_b64 v104, v[2:3] offset:4224
	s_or_b32 exec_lo, exec_lo, s68
	s_and_saveexec_b32 s68, s6
	s_wait_alu 0xfffe
	s_xor_b32 s68, exec_lo, s68
	s_cbranch_execz .LBB46_104
.LBB46_137:                             ;   in Loop: Header=BB46_4 Depth=1
	v_mov_b32_e32 v32, v33
	ds_store_b64 v104, v[32:33] offset:6336
	s_wait_alu 0xfffe
	s_and_not1_saveexec_b32 s68, s68
	s_cbranch_execnz .LBB46_105
	s_branch .LBB46_106
.LBB46_138:
	s_nop 0
	s_sendmsg sendmsg(MSG_DEALLOC_VGPRS)
	s_endpgm
	.section	.rodata,"a",@progbits
	.p2align	6, 0x0
	.amdhsa_kernel _ZL26rocblas_hemvn_kernel_lowerILb1ELi64ELi4ELi33ELi32ELi16Ei19rocblas_complex_numIfEPKPKS1_PS1_EviT6_lT7_lT5_lS8_lS9_lS7_lT8_i
		.amdhsa_group_segment_fixed_size 9600
		.amdhsa_private_segment_fixed_size 0
		.amdhsa_kernarg_size 376
		.amdhsa_user_sgpr_count 2
		.amdhsa_user_sgpr_dispatch_ptr 0
		.amdhsa_user_sgpr_queue_ptr 0
		.amdhsa_user_sgpr_kernarg_segment_ptr 1
		.amdhsa_user_sgpr_dispatch_id 0
		.amdhsa_user_sgpr_private_segment_size 0
		.amdhsa_wavefront_size32 1
		.amdhsa_uses_dynamic_stack 0
		.amdhsa_enable_private_segment 0
		.amdhsa_system_sgpr_workgroup_id_x 1
		.amdhsa_system_sgpr_workgroup_id_y 0
		.amdhsa_system_sgpr_workgroup_id_z 1
		.amdhsa_system_sgpr_workgroup_info 0
		.amdhsa_system_vgpr_workitem_id 1
		.amdhsa_next_free_vgpr 144
		.amdhsa_next_free_sgpr 82
		.amdhsa_reserve_vcc 1
		.amdhsa_float_round_mode_32 0
		.amdhsa_float_round_mode_16_64 0
		.amdhsa_float_denorm_mode_32 3
		.amdhsa_float_denorm_mode_16_64 3
		.amdhsa_fp16_overflow 0
		.amdhsa_workgroup_processor_mode 1
		.amdhsa_memory_ordered 1
		.amdhsa_forward_progress 1
		.amdhsa_inst_pref_size 75
		.amdhsa_round_robin_scheduling 0
		.amdhsa_exception_fp_ieee_invalid_op 0
		.amdhsa_exception_fp_denorm_src 0
		.amdhsa_exception_fp_ieee_div_zero 0
		.amdhsa_exception_fp_ieee_overflow 0
		.amdhsa_exception_fp_ieee_underflow 0
		.amdhsa_exception_fp_ieee_inexact 0
		.amdhsa_exception_int_div_zero 0
	.end_amdhsa_kernel
	.section	.text._ZL26rocblas_hemvn_kernel_lowerILb1ELi64ELi4ELi33ELi32ELi16Ei19rocblas_complex_numIfEPKPKS1_PS1_EviT6_lT7_lT5_lS8_lS9_lS7_lT8_i,"axG",@progbits,_ZL26rocblas_hemvn_kernel_lowerILb1ELi64ELi4ELi33ELi32ELi16Ei19rocblas_complex_numIfEPKPKS1_PS1_EviT6_lT7_lT5_lS8_lS9_lS7_lT8_i,comdat
.Lfunc_end46:
	.size	_ZL26rocblas_hemvn_kernel_lowerILb1ELi64ELi4ELi33ELi32ELi16Ei19rocblas_complex_numIfEPKPKS1_PS1_EviT6_lT7_lT5_lS8_lS9_lS7_lT8_i, .Lfunc_end46-_ZL26rocblas_hemvn_kernel_lowerILb1ELi64ELi4ELi33ELi32ELi16Ei19rocblas_complex_numIfEPKPKS1_PS1_EviT6_lT7_lT5_lS8_lS9_lS7_lT8_i
                                        ; -- End function
	.set _ZL26rocblas_hemvn_kernel_lowerILb1ELi64ELi4ELi33ELi32ELi16Ei19rocblas_complex_numIfEPKPKS1_PS1_EviT6_lT7_lT5_lS8_lS9_lS7_lT8_i.num_vgpr, 144
	.set _ZL26rocblas_hemvn_kernel_lowerILb1ELi64ELi4ELi33ELi32ELi16Ei19rocblas_complex_numIfEPKPKS1_PS1_EviT6_lT7_lT5_lS8_lS9_lS7_lT8_i.num_agpr, 0
	.set _ZL26rocblas_hemvn_kernel_lowerILb1ELi64ELi4ELi33ELi32ELi16Ei19rocblas_complex_numIfEPKPKS1_PS1_EviT6_lT7_lT5_lS8_lS9_lS7_lT8_i.numbered_sgpr, 82
	.set _ZL26rocblas_hemvn_kernel_lowerILb1ELi64ELi4ELi33ELi32ELi16Ei19rocblas_complex_numIfEPKPKS1_PS1_EviT6_lT7_lT5_lS8_lS9_lS7_lT8_i.num_named_barrier, 0
	.set _ZL26rocblas_hemvn_kernel_lowerILb1ELi64ELi4ELi33ELi32ELi16Ei19rocblas_complex_numIfEPKPKS1_PS1_EviT6_lT7_lT5_lS8_lS9_lS7_lT8_i.private_seg_size, 0
	.set _ZL26rocblas_hemvn_kernel_lowerILb1ELi64ELi4ELi33ELi32ELi16Ei19rocblas_complex_numIfEPKPKS1_PS1_EviT6_lT7_lT5_lS8_lS9_lS7_lT8_i.uses_vcc, 1
	.set _ZL26rocblas_hemvn_kernel_lowerILb1ELi64ELi4ELi33ELi32ELi16Ei19rocblas_complex_numIfEPKPKS1_PS1_EviT6_lT7_lT5_lS8_lS9_lS7_lT8_i.uses_flat_scratch, 1
	.set _ZL26rocblas_hemvn_kernel_lowerILb1ELi64ELi4ELi33ELi32ELi16Ei19rocblas_complex_numIfEPKPKS1_PS1_EviT6_lT7_lT5_lS8_lS9_lS7_lT8_i.has_dyn_sized_stack, 0
	.set _ZL26rocblas_hemvn_kernel_lowerILb1ELi64ELi4ELi33ELi32ELi16Ei19rocblas_complex_numIfEPKPKS1_PS1_EviT6_lT7_lT5_lS8_lS9_lS7_lT8_i.has_recursion, 0
	.set _ZL26rocblas_hemvn_kernel_lowerILb1ELi64ELi4ELi33ELi32ELi16Ei19rocblas_complex_numIfEPKPKS1_PS1_EviT6_lT7_lT5_lS8_lS9_lS7_lT8_i.has_indirect_call, 0
	.section	.AMDGPU.csdata,"",@progbits
; Kernel info:
; codeLenInByte = 9564
; TotalNumSgprs: 84
; NumVgprs: 144
; ScratchSize: 0
; MemoryBound: 1
; FloatMode: 240
; IeeeMode: 1
; LDSByteSize: 9600 bytes/workgroup (compile time only)
; SGPRBlocks: 0
; VGPRBlocks: 17
; NumSGPRsForWavesPerEU: 84
; NumVGPRsForWavesPerEU: 144
; Occupancy: 10
; WaveLimiterHint : 1
; COMPUTE_PGM_RSRC2:SCRATCH_EN: 0
; COMPUTE_PGM_RSRC2:USER_SGPR: 2
; COMPUTE_PGM_RSRC2:TRAP_HANDLER: 0
; COMPUTE_PGM_RSRC2:TGID_X_EN: 1
; COMPUTE_PGM_RSRC2:TGID_Y_EN: 0
; COMPUTE_PGM_RSRC2:TGID_Z_EN: 1
; COMPUTE_PGM_RSRC2:TIDIG_COMP_CNT: 1
	.section	.text._ZL36rocblas_hemvn_kernel_lower_block_sumILi64Ei19rocblas_complex_numIfEPKPS1_S1_EviT1_lS5_lT2_lT0_lPT3_i,"axG",@progbits,_ZL36rocblas_hemvn_kernel_lower_block_sumILi64Ei19rocblas_complex_numIfEPKPS1_S1_EviT1_lS5_lT2_lT0_lPT3_i,comdat
	.globl	_ZL36rocblas_hemvn_kernel_lower_block_sumILi64Ei19rocblas_complex_numIfEPKPS1_S1_EviT1_lS5_lT2_lT0_lPT3_i ; -- Begin function _ZL36rocblas_hemvn_kernel_lower_block_sumILi64Ei19rocblas_complex_numIfEPKPS1_S1_EviT1_lS5_lT2_lT0_lPT3_i
	.p2align	8
	.type	_ZL36rocblas_hemvn_kernel_lower_block_sumILi64Ei19rocblas_complex_numIfEPKPS1_S1_EviT1_lS5_lT2_lT0_lPT3_i,@function
_ZL36rocblas_hemvn_kernel_lower_block_sumILi64Ei19rocblas_complex_numIfEPKPS1_S1_EviT1_lS5_lT2_lT0_lPT3_i: ; @_ZL36rocblas_hemvn_kernel_lower_block_sumILi64Ei19rocblas_complex_numIfEPKPS1_S1_EviT1_lS5_lT2_lT0_lPT3_i
; %bb.0:
	s_load_b32 s20, s[0:1], 0x50
	s_lshr_b32 s2, ttmp7, 16
	s_wait_kmcnt 0x0
	s_cmp_ge_u32 s2, s20
	s_cbranch_scc1 .LBB47_21
; %bb.1:
	s_clause 0x5
	s_load_b64 s[8:9], s[0:1], 0x4
	s_load_b32 s14, s[0:1], 0x0
	s_load_b32 s12, s[0:1], 0x38
	s_load_b64 s[10:11], s[0:1], 0x18
	s_load_b128 s[4:7], s[0:1], 0x28
	s_load_b64 s[16:17], s[0:1], 0x48
	v_lshl_or_b32 v0, ttmp9, 6, v0
	s_mov_b32 s3, 0
	s_wait_kmcnt 0x0
	s_or_b32 s13, s8, s9
	s_delay_alu instid0(VALU_DEP_1)
	v_mad_co_u64_u32 v[1:2], null, s14, ttmp9, v[0:1]
	s_bitset0_b32 s13, 31
	v_mul_lo_u32 v3, s12, v0
	s_cmp_eq_u32 s13, 0
	s_cselect_b32 s21, -1, 0
	s_cmp_lg_u32 s13, 0
	v_ashrrev_i32_e32 v2, 31, v1
	s_add_nc_u64 s[12:13], s[0:1], 0x58
	s_cselect_b32 s1, -1, 0
	s_cmp_neq_f32 s10, 1.0
	v_ashrrev_i32_e32 v4, 31, v3
	v_lshlrev_b64_e32 v[5:6], 3, v[1:2]
	v_cmp_gt_i32_e64 s0, s14, v0
	s_cselect_b32 s15, -1, 0
	s_cmp_neq_f32 s11, 0
	v_lshlrev_b64_e32 v[0:1], 3, v[3:4]
	v_add_co_u32 v2, vcc_lo, s16, v5
	s_cselect_b32 s18, -1, 0
	s_cmp_neq_f32 s10, 0
	v_add_co_ci_u32_e64 v3, null, s17, v6, vcc_lo
	v_add_co_u32 v2, vcc_lo, v2, 4
	s_cselect_b32 s16, -1, 0
	s_wait_alu 0xfffd
	v_add_co_ci_u32_e64 v3, null, 0, v3, vcc_lo
	s_wait_alu 0xfffe
	s_or_b32 s16, s16, s18
	s_or_b32 s17, s15, s18
	s_wait_alu 0xfffe
	v_cndmask_b32_e64 v6, 0, 1, s16
	s_ashr_i32 s15, s14, 31
	s_or_b32 s1, s17, s1
	s_xor_b32 s22, s16, -1
	s_wait_alu 0xfffe
	s_lshl_b64 s[14:15], s[14:15], 3
	s_lshl_b64 s[6:7], s[6:7], 3
	s_branch .LBB47_5
.LBB47_2:                               ;   in Loop: Header=BB47_5 Depth=1
	v_add_co_u32 v7, vcc_lo, s16, v0
	s_wait_alu 0xfffd
	v_add_co_ci_u32_e64 v8, null, s17, v1, vcc_lo
	flat_store_b64 v[7:8], v[4:5]
.LBB47_3:                               ;   in Loop: Header=BB47_5 Depth=1
	s_or_b32 exec_lo, exec_lo, s23
.LBB47_4:                               ;   in Loop: Header=BB47_5 Depth=1
	s_add_co_i32 s2, s2, 0x10000
	s_wait_alu 0xfffe
	s_cmp_lt_u32 s2, s20
	s_cbranch_scc0 .LBB47_21
.LBB47_5:                               ; =>This Loop Header: Depth=1
                                        ;     Child Loop BB47_16 Depth 2
	s_and_not1_b32 vcc_lo, exec_lo, s1
	s_wait_alu 0xfffe
	s_cbranch_vccnz .LBB47_4
; %bb.6:                                ;   in Loop: Header=BB47_5 Depth=1
	s_lshl_b64 s[16:17], s[2:3], 3
	s_and_not1_b32 vcc_lo, exec_lo, s21
	s_wait_alu 0xfffe
	s_add_nc_u64 s[16:17], s[4:5], s[16:17]
	s_mov_b32 s18, -1
	s_load_b64 s[16:17], s[16:17], 0x0
	s_wait_kmcnt 0x0
	s_add_nc_u64 s[16:17], s[16:17], s[6:7]
	s_cbranch_vccnz .LBB47_12
; %bb.7:                                ;   in Loop: Header=BB47_5 Depth=1
	s_and_saveexec_b32 s18, s0
	s_cbranch_execz .LBB47_11
; %bb.8:                                ;   in Loop: Header=BB47_5 Depth=1
	v_cmp_ne_u32_e32 vcc_lo, 1, v6
	v_dual_mov_b32 v4, 0 :: v_dual_mov_b32 v5, 0
	s_cbranch_vccnz .LBB47_10
; %bb.9:                                ;   in Loop: Header=BB47_5 Depth=1
	s_wait_alu 0xfffe
	v_add_co_u32 v4, vcc_lo, s16, v0
	s_wait_alu 0xfffd
	v_add_co_ci_u32_e64 v5, null, s17, v1, vcc_lo
	flat_load_b64 v[7:8], v[4:5]
	s_wait_loadcnt_dscnt 0x0
	v_mul_f32_e32 v5, s10, v8
	s_delay_alu instid0(VALU_DEP_1) | instskip(NEXT) | instid1(VALU_DEP_1)
	v_dual_mul_f32 v4, s11, v8 :: v_dual_fmac_f32 v5, s11, v7
	v_fma_f32 v4, v7, s10, -v4
.LBB47_10:                              ;   in Loop: Header=BB47_5 Depth=1
	s_wait_alu 0xfffe
	v_add_co_u32 v7, vcc_lo, s16, v0
	s_wait_alu 0xfffd
	v_add_co_ci_u32_e64 v8, null, s17, v1, vcc_lo
	flat_store_b64 v[7:8], v[4:5]
.LBB47_11:                              ;   in Loop: Header=BB47_5 Depth=1
	s_or_b32 exec_lo, exec_lo, s18
	s_mov_b32 s18, 0
.LBB47_12:                              ;   in Loop: Header=BB47_5 Depth=1
	s_delay_alu instid0(SALU_CYCLE_1)
	s_and_not1_b32 vcc_lo, exec_lo, s18
	s_wait_alu 0xfffe
	s_cbranch_vccnz .LBB47_4
; %bb.13:                               ;   in Loop: Header=BB47_5 Depth=1
	s_and_saveexec_b32 s23, s0
	s_cbranch_execz .LBB47_3
; %bb.14:                               ;   in Loop: Header=BB47_5 Depth=1
	s_load_b32 s18, s[12:13], 0x0
	v_dual_mov_b32 v7, 0 :: v_dual_mov_b32 v8, 0
	s_wait_kmcnt 0x0
	s_cmp_ge_i32 ttmp9, s18
	s_cbranch_scc1 .LBB47_17
; %bb.15:                               ;   in Loop: Header=BB47_5 Depth=1
	s_mov_b32 s19, s3
	v_mov_b32_e32 v7, 0
	s_mul_u64 s[26:27], s[14:15], s[18:19]
	s_mov_b32 s24, ttmp9
	s_wait_alu 0xfffe
	v_mad_co_u64_u32 v[4:5], null, s26, s2, v[2:3]
	s_delay_alu instid0(VALU_DEP_1) | instskip(NEXT) | instid1(VALU_DEP_1)
	v_mad_co_u64_u32 v[8:9], null, s27, s2, v[5:6]
	v_dual_mov_b32 v5, v8 :: v_dual_mov_b32 v8, 0
.LBB47_16:                              ;   Parent Loop BB47_5 Depth=1
                                        ; =>  This Inner Loop Header: Depth=2
	global_load_b64 v[9:10], v[4:5], off offset:-4
	v_add_co_u32 v4, vcc_lo, v4, s14
	s_wait_alu 0xfffd
	v_add_co_ci_u32_e64 v5, null, s15, v5, vcc_lo
	s_add_co_i32 s24, s24, 1
	s_delay_alu instid0(SALU_CYCLE_1)
	s_cmp_ge_i32 s24, s18
	s_wait_loadcnt 0x0
	v_dual_add_f32 v8, v8, v9 :: v_dual_add_f32 v7, v7, v10
	s_cbranch_scc0 .LBB47_16
.LBB47_17:                              ;   in Loop: Header=BB47_5 Depth=1
	s_delay_alu instid0(VALU_DEP_1) | instskip(SKIP_3) | instid1(VALU_DEP_2)
	v_mul_f32_e32 v5, s8, v7
	v_mul_f32_e32 v4, s9, v7
	s_and_b32 vcc_lo, exec_lo, s22
	s_mov_b32 s18, -1
	v_fmac_f32_e32 v5, s9, v8
	s_delay_alu instid0(VALU_DEP_2)
	v_fma_f32 v4, v8, s8, -v4
	s_wait_alu 0xfffe
	s_cbranch_vccz .LBB47_19
; %bb.18:                               ;   in Loop: Header=BB47_5 Depth=1
	s_mov_b32 s18, 0
.LBB47_19:                              ;   in Loop: Header=BB47_5 Depth=1
	s_delay_alu instid0(SALU_CYCLE_1)
	s_and_not1_b32 vcc_lo, exec_lo, s18
	s_wait_alu 0xfffe
	s_cbranch_vccnz .LBB47_2
; %bb.20:                               ;   in Loop: Header=BB47_5 Depth=1
	v_add_co_u32 v7, vcc_lo, s16, v0
	s_wait_alu 0xfffd
	v_add_co_ci_u32_e64 v8, null, s17, v1, vcc_lo
	flat_load_b64 v[7:8], v[7:8]
	s_wait_loadcnt_dscnt 0x0
	v_mul_f32_e32 v9, s11, v8
	v_mul_f32_e32 v8, s10, v8
	s_delay_alu instid0(VALU_DEP_1) | instskip(NEXT) | instid1(VALU_DEP_3)
	v_fmac_f32_e32 v8, s11, v7
	v_fma_f32 v9, v7, s10, -v9
	s_delay_alu instid0(VALU_DEP_1)
	v_dual_add_f32 v5, v5, v8 :: v_dual_add_f32 v4, v4, v9
	s_branch .LBB47_2
.LBB47_21:
	s_endpgm
	.section	.rodata,"a",@progbits
	.p2align	6, 0x0
	.amdhsa_kernel _ZL36rocblas_hemvn_kernel_lower_block_sumILi64Ei19rocblas_complex_numIfEPKPS1_S1_EviT1_lS5_lT2_lT0_lPT3_i
		.amdhsa_group_segment_fixed_size 0
		.amdhsa_private_segment_fixed_size 0
		.amdhsa_kernarg_size 344
		.amdhsa_user_sgpr_count 2
		.amdhsa_user_sgpr_dispatch_ptr 0
		.amdhsa_user_sgpr_queue_ptr 0
		.amdhsa_user_sgpr_kernarg_segment_ptr 1
		.amdhsa_user_sgpr_dispatch_id 0
		.amdhsa_user_sgpr_private_segment_size 0
		.amdhsa_wavefront_size32 1
		.amdhsa_uses_dynamic_stack 0
		.amdhsa_enable_private_segment 0
		.amdhsa_system_sgpr_workgroup_id_x 1
		.amdhsa_system_sgpr_workgroup_id_y 0
		.amdhsa_system_sgpr_workgroup_id_z 1
		.amdhsa_system_sgpr_workgroup_info 0
		.amdhsa_system_vgpr_workitem_id 0
		.amdhsa_next_free_vgpr 11
		.amdhsa_next_free_sgpr 28
		.amdhsa_reserve_vcc 1
		.amdhsa_float_round_mode_32 0
		.amdhsa_float_round_mode_16_64 0
		.amdhsa_float_denorm_mode_32 3
		.amdhsa_float_denorm_mode_16_64 3
		.amdhsa_fp16_overflow 0
		.amdhsa_workgroup_processor_mode 1
		.amdhsa_memory_ordered 1
		.amdhsa_forward_progress 1
		.amdhsa_inst_pref_size 7
		.amdhsa_round_robin_scheduling 0
		.amdhsa_exception_fp_ieee_invalid_op 0
		.amdhsa_exception_fp_denorm_src 0
		.amdhsa_exception_fp_ieee_div_zero 0
		.amdhsa_exception_fp_ieee_overflow 0
		.amdhsa_exception_fp_ieee_underflow 0
		.amdhsa_exception_fp_ieee_inexact 0
		.amdhsa_exception_int_div_zero 0
	.end_amdhsa_kernel
	.section	.text._ZL36rocblas_hemvn_kernel_lower_block_sumILi64Ei19rocblas_complex_numIfEPKPS1_S1_EviT1_lS5_lT2_lT0_lPT3_i,"axG",@progbits,_ZL36rocblas_hemvn_kernel_lower_block_sumILi64Ei19rocblas_complex_numIfEPKPS1_S1_EviT1_lS5_lT2_lT0_lPT3_i,comdat
.Lfunc_end47:
	.size	_ZL36rocblas_hemvn_kernel_lower_block_sumILi64Ei19rocblas_complex_numIfEPKPS1_S1_EviT1_lS5_lT2_lT0_lPT3_i, .Lfunc_end47-_ZL36rocblas_hemvn_kernel_lower_block_sumILi64Ei19rocblas_complex_numIfEPKPS1_S1_EviT1_lS5_lT2_lT0_lPT3_i
                                        ; -- End function
	.set _ZL36rocblas_hemvn_kernel_lower_block_sumILi64Ei19rocblas_complex_numIfEPKPS1_S1_EviT1_lS5_lT2_lT0_lPT3_i.num_vgpr, 11
	.set _ZL36rocblas_hemvn_kernel_lower_block_sumILi64Ei19rocblas_complex_numIfEPKPS1_S1_EviT1_lS5_lT2_lT0_lPT3_i.num_agpr, 0
	.set _ZL36rocblas_hemvn_kernel_lower_block_sumILi64Ei19rocblas_complex_numIfEPKPS1_S1_EviT1_lS5_lT2_lT0_lPT3_i.numbered_sgpr, 28
	.set _ZL36rocblas_hemvn_kernel_lower_block_sumILi64Ei19rocblas_complex_numIfEPKPS1_S1_EviT1_lS5_lT2_lT0_lPT3_i.num_named_barrier, 0
	.set _ZL36rocblas_hemvn_kernel_lower_block_sumILi64Ei19rocblas_complex_numIfEPKPS1_S1_EviT1_lS5_lT2_lT0_lPT3_i.private_seg_size, 0
	.set _ZL36rocblas_hemvn_kernel_lower_block_sumILi64Ei19rocblas_complex_numIfEPKPS1_S1_EviT1_lS5_lT2_lT0_lPT3_i.uses_vcc, 1
	.set _ZL36rocblas_hemvn_kernel_lower_block_sumILi64Ei19rocblas_complex_numIfEPKPS1_S1_EviT1_lS5_lT2_lT0_lPT3_i.uses_flat_scratch, 0
	.set _ZL36rocblas_hemvn_kernel_lower_block_sumILi64Ei19rocblas_complex_numIfEPKPS1_S1_EviT1_lS5_lT2_lT0_lPT3_i.has_dyn_sized_stack, 0
	.set _ZL36rocblas_hemvn_kernel_lower_block_sumILi64Ei19rocblas_complex_numIfEPKPS1_S1_EviT1_lS5_lT2_lT0_lPT3_i.has_recursion, 0
	.set _ZL36rocblas_hemvn_kernel_lower_block_sumILi64Ei19rocblas_complex_numIfEPKPS1_S1_EviT1_lS5_lT2_lT0_lPT3_i.has_indirect_call, 0
	.section	.AMDGPU.csdata,"",@progbits
; Kernel info:
; codeLenInByte = 824
; TotalNumSgprs: 30
; NumVgprs: 11
; ScratchSize: 0
; MemoryBound: 0
; FloatMode: 240
; IeeeMode: 1
; LDSByteSize: 0 bytes/workgroup (compile time only)
; SGPRBlocks: 0
; VGPRBlocks: 1
; NumSGPRsForWavesPerEU: 30
; NumVGPRsForWavesPerEU: 11
; Occupancy: 16
; WaveLimiterHint : 1
; COMPUTE_PGM_RSRC2:SCRATCH_EN: 0
; COMPUTE_PGM_RSRC2:USER_SGPR: 2
; COMPUTE_PGM_RSRC2:TRAP_HANDLER: 0
; COMPUTE_PGM_RSRC2:TGID_X_EN: 1
; COMPUTE_PGM_RSRC2:TGID_Y_EN: 0
; COMPUTE_PGM_RSRC2:TGID_Z_EN: 1
; COMPUTE_PGM_RSRC2:TIDIG_COMP_CNT: 0
	.section	.text._ZL26rocblas_hemvn_kernel_upperILb1ELi64ELi4ELi33ELi32ELi16ElPK19rocblas_complex_numIdEPKS3_PS1_EviT6_lT7_lT5_lS8_lS9_lS7_lT8_i,"axG",@progbits,_ZL26rocblas_hemvn_kernel_upperILb1ELi64ELi4ELi33ELi32ELi16ElPK19rocblas_complex_numIdEPKS3_PS1_EviT6_lT7_lT5_lS8_lS9_lS7_lT8_i,comdat
	.globl	_ZL26rocblas_hemvn_kernel_upperILb1ELi64ELi4ELi33ELi32ELi16ElPK19rocblas_complex_numIdEPKS3_PS1_EviT6_lT7_lT5_lS8_lS9_lS7_lT8_i ; -- Begin function _ZL26rocblas_hemvn_kernel_upperILb1ELi64ELi4ELi33ELi32ELi16ElPK19rocblas_complex_numIdEPKS3_PS1_EviT6_lT7_lT5_lS8_lS9_lS7_lT8_i
	.p2align	8
	.type	_ZL26rocblas_hemvn_kernel_upperILb1ELi64ELi4ELi33ELi32ELi16ElPK19rocblas_complex_numIdEPKS3_PS1_EviT6_lT7_lT5_lS8_lS9_lS7_lT8_i,@function
_ZL26rocblas_hemvn_kernel_upperILb1ELi64ELi4ELi33ELi32ELi16ElPK19rocblas_complex_numIdEPKS3_PS1_EviT6_lT7_lT5_lS8_lS9_lS7_lT8_i: ; @_ZL26rocblas_hemvn_kernel_upperILb1ELi64ELi4ELi33ELi32ELi16ElPK19rocblas_complex_numIdEPKS3_PS1_EviT6_lT7_lT5_lS8_lS9_lS7_lT8_i
; %bb.0:
	s_clause 0x1
	s_load_b64 s[2:3], s[0:1], 0x84
	s_load_b32 s23, s[0:1], 0x70
	s_lshr_b32 s34, ttmp7, 16
	s_wait_kmcnt 0x0
	s_lshr_b32 s4, s2, 16
	s_and_b32 s2, s2, 0xffff
	s_and_b32 s3, s3, 0xffff
	s_mul_i32 s2, s4, s2
	s_delay_alu instid0(SALU_CYCLE_1) | instskip(NEXT) | instid1(SALU_CYCLE_1)
	s_mul_i32 s2, s2, s3
	s_cmp_lg_u32 s2, 0x100
	s_cselect_b32 s2, -1, 0
	s_cmp_ge_u32 s34, s23
	s_cselect_b32 s3, -1, 0
	s_delay_alu instid0(SALU_CYCLE_1) | instskip(NEXT) | instid1(SALU_CYCLE_1)
	s_or_b32 s2, s2, s3
	s_and_b32 vcc_lo, exec_lo, s2
	s_cbranch_vccnz .LBB48_188
; %bb.1:
	s_clause 0x1
	s_load_b32 s2, s[0:1], 0x0
	s_load_b128 s[40:43], s[0:1], 0x58
	s_add_nc_u64 s[6:7], s[0:1], 0x78
	v_bfe_u32 v14, v0, 10, 10
	s_clause 0x1
	s_load_b256 s[24:31], s[0:1], 0x8
	s_load_b64 s[44:45], s[0:1], 0x48
	s_load_b32 s46, s[6:7], 0x0
	s_clause 0x2
	s_load_b64 s[66:67], s[0:1], 0x28
	s_load_b128 s[36:39], s[0:1], 0x38
	s_load_b64 s[6:7], s[0:1], 0x68
	v_and_b32_e32 v181, 0x3ff, v0
	v_lshlrev_b32_e32 v19, 6, v14
	s_lshl_b32 s64, ttmp9, 6
	v_dual_mov_b32 v1, 0 :: v_dual_and_b32 v4, 31, v0
	s_delay_alu instid0(VALU_DEP_3) | instskip(NEXT) | instid1(VALU_DEP_3)
	v_add_nc_u32_e32 v2, s64, v181
	v_add_nc_u32_e32 v15, v19, v181
	s_mov_b32 s4, ttmp9
	s_delay_alu instid0(VALU_DEP_3) | instskip(NEXT) | instid1(VALU_DEP_3)
	v_dual_mov_b32 v5, v1 :: v_dual_lshlrev_b32 v20, 4, v4
	v_ashrrev_i32_e32 v3, 31, v2
	s_delay_alu instid0(VALU_DEP_3)
	v_lshrrev_b32_e32 v12, 5, v15
	s_mov_b32 s35, 0
	s_wait_kmcnt 0x0
	s_ashr_i32 s3, s2, 31
	v_lshl_or_b32 v18, v4, 9, v20
	s_lshr_b32 s0, s3, 26
	v_lshlrev_b32_e32 v17, 2, v12
	v_mad_co_u64_u32 v[8:9], null, s66, v12, v[4:5]
	s_add_co_i32 s0, s2, s0
	s_add_co_i32 s1, s46, -1
	s_and_not1_b32 s0, s0, 63
	v_mul_lo_u32 v10, s44, v3
	s_sub_co_i32 s33, s2, s0
	v_mul_lo_u32 v11, s45, v2
	v_mad_co_u64_u32 v[6:7], null, s44, v2, 0
	s_cmp_eq_u32 ttmp9, s1
	v_dual_mov_b32 v5, v9 :: v_dual_lshlrev_b32 v182, 4, v181
	s_cselect_b32 s48, s33, 0
	v_lshlrev_b32_e32 v21, 6, v12
	s_cmp_lg_u32 s48, 0
	v_add3_u32 v7, v7, v10, v11
	s_cselect_b32 s76, -1, 0
	s_cmp_eq_u32 s48, 0
	v_mad_co_u64_u32 v[9:10], null, s67, v12, v[5:6]
	v_add_nc_u32_e32 v5, 8, v12
	v_or_b32_e32 v22, 1, v17
	s_cselect_b32 s1, -1, 0
	s_ashr_i32 s5, ttmp9, 31
	v_add_nc_u32_e32 v13, 16, v12
	v_add_nc_u32_e32 v189, v18, v21
	v_or_b32_e32 v18, 2, v17
	v_add_nc_u32_e32 v194, 0x4700, v21
	v_add_nc_u32_e32 v21, 0x220, v19
	s_mul_u64 s[4:5], s[2:3], s[4:5]
	s_mov_b32 s47, s35
	s_sub_co_i32 s19, s48, 32
	s_lshl_b64 s[4:5], s[4:5], 4
	s_mul_u64 s[50:51], s[46:47], s[2:3]
	v_sub_co_u32 v10, s2, 0, v4
	v_cmp_le_i32_e64 s3, s48, v5
	v_add_nc_u32_e32 v16, 24, v12
	v_mul_u32_u24_e32 v24, 0x210, v22
	v_cmp_eq_u32_e64 s9, v22, v4
	v_mul_u32_u24_e32 v22, 33, v4
	v_cmp_le_i32_e64 s17, s19, v5
	v_lshrrev_b32_e32 v5, 4, v15
	v_cmp_gt_i32_e32 vcc_lo, s48, v181
	s_add_nc_u64 s[52:53], s[6:7], s[4:5]
	v_sub_co_ci_u32_e64 v11, null, 0, 0, s2
	v_mad_u32_u24 v184, 0x210, v12, v20
	v_cmp_le_i32_e64 s2, s48, v12
	v_cmp_le_i32_e64 s4, s48, v13
	v_mul_u32_u24_e32 v23, 0x840, v12
	v_cmp_le_u32_e64 s10, v18, v4
	v_cmp_eq_u32_e64 s11, v18, v4
	v_lshlrev_b32_e32 v18, 4, v12
	v_cmp_le_i32_e64 s16, s19, v12
	v_cmp_le_i32_e64 s18, s19, v13
	v_cmp_eq_u32_e64 s20, 1, v12
	v_mul_i32_i24_e32 v196, 0xffffffd0, v12
	v_mad_co_u64_u32 v[12:13], null, s66, v21, 0
	v_cmp_le_i32_e64 s5, s48, v16
	v_lshlrev_b32_e32 v192, 4, v22
	v_cmp_le_i32_e64 s19, s19, v16
	v_and_b32_e32 v16, 15, v0
	v_lshlrev_b32_e32 v22, 6, v5
	s_or_b32 s22, s1, vcc_lo
	s_add_co_i32 s21, ttmp9, 1
	s_xor_b32 s77, s22, -1
	s_ashr_i32 s65, s64, 31
	s_ashr_i32 s49, s48, 31
	s_lshl_b64 s[54:55], s[66:67], 7
	s_lshl_b64 s[56:57], s[66:67], 8
	s_lshl_b64 s[70:71], s[66:67], 5
	v_cmp_gt_u32_e64 s14, 32, v15
	s_cmp_lt_u32 s21, s46
	v_mad_u32_u24 v200, 0x430, v16, v22
	v_mul_i32_i24_e32 v22, 0xffffffd0, v5
	v_cmp_gt_u32_e64 s21, 64, v15
	v_mov_b32_e32 v5, v13
	v_mad_u32_u24 v13, 0x430, v14, v182
	v_add_nc_u32_e32 v15, 0x530, v19
	v_cmp_eq_u32_e64 s0, 0, v14
	v_lshlrev_b32_e32 v197, 2, v14
	v_mad_u32_u24 v199, 0x10c0, v14, v182
	v_lshlrev_b64_e32 v[173:174], 4, v[8:9]
	v_mad_co_u64_u32 v[8:9], null, s66, v15, 0
	v_lshlrev_b64_e32 v[2:3], 4, v[2:3]
	scratch_store_b32 off, v13, off         ; 4-byte Folded Spill
	v_mad_co_u64_u32 v[13:14], null, s67, v21, v[5:6]
	v_sub_co_u32 v12, vcc_lo, v12, v173
	v_add_nc_u32_e32 v236, 0x1080, v184
	v_cmp_le_u32_e64 s6, v17, v4
	v_cmp_eq_u32_e64 s7, v17, v4
	v_cmp_ge_u32_e64 s8, v17, v4
	v_sub_co_ci_u32_e64 v5, null, v13, v174, vcc_lo
	v_sub_co_u32 v8, vcc_lo, v8, v173
	v_or_b32_e32 v17, 3, v17
	v_or_b32_e32 v25, 0xf0, v182
	v_add_nc_u32_e32 v21, 0x500, v19
	s_delay_alu instid0(VALU_DEP_4)
	v_or_b32_e32 v8, 8, v8
	scratch_store_b32 off, v5, off offset:4 ; 4-byte Folded Spill
	v_mov_b32_e32 v5, v9
	v_or_b32_e32 v9, 8, v12
	v_cmp_le_u32_e64 s12, v17, v4
	v_cmp_eq_u32_e64 s13, v17, v4
	v_or_b32_e32 v17, 32, v4
	v_mad_co_u64_u32 v[12:13], null, s67, v15, v[5:6]
	v_mad_u32_u24 v202, 0x430, v16, v25
	scratch_store_b32 off, v8, off offset:16 ; 4-byte Folded Spill
	v_cmp_gt_i32_e64 s15, s48, v17
	v_and_b32_e32 v17, 48, v0
	v_add_nc_u32_e32 v195, v192, v18
	v_add_nc_u32_e32 v204, 0x4700, v18
	s_wait_alu 0xfffd
	v_sub_co_ci_u32_e64 v5, null, v12, v174, vcc_lo
	scratch_store_b32 off, v9, off offset:8 ; 4-byte Folded Spill
	v_add_nc_u32_e32 v9, 0x210, v19
	v_lshlrev_b32_e32 v17, 4, v17
	scratch_store_b32 off, v5, off offset:12 ; 4-byte Folded Spill
	s_cselect_b32 s47, -1, 0
	s_and_b32 s79, s0, s22
	v_mad_co_u64_u32 v[13:14], null, s66, v9, 0
	v_mad_u32_u24 v201, 0x430, v16, v17
	v_mad_co_u64_u32 v[15:16], null, s66, v21, 0
	s_wait_alu 0xfffe
	s_mul_u64 s[60:61], s[44:45], s[64:65]
	v_lshlrev_b64_e32 v[185:186], 4, v[6:7]
	v_lshlrev_b64_e32 v[179:180], 4, v[10:11]
	v_dual_mov_b32 v5, v14 :: v_dual_add_nc_u32 v14, 0x200, v19
	v_cmp_gt_i32_e64 s1, s48, v4
	v_dual_mov_b32 v8, v16 :: v_dual_add_nc_u32 v203, 0x2100, v184
	s_delay_alu instid0(VALU_DEP_3) | instskip(SKIP_2) | instid1(VALU_DEP_4)
	v_mad_co_u64_u32 v[16:17], null, s67, v9, v[5:6]
	v_sub_co_u32 v5, vcc_lo, v13, v173
	v_mad_co_u64_u32 v[17:18], null, s66, v14, 0
	v_mad_co_u64_u32 v[8:9], null, s67, v21, v[8:9]
	scratch_store_b32 off, v5, off offset:20 ; 4-byte Folded Spill
	s_wait_alu 0xfffd
	v_sub_co_ci_u32_e64 v5, null, v16, v174, vcc_lo
	v_sub_co_u32 v15, vcc_lo, v15, v173
	v_add_nc_u32_e32 v21, 0x510, v19
	s_wait_alu 0xfffd
	v_sub_co_ci_u32_e64 v8, null, v8, v174, vcc_lo
	scratch_store_b32 off, v5, off offset:24 ; 4-byte Folded Spill
	v_mov_b32_e32 v5, v18
	v_mad_co_u64_u32 v[12:13], null, s66, v21, 0
	scratch_store_b32 off, v8, off offset:28 ; 4-byte Folded Spill
	v_add_nc_u32_e32 v16, 0x230, v19
	v_mad_co_u64_u32 v[8:9], null, s67, v14, v[5:6]
	v_or_b32_e32 v5, 8, v15
	v_sub_co_u32 v9, vcc_lo, v17, v173
	v_add_nc_u32_e32 v187, 0x3180, v184
	v_mad_u32_u24 v188, 0x210, v4, v20
	scratch_store_b32 off, v5, off offset:32 ; 4-byte Folded Spill
	v_mov_b32_e32 v5, v13
	v_mad_co_u64_u32 v[13:14], null, s66, v16, 0
	s_wait_alu 0xfffd
	v_sub_co_ci_u32_e64 v8, null, v8, v174, vcc_lo
	scratch_store_b32 off, v9, off offset:36 ; 4-byte Folded Spill
	v_sub_co_u32 v12, vcc_lo, v12, v173
	scratch_store_b32 off, v8, off offset:40 ; 4-byte Folded Spill
	v_mad_co_u64_u32 v[8:9], null, s67, v21, v[5:6]
	v_mov_b32_e32 v5, v14
	v_add_nc_u32_e32 v9, 0x520, v19
	v_add_nc_u32_e32 v21, 0x320, v19
	;; [unrolled: 1-line block ×4, first 2 shown]
	v_mad_co_u64_u32 v[16:17], null, s67, v16, v[5:6]
	s_wait_alu 0xfffd
	v_sub_co_ci_u32_e64 v5, null, v8, v174, vcc_lo
	v_mad_co_u64_u32 v[14:15], null, s66, v9, 0
	v_sub_co_u32 v8, vcc_lo, v13, v173
	scratch_store_b32 off, v5, off offset:44 ; 4-byte Folded Spill
	v_or_b32_e32 v5, 8, v12
	v_mad_co_u64_u32 v[17:18], null, s66, v21, 0
	scratch_store_b32 off, v8, off offset:52 ; 4-byte Folded Spill
	s_wait_alu 0xfffd
	v_sub_co_ci_u32_e64 v8, null, v16, v174, vcc_lo
	scratch_store_b32 off, v5, off offset:48 ; 4-byte Folded Spill
	v_dual_mov_b32 v5, v15 :: v_dual_lshlrev_b32 v238, 4, v4
	v_add_nc_u32_e32 v239, v20, v23
	v_add_nc_u32_e32 v240, v20, v24
	s_mul_u64 s[68:69], s[66:67], s[64:65]
	s_delay_alu instid0(VALU_DEP_3)
	v_mad_co_u64_u32 v[12:13], null, s67, v9, v[5:6]
	v_sub_co_u32 v5, vcc_lo, v14, v173
	scratch_store_b32 off, v8, off offset:56 ; 4-byte Folded Spill
	v_mov_b32_e32 v8, v18
	v_add_nc_u32_e32 v18, 0x430, v19
	scratch_store_b32 off, v5, off offset:60 ; 4-byte Folded Spill
	s_wait_alu 0xfffd
	v_sub_co_ci_u32_e64 v5, null, v12, v174, vcc_lo
	v_mad_co_u64_u32 v[8:9], null, s67, v21, v[8:9]
	v_mad_co_u64_u32 v[15:16], null, s66, v18, 0
	v_sub_co_u32 v17, vcc_lo, v17, v173
	scratch_store_b32 off, v5, off offset:64 ; 4-byte Folded Spill
	v_add_nc_u32_e32 v0, 0x4300, v182
	s_wait_alu 0xfffd
	v_sub_co_ci_u32_e64 v5, null, v8, v174, vcc_lo
	v_add_nc_u32_e32 v21, 0x310, v19
	v_sub_co_u32 v15, vcc_lo, v15, v173
	scratch_store_b32 off, v5, off offset:68 ; 4-byte Folded Spill
	v_mov_b32_e32 v5, v16
	v_mad_co_u64_u32 v[8:9], null, s66, v21, 0
	v_add_nc_u32_e32 v16, 0x400, v19
	s_sub_nc_u64 s[72:73], 0, s[60:61]
	s_delay_alu instid0(VALU_DEP_3) | instskip(SKIP_1) | instid1(VALU_DEP_3)
	v_mad_co_u64_u32 v[12:13], null, s67, v18, v[5:6]
	v_or_b32_e32 v5, 8, v17
	v_mad_co_u64_u32 v[13:14], null, s66, v16, 0
	v_add_nc_u32_e32 v198, 0x4300, v19
	v_add_nc_u32_e32 v18, 0x300, v19
	scratch_store_b32 off, v5, off offset:72 ; 4-byte Folded Spill
	v_mov_b32_e32 v5, v9
	s_wait_alu 0xfffd
	v_sub_co_ci_u32_e64 v9, null, v12, v174, vcc_lo
	s_mul_u64 s[58:59], s[66:67], 0x180
	s_add_co_i32 s78, s46, -2
	s_sub_nc_u64 s[60:61], 0, s[48:49]
	scratch_store_b32 off, v9, off offset:76 ; 4-byte Folded Spill
	v_or_b32_e32 v9, 8, v15
	s_add_co_i32 s80, s64, 64
	s_lshl_b64 s[62:63], s[66:67], 10
	s_lshl_b64 s[38:39], s[38:39], 4
	;; [unrolled: 1-line block ×3, first 2 shown]
	scratch_store_b32 off, v9, off offset:80 ; 4-byte Folded Spill
	v_mov_b32_e32 v9, v14
	v_mad_co_u64_u32 v[14:15], null, s67, v21, v[5:6]
	v_sub_co_u32 v5, s22, v8, v173
	s_delay_alu instid0(VALU_DEP_3) | instskip(SKIP_3) | instid1(VALU_DEP_3)
	v_mad_co_u64_u32 v[15:16], null, s67, v16, v[9:10]
	v_add_nc_u32_e32 v9, 0x410, v19
	v_mad_co_u64_u32 v[16:17], null, s66, v18, 0
	v_sub_co_u32 v21, vcc_lo, v13, v173
	v_mad_co_u64_u32 v[12:13], null, s66, v9, 0
	s_wait_alu 0xfffd
	v_sub_co_ci_u32_e64 v8, null, v15, v174, vcc_lo
	scratch_store_b32 off, v5, off offset:84 ; 4-byte Folded Spill
	v_sub_co_ci_u32_e64 v5, null, v14, v174, s22
	scratch_store_b32 off, v8, off offset:92 ; 4-byte Folded Spill
	v_or_b32_e32 v8, 8, v21
	v_add_nc_u32_e32 v21, 0x330, v19
	scratch_store_b32 off, v5, off offset:88 ; 4-byte Folded Spill
	v_mov_b32_e32 v5, v17
	v_add_nc_u32_e32 v19, 0x420, v19
	scratch_store_b32 off, v8, off offset:96 ; 4-byte Folded Spill
	v_mov_b32_e32 v8, v13
	s_lshl_b64 s[64:65], s[64:65], 4
	v_mad_co_u64_u32 v[13:14], null, s67, v18, v[5:6]
	v_sub_co_u32 v5, vcc_lo, v16, v173
	s_delay_alu instid0(VALU_DEP_3)
	v_mad_co_u64_u32 v[8:9], null, s67, v9, v[8:9]
	v_mad_co_u64_u32 v[14:15], null, s66, v21, 0
	scratch_store_b32 off, v5, off offset:100 ; 4-byte Folded Spill
	s_wait_alu 0xfffd
	v_sub_co_ci_u32_e64 v5, null, v13, v174, vcc_lo
	v_mad_co_u64_u32 v[17:18], null, s66, v19, 0
	v_sub_co_u32 v9, vcc_lo, v12, v173
	s_wait_alu 0xfffd
	v_sub_co_ci_u32_e64 v8, null, v8, v174, vcc_lo
	scratch_store_b32 off, v5, off offset:104 ; 4-byte Folded Spill
	v_mov_b32_e32 v5, v15
	v_add_nc_u32_e32 v183, 0x4700, v182
	v_or_b32_e32 v9, 8, v9
	scratch_store_b32 off, v8, off offset:108 ; 4-byte Folded Spill
	v_mov_b32_e32 v8, v18
	v_mad_co_u64_u32 v[12:13], null, s67, v21, v[5:6]
	v_sub_co_u32 v5, vcc_lo, v17, v173
	scratch_store_b64 off, v[2:3], off offset:132 ; 8-byte Folded Spill
	v_or_b32_e32 v5, 8, v5
	scratch_store_b32 off, v9, off offset:112 ; 4-byte Folded Spill
	v_mad_co_u64_u32 v[8:9], null, s67, v19, v[8:9]
	v_sub_co_u32 v9, s22, v14, v173
	s_lshl_b64 s[66:67], s[68:69], 4
	s_lshl_b64 s[68:69], s[70:71], 4
	;; [unrolled: 1-line block ×3, first 2 shown]
	scratch_store_b32 off, v5, off offset:128 ; 4-byte Folded Spill
	s_wait_alu 0xfffd
	v_sub_co_ci_u32_e64 v8, null, v8, v174, vcc_lo
	scratch_store_b32 off, v9, off offset:116 ; 4-byte Folded Spill
	s_wait_alu 0xf1ff
	v_sub_co_ci_u32_e64 v9, null, v12, v174, s22
	s_clause 0x1
	scratch_store_b32 off, v8, off offset:124
	scratch_store_b32 off, v9, off offset:120
	s_branch .LBB48_4
.LBB48_2:                               ;   in Loop: Header=BB48_4 Depth=1
	s_wait_alu 0xfffe
	s_or_b32 exec_lo, exec_lo, s22
.LBB48_3:                               ;   in Loop: Header=BB48_4 Depth=1
	s_add_co_i32 s34, s34, 0x10000
	s_delay_alu instid0(SALU_CYCLE_1)
	s_cmp_lt_u32 s34, s23
	s_cbranch_scc0 .LBB48_188
.LBB48_4:                               ; =>This Loop Header: Depth=1
                                        ;     Child Loop BB48_112 Depth 2
	s_mul_u64 s[72:73], s[26:27], s[34:35]
	s_wait_alu 0xfffe
	s_lshl_b64 s[72:73], s[72:73], 4
	s_wait_alu 0xfffe
	s_add_nc_u64 s[72:73], s[24:25], s[72:73]
	global_load_b128 v[2:5], v1, s[72:73]
	s_wait_loadcnt 0x0
	v_cmp_neq_f64_e32 vcc_lo, 0, v[2:3]
	v_cmp_neq_f64_e64 s22, 0, v[4:5]
	s_or_b32 s22, vcc_lo, s22
	s_wait_alu 0xfffe
	s_and_b32 vcc_lo, exec_lo, s22
	s_mov_b32 s22, -1
	s_wait_alu 0xfffe
	s_cbranch_vccz .LBB48_6
; %bb.5:                                ;   in Loop: Header=BB48_4 Depth=1
	s_and_not1_b32 vcc_lo, exec_lo, s22
	s_wait_alu 0xfffe
	s_cbranch_vccnz .LBB48_3
	s_branch .LBB48_7
.LBB48_6:                               ;   in Loop: Header=BB48_4 Depth=1
	s_mul_u64 s[72:73], s[42:43], s[34:35]
	s_wait_alu 0xfffe
	s_lshl_b64 s[72:73], s[72:73], 4
	s_wait_alu 0xfffe
	s_add_nc_u64 s[72:73], s[40:41], s[72:73]
	global_load_b128 v[2:5], v1, s[72:73]
	s_wait_loadcnt 0x0
	v_cmp_eq_f64_e32 vcc_lo, 1.0, v[2:3]
	v_cmp_eq_f64_e64 s22, 0, v[4:5]
	s_and_b32 s22, vcc_lo, s22
	s_wait_alu 0xfffe
	s_and_not1_b32 vcc_lo, exec_lo, s22
	s_cbranch_execnz .LBB48_3
.LBB48_7:                               ;   in Loop: Header=BB48_4 Depth=1
	s_lshl_b64 s[72:73], s[34:35], 3
	s_wait_alu 0xfffe
	s_add_nc_u64 s[74:75], s[36:37], s[72:73]
	s_add_nc_u64 s[72:73], s[28:29], s[72:73]
	s_clause 0x1
	global_load_b64 v[2:3], v1, s[74:75]
	global_load_b64 v[5:6], v1, s[72:73]
	s_wait_loadcnt 0x1
	v_add_co_u32 v2, vcc_lo, v2, s38
	s_wait_alu 0xfffd
	v_add_co_ci_u32_e64 v3, null, s39, v3, vcc_lo
	s_delay_alu instid0(VALU_DEP_2) | instskip(SKIP_1) | instid1(VALU_DEP_2)
	v_add_co_u32 v41, vcc_lo, v2, v185
	s_wait_alu 0xfffd
	v_add_co_ci_u32_e64 v42, null, v3, v186, vcc_lo
	s_and_saveexec_b32 s22, s0
	s_cbranch_execz .LBB48_12
; %bb.8:                                ;   in Loop: Header=BB48_4 Depth=1
	s_and_saveexec_b32 s72, s77
	s_wait_alu 0xfffe
	s_xor_b32 s72, exec_lo, s72
; %bb.9:                                ;   in Loop: Header=BB48_4 Depth=1
	v_dual_mov_b32 v2, v1 :: v_dual_mov_b32 v3, v1
	v_mov_b32_e32 v4, v1
	ds_store_b128 v183, v[1:4]
; %bb.10:                               ;   in Loop: Header=BB48_4 Depth=1
	s_wait_alu 0xfffe
	s_and_not1_saveexec_b32 s72, s72
	s_cbranch_execz .LBB48_12
; %bb.11:                               ;   in Loop: Header=BB48_4 Depth=1
	flat_load_b128 v[7:10], v[41:42]
	s_wait_loadcnt_dscnt 0x0
	ds_store_2addr_b64 v183, v[7:8], v[9:10] offset1:1
.LBB48_12:                              ;   in Loop: Header=BB48_4 Depth=1
	s_wait_alu 0xfffe
	s_or_b32 exec_lo, exec_lo, s22
	s_wait_loadcnt 0x0
	v_add_co_u32 v2, vcc_lo, v5, s30
	s_wait_alu 0xfffd
	v_add_co_ci_u32_e64 v3, null, s31, v6, vcc_lo
	s_mov_b32 s22, -1
	v_add_co_u32 v2, vcc_lo, v2, s64
	s_wait_alu 0xfffd
	v_add_co_ci_u32_e64 v3, null, s65, v3, vcc_lo
                                        ; implicit-def: $vgpr9_vgpr10
	s_delay_alu instid0(VALU_DEP_2) | instskip(SKIP_1) | instid1(VALU_DEP_2)
	v_add_co_u32 v2, vcc_lo, v2, v173
	s_wait_alu 0xfffd
	v_add_co_ci_u32_e64 v3, null, v3, v174, vcc_lo
	s_delay_alu instid0(VALU_DEP_2) | instskip(SKIP_1) | instid1(VALU_DEP_2)
	v_add_co_u32 v5, vcc_lo, v2, s66
	s_wait_alu 0xfffd
	v_add_co_ci_u32_e64 v6, null, s67, v3, vcc_lo
	s_and_b32 vcc_lo, exec_lo, s76
	s_wait_alu 0xfffe
	s_cbranch_vccz .LBB48_24
; %bb.13:                               ;   in Loop: Header=BB48_4 Depth=1
	s_and_saveexec_b32 s22, s2
	s_wait_alu 0xfffe
	s_xor_b32 s22, exec_lo, s22
; %bb.14:                               ;   in Loop: Header=BB48_4 Depth=1
	v_dual_mov_b32 v2, v1 :: v_dual_mov_b32 v3, v1
	v_mov_b32_e32 v4, v1
	ds_store_b128 v184, v[1:4]
; %bb.15:                               ;   in Loop: Header=BB48_4 Depth=1
	s_wait_alu 0xfffe
	s_or_saveexec_b32 s22, s22
	v_add_co_u32 v2, vcc_lo, v5, v179
	s_wait_alu 0xfffd
	v_add_co_ci_u32_e64 v3, null, v6, v180, vcc_lo
	s_lshl_b64 s[72:73], s[48:49], 4
	s_wait_alu 0xfffe
	v_add_co_u32 v2, vcc_lo, v2, s72
	s_wait_alu 0xfffd
	v_add_co_ci_u32_e64 v3, null, s73, v3, vcc_lo
	s_delay_alu instid0(VALU_DEP_2) | instskip(SKIP_1) | instid1(VALU_DEP_2)
	v_add_co_u32 v2, vcc_lo, v2, -16
	s_wait_alu 0xfffd
	v_add_co_ci_u32_e64 v3, null, -1, v3, vcc_lo
	s_delay_alu instid0(VALU_DEP_2) | instskip(NEXT) | instid1(VALU_DEP_2)
	v_cndmask_b32_e64 v7, v2, v5, s1
	v_cndmask_b32_e64 v8, v3, v6, s1
	s_xor_b32 exec_lo, exec_lo, s22
	s_cbranch_execnz .LBB48_170
; %bb.16:                               ;   in Loop: Header=BB48_4 Depth=1
	s_or_b32 exec_lo, exec_lo, s22
	s_and_saveexec_b32 s22, s3
	s_wait_alu 0xfffe
	s_xor_b32 s22, exec_lo, s22
	s_cbranch_execnz .LBB48_171
.LBB48_17:                              ;   in Loop: Header=BB48_4 Depth=1
	s_wait_alu 0xfffe
	s_and_not1_saveexec_b32 s22, s22
	s_cbranch_execnz .LBB48_172
.LBB48_18:                              ;   in Loop: Header=BB48_4 Depth=1
	s_wait_alu 0xfffe
	s_or_b32 exec_lo, exec_lo, s22
	s_and_saveexec_b32 s22, s4
	s_wait_alu 0xfffe
	s_xor_b32 s22, exec_lo, s22
	s_cbranch_execnz .LBB48_173
.LBB48_19:                              ;   in Loop: Header=BB48_4 Depth=1
	s_wait_alu 0xfffe
	s_and_not1_saveexec_b32 s22, s22
	s_cbranch_execnz .LBB48_174
.LBB48_20:                              ;   in Loop: Header=BB48_4 Depth=1
	s_wait_alu 0xfffe
	s_or_b32 exec_lo, exec_lo, s22
	s_and_saveexec_b32 s22, s5
	s_wait_alu 0xfffe
	s_xor_b32 s22, exec_lo, s22
	s_cbranch_execnz .LBB48_175
.LBB48_21:                              ;   in Loop: Header=BB48_4 Depth=1
	s_wait_alu 0xfffe
	s_and_not1_saveexec_b32 s22, s22
	s_cbranch_execz .LBB48_23
.LBB48_22:                              ;   in Loop: Header=BB48_4 Depth=1
	v_add_co_u32 v2, vcc_lo, v7, s58
	s_wait_alu 0xfffd
	v_add_co_ci_u32_e64 v3, null, s59, v8, vcc_lo
	flat_load_b128 v[9:12], v[2:3]
	s_wait_loadcnt_dscnt 0x0
	ds_store_2addr_b64 v187, v[9:10], v[11:12] offset1:1
.LBB48_23:                              ;   in Loop: Header=BB48_4 Depth=1
	s_wait_alu 0xfffe
	s_or_b32 exec_lo, exec_lo, s22
	v_add_co_u32 v2, vcc_lo, v7, v238
	s_wait_alu 0xfffd
	v_add_co_ci_u32_e64 v3, null, 0, v8, vcc_lo
	s_lshl_b64 s[72:73], s[60:61], 4
	s_mov_b32 s22, 0
	s_wait_alu 0xfffe
	v_add_co_u32 v2, vcc_lo, v2, s72
	s_wait_alu 0xfffd
	v_add_co_ci_u32_e64 v3, null, s73, v3, vcc_lo
	s_delay_alu instid0(VALU_DEP_2) | instskip(SKIP_1) | instid1(VALU_DEP_2)
	v_add_co_u32 v2, vcc_lo, v2, 16
	s_wait_alu 0xfffd
	v_add_co_ci_u32_e64 v3, null, 0, v3, vcc_lo
	s_delay_alu instid0(VALU_DEP_2) | instskip(NEXT) | instid1(VALU_DEP_2)
	v_cndmask_b32_e64 v9, v2, v5, s1
	v_cndmask_b32_e64 v10, v3, v6, s1
.LBB48_24:                              ;   in Loop: Header=BB48_4 Depth=1
	s_and_b32 vcc_lo, exec_lo, s22
	s_wait_alu 0xfffe
	s_cbranch_vccz .LBB48_26
; %bb.25:                               ;   in Loop: Header=BB48_4 Depth=1
	flat_load_b128 v[7:10], v[5:6]
	v_add_co_u32 v2, vcc_lo, v5, s54
	s_wait_alu 0xfffd
	v_add_co_ci_u32_e64 v3, null, s55, v6, vcc_lo
	s_wait_loadcnt_dscnt 0x0
	ds_store_2addr_b64 v184, v[7:8], v[9:10] offset1:1
	flat_load_b128 v[7:10], v[2:3]
	v_add_co_u32 v2, vcc_lo, v2, s54
	s_wait_alu 0xfffd
	v_add_co_ci_u32_e64 v3, null, s55, v3, vcc_lo
	s_wait_loadcnt_dscnt 0x0
	ds_store_2addr_b64 v236, v[7:8], v[9:10] offset1:1
	;; [unrolled: 6-line block ×3, first 2 shown]
	flat_load_b128 v[11:14], v[2:3]
	v_dual_mov_b32 v10, v6 :: v_dual_mov_b32 v9, v5
	s_wait_loadcnt_dscnt 0x0
	ds_store_2addr_b64 v187, v[11:12], v[13:14] offset1:1
.LBB48_26:                              ;   in Loop: Header=BB48_4 Depth=1
	s_mov_b32 s22, 0
	s_wait_storecnt_dscnt 0x0
	s_barrier_signal -1
	s_barrier_wait -1
	global_inv scope:SCOPE_SE
	s_and_saveexec_b32 s72, s6
	s_wait_alu 0xfffe
	s_xor_b32 s72, exec_lo, s72
; %bb.27:                               ;   in Loop: Header=BB48_4 Depth=1
	s_and_b32 s22, s7, exec_lo
; %bb.28:                               ;   in Loop: Header=BB48_4 Depth=1
	s_wait_alu 0xfffe
	s_or_saveexec_b32 s72, s72
	v_mov_b32_e32 v4, 0
	v_dual_mov_b32 v5, 0 :: v_dual_mov_b32 v6, v188
	s_wait_alu 0xfffe
	s_xor_b32 exec_lo, exec_lo, s72
	s_cbranch_execz .LBB48_30
; %bb.29:                               ;   in Loop: Header=BB48_4 Depth=1
	ds_load_b128 v[2:5], v239
	v_mov_b32_e32 v6, v189
	s_or_b32 s22, s22, exec_lo
	s_wait_dscnt 0x0
	v_xor_b32_e32 v5, 0x80000000, v5
	ds_store_b64 v189, v[2:3]
.LBB48_30:                              ;   in Loop: Header=BB48_4 Depth=1
	s_or_b32 exec_lo, exec_lo, s72
	s_wait_alu 0xfffe
	s_and_saveexec_b32 s72, s22
; %bb.31:                               ;   in Loop: Header=BB48_4 Depth=1
	ds_store_b64 v6, v[4:5] offset:8
; %bb.32:                               ;   in Loop: Header=BB48_4 Depth=1
	s_wait_alu 0xfffe
	s_or_b32 exec_lo, exec_lo, s72
	s_mov_b32 s22, 0
                                        ; implicit-def: $vgpr4_vgpr5
	s_and_saveexec_b32 s72, s8
	s_wait_alu 0xfffe
	s_xor_b32 s72, exec_lo, s72
	s_cbranch_execnz .LBB48_166
; %bb.33:                               ;   in Loop: Header=BB48_4 Depth=1
	s_wait_alu 0xfffe
	s_or_saveexec_b32 s72, s72
	v_mov_b32_e32 v2, v193
	s_wait_alu 0xfffe
	s_xor_b32 exec_lo, exec_lo, s72
	s_cbranch_execnz .LBB48_167
.LBB48_34:                              ;   in Loop: Header=BB48_4 Depth=1
	s_or_b32 exec_lo, exec_lo, s72
	s_and_saveexec_b32 s72, s22
.LBB48_35:                              ;   in Loop: Header=BB48_4 Depth=1
	ds_store_b64 v2, v[4:5] offset:8
.LBB48_36:                              ;   in Loop: Header=BB48_4 Depth=1
	s_wait_alu 0xfffe
	s_or_b32 exec_lo, exec_lo, s72
	s_mov_b32 s22, 0
	s_and_saveexec_b32 s72, s10
	s_wait_alu 0xfffe
	s_xor_b32 s72, exec_lo, s72
; %bb.37:                               ;   in Loop: Header=BB48_4 Depth=1
	s_and_b32 s22, s11, exec_lo
; %bb.38:                               ;   in Loop: Header=BB48_4 Depth=1
	s_wait_alu 0xfffe
	s_or_saveexec_b32 s72, s72
	v_mov_b32_e32 v4, 0
	v_dual_mov_b32 v5, 0 :: v_dual_mov_b32 v6, v188
	s_wait_alu 0xfffe
	s_xor_b32 exec_lo, exec_lo, s72
	s_cbranch_execz .LBB48_40
; %bb.39:                               ;   in Loop: Header=BB48_4 Depth=1
	ds_load_b128 v[2:5], v240 offset:528
	v_add_nc_u32_e32 v7, 32, v189
	s_or_b32 s22, s22, exec_lo
	s_delay_alu instid0(VALU_DEP_1)
	v_mov_b32_e32 v6, v7
	s_wait_dscnt 0x0
	v_xor_b32_e32 v5, 0x80000000, v5
	ds_store_b64 v7, v[2:3]
.LBB48_40:                              ;   in Loop: Header=BB48_4 Depth=1
	s_or_b32 exec_lo, exec_lo, s72
	s_wait_alu 0xfffe
	s_and_saveexec_b32 s72, s22
; %bb.41:                               ;   in Loop: Header=BB48_4 Depth=1
	ds_store_b64 v6, v[4:5] offset:8
; %bb.42:                               ;   in Loop: Header=BB48_4 Depth=1
	s_wait_alu 0xfffe
	s_or_b32 exec_lo, exec_lo, s72
	s_mov_b32 s22, 0
	s_and_saveexec_b32 s72, s12
	s_wait_alu 0xfffe
	s_xor_b32 s72, exec_lo, s72
; %bb.43:                               ;   in Loop: Header=BB48_4 Depth=1
	s_and_b32 s22, s13, exec_lo
; %bb.44:                               ;   in Loop: Header=BB48_4 Depth=1
	s_wait_alu 0xfffe
	s_or_saveexec_b32 s72, s72
	v_mov_b32_e32 v4, 0
	v_dual_mov_b32 v5, 0 :: v_dual_mov_b32 v6, v188
	s_wait_alu 0xfffe
	s_xor_b32 exec_lo, exec_lo, s72
	s_cbranch_execz .LBB48_46
; %bb.45:                               ;   in Loop: Header=BB48_4 Depth=1
	ds_load_b128 v[2:5], v240 offset:1056
	v_add_nc_u32_e32 v7, 48, v189
	s_or_b32 s22, s22, exec_lo
	s_delay_alu instid0(VALU_DEP_1)
	v_mov_b32_e32 v6, v7
	s_wait_dscnt 0x0
	v_xor_b32_e32 v5, 0x80000000, v5
	ds_store_b64 v7, v[2:3]
.LBB48_46:                              ;   in Loop: Header=BB48_4 Depth=1
	s_or_b32 exec_lo, exec_lo, s72
	s_wait_alu 0xfffe
	s_and_saveexec_b32 s72, s22
; %bb.47:                               ;   in Loop: Header=BB48_4 Depth=1
	ds_store_b64 v6, v[4:5] offset:8
; %bb.48:                               ;   in Loop: Header=BB48_4 Depth=1
	s_wait_alu 0xfffe
	s_or_b32 exec_lo, exec_lo, s72
	s_wait_loadcnt_dscnt 0x0
	s_barrier_signal -1
	s_barrier_wait -1
	global_inv scope:SCOPE_SE
	ds_load_b128 v[2:5], v239
	ds_load_b128 v[11:14], v194
	ds_load_b128 v[15:18], v194 offset:16
	ds_load_b128 v[19:22], v240 offset:1056
	s_wait_dscnt 0x2
	v_mul_f64_e32 v[27:28], v[13:14], v[4:5]
	v_mul_f64_e32 v[29:30], v[11:12], v[4:5]
	ds_load_b128 v[4:7], v240
	ds_load_b128 v[23:26], v240 offset:528
	s_wait_dscnt 0x1
	v_mul_f64_e32 v[31:32], v[17:18], v[6:7]
	v_mul_f64_e32 v[6:7], v[15:16], v[6:7]
	v_fma_f64 v[33:34], v[11:12], v[2:3], -v[27:28]
	v_fma_f64 v[2:3], v[13:14], v[2:3], v[29:30]
	ds_load_b128 v[11:14], v194 offset:32
	ds_load_b128 v[27:30], v194 offset:48
	s_wait_loadcnt_dscnt 0x0
	s_barrier_signal -1
	s_barrier_wait -1
	global_inv scope:SCOPE_SE
	v_mul_f64_e32 v[35:36], v[13:14], v[25:26]
	v_mul_f64_e32 v[25:26], v[11:12], v[25:26]
	v_fma_f64 v[15:16], v[15:16], v[4:5], -v[31:32]
	v_fma_f64 v[4:5], v[17:18], v[4:5], v[6:7]
	v_mul_f64_e32 v[17:18], v[29:30], v[21:22]
	v_mul_f64_e32 v[21:22], v[27:28], v[21:22]
	v_add_f64_e32 v[6:7], 0, v[33:34]
	v_add_f64_e32 v[2:3], 0, v[2:3]
	v_fma_f64 v[11:12], v[11:12], v[23:24], -v[35:36]
	v_fma_f64 v[13:14], v[13:14], v[23:24], v[25:26]
	s_delay_alu instid0(VALU_DEP_4) | instskip(NEXT) | instid1(VALU_DEP_4)
	v_add_f64_e32 v[6:7], v[6:7], v[15:16]
	v_add_f64_e32 v[2:3], v[2:3], v[4:5]
	v_fma_f64 v[4:5], v[27:28], v[19:20], -v[17:18]
	v_fma_f64 v[15:16], v[29:30], v[19:20], v[21:22]
	s_delay_alu instid0(VALU_DEP_4) | instskip(NEXT) | instid1(VALU_DEP_4)
	v_add_f64_e32 v[6:7], v[6:7], v[11:12]
	v_add_f64_e32 v[2:3], v[2:3], v[13:14]
	s_delay_alu instid0(VALU_DEP_2) | instskip(NEXT) | instid1(VALU_DEP_2)
	v_add_f64_e32 v[11:12], v[6:7], v[4:5]
	v_add_f64_e32 v[13:14], v[2:3], v[15:16]
	v_mov_b32_e32 v5, 0
	v_dual_mov_b32 v6, 0 :: v_dual_mov_b32 v7, 0
	v_mov_b32_e32 v8, 0
	ds_store_b128 v195, v[11:14]
	s_wait_loadcnt_dscnt 0x0
	s_barrier_signal -1
	s_barrier_wait -1
	global_inv scope:SCOPE_SE
	s_and_saveexec_b32 s22, s14
	s_cbranch_execz .LBB48_50
; %bb.49:                               ;   in Loop: Header=BB48_4 Depth=1
	ds_load_b128 v[2:5], v192
	ds_load_b128 v[11:14], v192 offset:16
	s_wait_dscnt 0x0
	v_add_f64_e32 v[6:7], v[11:12], v[2:3]
	v_add_f64_e32 v[15:16], v[13:14], v[4:5]
	ds_load_b128 v[2:5], v192 offset:32
	ds_load_b128 v[11:14], v192 offset:48
	s_wait_dscnt 0x1
	v_add_f64_e32 v[2:3], v[6:7], v[2:3]
	v_add_f64_e32 v[4:5], v[15:16], v[4:5]
	s_wait_dscnt 0x0
	s_delay_alu instid0(VALU_DEP_2) | instskip(NEXT) | instid1(VALU_DEP_2)
	v_add_f64_e32 v[6:7], v[2:3], v[11:12]
	v_add_f64_e32 v[15:16], v[4:5], v[13:14]
	ds_load_b128 v[2:5], v192 offset:64
	ds_load_b128 v[11:14], v192 offset:80
	s_wait_dscnt 0x1
	v_add_f64_e32 v[2:3], v[6:7], v[2:3]
	v_add_f64_e32 v[4:5], v[15:16], v[4:5]
	s_wait_dscnt 0x0
	s_delay_alu instid0(VALU_DEP_2) | instskip(NEXT) | instid1(VALU_DEP_2)
	;; [unrolled: 9-line block ×3, first 2 shown]
	v_add_f64_e32 v[5:6], v[2:3], v[11:12]
	v_add_f64_e32 v[7:8], v[7:8], v[13:14]
.LBB48_50:                              ;   in Loop: Header=BB48_4 Depth=1
	s_wait_alu 0xfffe
	s_or_b32 exec_lo, exec_lo, s22
	v_add_co_u32 v15, vcc_lo, v9, s68
	s_wait_alu 0xfffd
	v_add_co_ci_u32_e64 v16, null, s69, v10, vcc_lo
	s_mov_b32 s22, -1
	v_add_co_u32 v9, vcc_lo, 0x200, v15
	s_wait_alu 0xfffd
	v_add_co_ci_u32_e64 v10, null, 0, v16, vcc_lo
	s_and_b32 vcc_lo, exec_lo, s76
	s_wait_loadcnt 0x0
	s_barrier_signal -1
	s_barrier_wait -1
	global_inv scope:SCOPE_SE
                                        ; implicit-def: $vgpr13_vgpr14
	s_wait_alu 0xfffe
	s_cbranch_vccz .LBB48_62
; %bb.51:                               ;   in Loop: Header=BB48_4 Depth=1
	s_and_saveexec_b32 s22, s16
	s_wait_alu 0xfffe
	s_xor_b32 s22, exec_lo, s22
; %bb.52:                               ;   in Loop: Header=BB48_4 Depth=1
	v_dual_mov_b32 v2, v1 :: v_dual_mov_b32 v3, v1
	v_mov_b32_e32 v4, v1
	ds_store_b128 v184, v[1:4]
; %bb.53:                               ;   in Loop: Header=BB48_4 Depth=1
	s_wait_alu 0xfffe
	s_or_saveexec_b32 s22, s22
	v_add_co_u32 v2, vcc_lo, v15, v179
	s_wait_alu 0xfffd
	v_add_co_ci_u32_e64 v3, null, v16, v180, vcc_lo
	s_lshl_b64 s[72:73], s[48:49], 4
	s_wait_alu 0xfffe
	v_add_co_u32 v2, vcc_lo, v2, s72
	s_wait_alu 0xfffd
	v_add_co_ci_u32_e64 v3, null, s73, v3, vcc_lo
	s_delay_alu instid0(VALU_DEP_2) | instskip(SKIP_1) | instid1(VALU_DEP_2)
	v_add_co_u32 v2, vcc_lo, v2, -16
	s_wait_alu 0xfffd
	v_add_co_ci_u32_e64 v3, null, -1, v3, vcc_lo
	s_delay_alu instid0(VALU_DEP_2) | instskip(NEXT) | instid1(VALU_DEP_2)
	v_cndmask_b32_e64 v11, v2, v9, s15
	v_cndmask_b32_e64 v12, v3, v10, s15
	s_xor_b32 exec_lo, exec_lo, s22
	s_cbranch_execnz .LBB48_176
; %bb.54:                               ;   in Loop: Header=BB48_4 Depth=1
	s_or_b32 exec_lo, exec_lo, s22
	s_and_saveexec_b32 s22, s17
	s_wait_alu 0xfffe
	s_xor_b32 s22, exec_lo, s22
	s_cbranch_execnz .LBB48_177
.LBB48_55:                              ;   in Loop: Header=BB48_4 Depth=1
	s_wait_alu 0xfffe
	s_and_not1_saveexec_b32 s22, s22
	s_cbranch_execnz .LBB48_178
.LBB48_56:                              ;   in Loop: Header=BB48_4 Depth=1
	s_wait_alu 0xfffe
	s_or_b32 exec_lo, exec_lo, s22
	s_and_saveexec_b32 s22, s18
	s_wait_alu 0xfffe
	s_xor_b32 s22, exec_lo, s22
	s_cbranch_execnz .LBB48_179
.LBB48_57:                              ;   in Loop: Header=BB48_4 Depth=1
	s_wait_alu 0xfffe
	s_and_not1_saveexec_b32 s22, s22
	s_cbranch_execnz .LBB48_180
.LBB48_58:                              ;   in Loop: Header=BB48_4 Depth=1
	s_wait_alu 0xfffe
	s_or_b32 exec_lo, exec_lo, s22
	s_and_saveexec_b32 s22, s19
	s_wait_alu 0xfffe
	s_xor_b32 s22, exec_lo, s22
	s_cbranch_execnz .LBB48_181
.LBB48_59:                              ;   in Loop: Header=BB48_4 Depth=1
	s_wait_alu 0xfffe
	s_and_not1_saveexec_b32 s22, s22
	s_cbranch_execz .LBB48_61
.LBB48_60:                              ;   in Loop: Header=BB48_4 Depth=1
	v_add_co_u32 v2, vcc_lo, v11, s58
	s_wait_alu 0xfffd
	v_add_co_ci_u32_e64 v3, null, s59, v12, vcc_lo
	flat_load_b128 v[17:20], v[2:3]
	s_wait_loadcnt_dscnt 0x0
	ds_store_2addr_b64 v187, v[17:18], v[19:20] offset1:1
.LBB48_61:                              ;   in Loop: Header=BB48_4 Depth=1
	s_wait_alu 0xfffe
	s_or_b32 exec_lo, exec_lo, s22
	v_add_co_u32 v2, vcc_lo, v11, v238
	s_wait_alu 0xfffd
	v_add_co_ci_u32_e64 v3, null, 0, v12, vcc_lo
	s_lshl_b64 s[72:73], s[60:61], 4
	s_mov_b32 s22, 0
	s_wait_alu 0xfffe
	v_add_co_u32 v2, vcc_lo, v2, s72
	s_wait_alu 0xfffd
	v_add_co_ci_u32_e64 v3, null, s73, v3, vcc_lo
	s_delay_alu instid0(VALU_DEP_2) | instskip(SKIP_1) | instid1(VALU_DEP_2)
	v_add_co_u32 v2, vcc_lo, 0x210, v2
	s_wait_alu 0xfffd
	v_add_co_ci_u32_e64 v3, null, 0, v3, vcc_lo
	s_delay_alu instid0(VALU_DEP_2) | instskip(NEXT) | instid1(VALU_DEP_2)
	v_cndmask_b32_e64 v13, v2, v9, s15
	v_cndmask_b32_e64 v14, v3, v10, s15
.LBB48_62:                              ;   in Loop: Header=BB48_4 Depth=1
	s_and_b32 vcc_lo, exec_lo, s22
	s_wait_alu 0xfffe
	s_cbranch_vccz .LBB48_64
; %bb.63:                               ;   in Loop: Header=BB48_4 Depth=1
	flat_load_b128 v[11:14], v[9:10]
	v_add_co_u32 v2, vcc_lo, v15, s54
	s_wait_alu 0xfffd
	v_add_co_ci_u32_e64 v3, null, s55, v16, vcc_lo
	s_wait_loadcnt_dscnt 0x0
	ds_store_2addr_b64 v184, v[11:12], v[13:14] offset1:1
	flat_load_b128 v[11:14], v[2:3] offset:512
	v_add_co_u32 v2, vcc_lo, v2, s54
	s_wait_alu 0xfffd
	v_add_co_ci_u32_e64 v3, null, s55, v3, vcc_lo
	s_wait_loadcnt_dscnt 0x0
	ds_store_2addr_b64 v236, v[11:12], v[13:14] offset1:1
	flat_load_b128 v[11:14], v[2:3] offset:512
	;; [unrolled: 6-line block ×3, first 2 shown]
	v_dual_mov_b32 v14, v10 :: v_dual_mov_b32 v13, v9
	s_wait_loadcnt_dscnt 0x0
	ds_store_2addr_b64 v187, v[15:16], v[17:18] offset1:1
.LBB48_64:                              ;   in Loop: Header=BB48_4 Depth=1
	s_mov_b32 s22, 0
	s_wait_loadcnt_dscnt 0x0
	s_barrier_signal -1
	s_barrier_wait -1
	global_inv scope:SCOPE_SE
	s_and_saveexec_b32 s72, s6
	s_wait_alu 0xfffe
	s_xor_b32 s72, exec_lo, s72
; %bb.65:                               ;   in Loop: Header=BB48_4 Depth=1
	s_and_b32 s22, s7, exec_lo
; %bb.66:                               ;   in Loop: Header=BB48_4 Depth=1
	s_wait_alu 0xfffe
	s_or_saveexec_b32 s72, s72
	v_dual_mov_b32 v11, 0 :: v_dual_mov_b32 v2, v188
	v_mov_b32_e32 v12, 0
	s_wait_alu 0xfffe
	s_xor_b32 exec_lo, exec_lo, s72
	s_cbranch_execz .LBB48_68
; %bb.67:                               ;   in Loop: Header=BB48_4 Depth=1
	ds_load_b128 v[9:12], v239
	v_mov_b32_e32 v2, v189
	s_or_b32 s22, s22, exec_lo
	s_wait_dscnt 0x0
	v_xor_b32_e32 v12, 0x80000000, v12
	ds_store_b64 v189, v[9:10]
.LBB48_68:                              ;   in Loop: Header=BB48_4 Depth=1
	s_or_b32 exec_lo, exec_lo, s72
	s_wait_alu 0xfffe
	s_and_saveexec_b32 s72, s22
; %bb.69:                               ;   in Loop: Header=BB48_4 Depth=1
	ds_store_b64 v2, v[11:12] offset:8
; %bb.70:                               ;   in Loop: Header=BB48_4 Depth=1
	s_wait_alu 0xfffe
	s_or_b32 exec_lo, exec_lo, s72
	s_mov_b32 s22, 0
                                        ; implicit-def: $vgpr11_vgpr12
	s_and_saveexec_b32 s72, s8
	s_wait_alu 0xfffe
	s_xor_b32 s72, exec_lo, s72
	s_cbranch_execnz .LBB48_168
; %bb.71:                               ;   in Loop: Header=BB48_4 Depth=1
	s_wait_alu 0xfffe
	s_or_saveexec_b32 s72, s72
	v_mov_b32_e32 v2, v193
	s_wait_alu 0xfffe
	s_xor_b32 exec_lo, exec_lo, s72
	s_cbranch_execnz .LBB48_169
.LBB48_72:                              ;   in Loop: Header=BB48_4 Depth=1
	s_or_b32 exec_lo, exec_lo, s72
	s_and_saveexec_b32 s72, s22
.LBB48_73:                              ;   in Loop: Header=BB48_4 Depth=1
	ds_store_b64 v2, v[11:12] offset:8
.LBB48_74:                              ;   in Loop: Header=BB48_4 Depth=1
	s_wait_alu 0xfffe
	s_or_b32 exec_lo, exec_lo, s72
	s_mov_b32 s22, 0
	s_and_saveexec_b32 s72, s10
	s_wait_alu 0xfffe
	s_xor_b32 s72, exec_lo, s72
; %bb.75:                               ;   in Loop: Header=BB48_4 Depth=1
	s_and_b32 s22, s11, exec_lo
; %bb.76:                               ;   in Loop: Header=BB48_4 Depth=1
	s_wait_alu 0xfffe
	s_or_saveexec_b32 s72, s72
	v_dual_mov_b32 v11, 0 :: v_dual_mov_b32 v2, v188
	v_mov_b32_e32 v12, 0
	s_wait_alu 0xfffe
	s_xor_b32 exec_lo, exec_lo, s72
	s_cbranch_execz .LBB48_78
; %bb.77:                               ;   in Loop: Header=BB48_4 Depth=1
	ds_load_b128 v[9:12], v240 offset:528
	v_add_nc_u32_e32 v3, 32, v189
	s_or_b32 s22, s22, exec_lo
	s_delay_alu instid0(VALU_DEP_1)
	v_mov_b32_e32 v2, v3
	s_wait_dscnt 0x0
	v_xor_b32_e32 v12, 0x80000000, v12
	ds_store_b64 v3, v[9:10]
.LBB48_78:                              ;   in Loop: Header=BB48_4 Depth=1
	s_or_b32 exec_lo, exec_lo, s72
	s_wait_alu 0xfffe
	s_and_saveexec_b32 s72, s22
; %bb.79:                               ;   in Loop: Header=BB48_4 Depth=1
	ds_store_b64 v2, v[11:12] offset:8
; %bb.80:                               ;   in Loop: Header=BB48_4 Depth=1
	s_wait_alu 0xfffe
	s_or_b32 exec_lo, exec_lo, s72
	s_mov_b32 s22, 0
	s_and_saveexec_b32 s72, s12
	s_wait_alu 0xfffe
	s_xor_b32 s72, exec_lo, s72
; %bb.81:                               ;   in Loop: Header=BB48_4 Depth=1
	s_and_b32 s22, s13, exec_lo
; %bb.82:                               ;   in Loop: Header=BB48_4 Depth=1
	s_wait_alu 0xfffe
	s_or_saveexec_b32 s72, s72
	v_dual_mov_b32 v11, 0 :: v_dual_mov_b32 v2, v188
	v_mov_b32_e32 v12, 0
	s_wait_alu 0xfffe
	s_xor_b32 exec_lo, exec_lo, s72
	s_cbranch_execz .LBB48_84
; %bb.83:                               ;   in Loop: Header=BB48_4 Depth=1
	ds_load_b128 v[9:12], v240 offset:1056
	v_add_nc_u32_e32 v3, 48, v189
	s_or_b32 s22, s22, exec_lo
	s_delay_alu instid0(VALU_DEP_1)
	v_mov_b32_e32 v2, v3
	s_wait_dscnt 0x0
	v_xor_b32_e32 v12, 0x80000000, v12
	ds_store_b64 v3, v[9:10]
.LBB48_84:                              ;   in Loop: Header=BB48_4 Depth=1
	s_or_b32 exec_lo, exec_lo, s72
	s_wait_alu 0xfffe
	s_and_saveexec_b32 s72, s22
; %bb.85:                               ;   in Loop: Header=BB48_4 Depth=1
	ds_store_b64 v2, v[11:12] offset:8
; %bb.86:                               ;   in Loop: Header=BB48_4 Depth=1
	s_wait_alu 0xfffe
	s_or_b32 exec_lo, exec_lo, s72
	s_wait_loadcnt_dscnt 0x0
	s_barrier_signal -1
	s_barrier_wait -1
	global_inv scope:SCOPE_SE
	ds_load_b128 v[9:12], v239
	ds_load_b128 v[15:18], v194 offset:512
	ds_load_b128 v[19:22], v194 offset:528
	;; [unrolled: 1-line block ×3, first 2 shown]
	ds_load_b128 v[27:30], v240
	ds_load_b128 v[31:34], v240 offset:528
	s_wait_dscnt 0x4
	v_mul_f64_e32 v[2:3], v[17:18], v[11:12]
	v_mul_f64_e32 v[11:12], v[15:16], v[11:12]
	s_wait_dscnt 0x1
	v_mul_f64_e32 v[35:36], v[21:22], v[29:30]
	v_mul_f64_e32 v[29:30], v[19:20], v[29:30]
	s_delay_alu instid0(VALU_DEP_4) | instskip(NEXT) | instid1(VALU_DEP_4)
	v_fma_f64 v[2:3], v[15:16], v[9:10], -v[2:3]
	v_fma_f64 v[37:38], v[17:18], v[9:10], v[11:12]
	ds_load_b128 v[9:12], v194 offset:544
	ds_load_b128 v[15:18], v194 offset:560
	v_fma_f64 v[19:20], v[19:20], v[27:28], -v[35:36]
	v_fma_f64 v[21:22], v[21:22], v[27:28], v[29:30]
	s_wait_loadcnt_dscnt 0x0
	s_barrier_signal -1
	s_barrier_wait -1
	global_inv scope:SCOPE_SE
	v_mul_f64_e32 v[39:40], v[11:12], v[33:34]
	v_mul_f64_e32 v[33:34], v[9:10], v[33:34]
	;; [unrolled: 1-line block ×4, first 2 shown]
	v_add_f64_e32 v[2:3], 0, v[2:3]
	v_add_f64_e32 v[27:28], 0, v[37:38]
	v_fma_f64 v[9:10], v[9:10], v[31:32], -v[39:40]
	v_fma_f64 v[11:12], v[11:12], v[31:32], v[33:34]
	v_fma_f64 v[15:16], v[15:16], v[23:24], -v[29:30]
	v_fma_f64 v[17:18], v[17:18], v[23:24], v[25:26]
	v_add_f64_e32 v[2:3], v[2:3], v[19:20]
	v_add_f64_e32 v[19:20], v[27:28], v[21:22]
	s_delay_alu instid0(VALU_DEP_2) | instskip(NEXT) | instid1(VALU_DEP_2)
	v_add_f64_e32 v[2:3], v[2:3], v[9:10]
	v_add_f64_e32 v[11:12], v[19:20], v[11:12]
	s_delay_alu instid0(VALU_DEP_2) | instskip(NEXT) | instid1(VALU_DEP_2)
	v_add_f64_e32 v[9:10], v[2:3], v[15:16]
	v_add_f64_e32 v[11:12], v[11:12], v[17:18]
	ds_store_b128 v195, v[9:12]
	s_wait_loadcnt_dscnt 0x0
	s_barrier_signal -1
	s_barrier_wait -1
	global_inv scope:SCOPE_SE
	s_and_saveexec_b32 s22, s20
	s_cbranch_execz .LBB48_88
; %bb.87:                               ;   in Loop: Header=BB48_4 Depth=1
	ds_load_b128 v[2:5], v192
	ds_load_b128 v[6:9], v192 offset:16
	s_wait_dscnt 0x0
	v_add_f64_e32 v[10:11], v[6:7], v[2:3]
	v_add_f64_e32 v[15:16], v[8:9], v[4:5]
	ds_load_b128 v[2:5], v192 offset:32
	ds_load_b128 v[6:9], v192 offset:48
	s_wait_dscnt 0x1
	v_add_f64_e32 v[2:3], v[10:11], v[2:3]
	v_add_f64_e32 v[4:5], v[15:16], v[4:5]
	s_wait_dscnt 0x0
	s_delay_alu instid0(VALU_DEP_2) | instskip(NEXT) | instid1(VALU_DEP_2)
	v_add_f64_e32 v[10:11], v[2:3], v[6:7]
	v_add_f64_e32 v[15:16], v[4:5], v[8:9]
	ds_load_b128 v[2:5], v192 offset:64
	ds_load_b128 v[6:9], v192 offset:80
	s_wait_dscnt 0x1
	v_add_f64_e32 v[2:3], v[10:11], v[2:3]
	v_add_f64_e32 v[4:5], v[15:16], v[4:5]
	s_wait_dscnt 0x0
	s_delay_alu instid0(VALU_DEP_2) | instskip(NEXT) | instid1(VALU_DEP_2)
	;; [unrolled: 9-line block ×3, first 2 shown]
	v_add_f64_e32 v[5:6], v[2:3], v[6:7]
	v_add_f64_e32 v[7:8], v[10:11], v[8:9]
.LBB48_88:                              ;   in Loop: Header=BB48_4 Depth=1
	s_wait_alu 0xfffe
	s_or_b32 exec_lo, exec_lo, s22
	v_add_co_u32 v9, vcc_lo, 0xfffffe00, v13
	s_wait_alu 0xfffd
	v_add_co_ci_u32_e64 v10, null, -1, v14, vcc_lo
	s_and_b32 vcc_lo, exec_lo, s76
	s_mov_b32 s22, -1
	s_wait_loadcnt 0x0
	s_barrier_signal -1
	s_barrier_wait -1
	global_inv scope:SCOPE_SE
                                        ; implicit-def: $vgpr2_vgpr3
	s_wait_alu 0xfffe
	s_cbranch_vccz .LBB48_100
; %bb.89:                               ;   in Loop: Header=BB48_4 Depth=1
	s_and_saveexec_b32 s22, s16
	s_wait_alu 0xfffe
	s_xor_b32 s22, exec_lo, s22
; %bb.90:                               ;   in Loop: Header=BB48_4 Depth=1
	v_dual_mov_b32 v2, v1 :: v_dual_mov_b32 v3, v1
	v_mov_b32_e32 v4, v1
	ds_store_b128 v184, v[1:4]
; %bb.91:                               ;   in Loop: Header=BB48_4 Depth=1
	s_wait_alu 0xfffe
	s_or_saveexec_b32 s22, s22
	v_add_co_u32 v2, vcc_lo, v13, v179
	s_wait_alu 0xfffd
	v_add_co_ci_u32_e64 v3, null, v14, v180, vcc_lo
	s_lshl_b64 s[72:73], s[48:49], 4
	s_wait_alu 0xfffe
	v_add_co_u32 v2, vcc_lo, v2, s72
	s_wait_alu 0xfffd
	v_add_co_ci_u32_e64 v3, null, s73, v3, vcc_lo
	s_delay_alu instid0(VALU_DEP_2) | instskip(SKIP_1) | instid1(VALU_DEP_2)
	v_add_co_u32 v2, vcc_lo, 0xfffffdf0, v2
	s_wait_alu 0xfffd
	v_add_co_ci_u32_e64 v3, null, -1, v3, vcc_lo
	s_delay_alu instid0(VALU_DEP_2) | instskip(NEXT) | instid1(VALU_DEP_2)
	v_cndmask_b32_e64 v11, v2, v9, s1
	v_cndmask_b32_e64 v12, v3, v10, s1
	s_xor_b32 exec_lo, exec_lo, s22
	s_cbranch_execnz .LBB48_182
; %bb.92:                               ;   in Loop: Header=BB48_4 Depth=1
	s_or_b32 exec_lo, exec_lo, s22
	s_and_saveexec_b32 s22, s17
	s_wait_alu 0xfffe
	s_xor_b32 s22, exec_lo, s22
	s_cbranch_execnz .LBB48_183
.LBB48_93:                              ;   in Loop: Header=BB48_4 Depth=1
	s_wait_alu 0xfffe
	s_and_not1_saveexec_b32 s22, s22
	s_cbranch_execnz .LBB48_184
.LBB48_94:                              ;   in Loop: Header=BB48_4 Depth=1
	s_wait_alu 0xfffe
	s_or_b32 exec_lo, exec_lo, s22
	s_and_saveexec_b32 s22, s18
	s_wait_alu 0xfffe
	s_xor_b32 s22, exec_lo, s22
	s_cbranch_execnz .LBB48_185
.LBB48_95:                              ;   in Loop: Header=BB48_4 Depth=1
	s_wait_alu 0xfffe
	s_and_not1_saveexec_b32 s22, s22
	s_cbranch_execnz .LBB48_186
.LBB48_96:                              ;   in Loop: Header=BB48_4 Depth=1
	s_wait_alu 0xfffe
	s_or_b32 exec_lo, exec_lo, s22
	s_and_saveexec_b32 s22, s19
	s_wait_alu 0xfffe
	s_xor_b32 s22, exec_lo, s22
	s_cbranch_execnz .LBB48_187
.LBB48_97:                              ;   in Loop: Header=BB48_4 Depth=1
	s_wait_alu 0xfffe
	s_and_not1_saveexec_b32 s22, s22
	s_cbranch_execz .LBB48_99
.LBB48_98:                              ;   in Loop: Header=BB48_4 Depth=1
	v_add_co_u32 v2, vcc_lo, v11, s58
	s_wait_alu 0xfffd
	v_add_co_ci_u32_e64 v3, null, s59, v12, vcc_lo
	flat_load_b128 v[15:18], v[2:3]
	s_wait_loadcnt_dscnt 0x0
	ds_store_2addr_b64 v187, v[15:16], v[17:18] offset1:1
.LBB48_99:                              ;   in Loop: Header=BB48_4 Depth=1
	s_wait_alu 0xfffe
	s_or_b32 exec_lo, exec_lo, s22
	v_add_co_u32 v2, vcc_lo, v11, v238
	s_wait_alu 0xfffd
	v_add_co_ci_u32_e64 v3, null, 0, v12, vcc_lo
	s_lshl_b64 s[72:73], s[60:61], 4
	s_mov_b32 s22, 0
	s_wait_alu 0xfffe
	v_add_co_u32 v2, vcc_lo, v2, s72
	s_wait_alu 0xfffd
	v_add_co_ci_u32_e64 v3, null, s73, v3, vcc_lo
	s_delay_alu instid0(VALU_DEP_2) | instskip(SKIP_1) | instid1(VALU_DEP_2)
	v_add_co_u32 v2, vcc_lo, v2, 16
	s_wait_alu 0xfffd
	v_add_co_ci_u32_e64 v3, null, 0, v3, vcc_lo
	s_delay_alu instid0(VALU_DEP_2) | instskip(NEXT) | instid1(VALU_DEP_2)
	v_cndmask_b32_e64 v2, v2, v9, s1
	v_cndmask_b32_e64 v3, v3, v10, s1
.LBB48_100:                             ;   in Loop: Header=BB48_4 Depth=1
	s_and_b32 vcc_lo, exec_lo, s22
	s_wait_alu 0xfffe
	s_cbranch_vccz .LBB48_102
; %bb.101:                              ;   in Loop: Header=BB48_4 Depth=1
	flat_load_b128 v[15:18], v[9:10]
	v_add_co_u32 v2, vcc_lo, v13, s54
	s_wait_alu 0xfffd
	v_add_co_ci_u32_e64 v3, null, s55, v14, vcc_lo
	s_wait_loadcnt_dscnt 0x0
	ds_store_2addr_b64 v184, v[15:16], v[17:18] offset1:1
	flat_load_b128 v[11:14], v[2:3] offset:-512
	v_add_co_u32 v2, vcc_lo, v2, s54
	s_wait_alu 0xfffd
	v_add_co_ci_u32_e64 v3, null, s55, v3, vcc_lo
	s_wait_loadcnt_dscnt 0x0
	ds_store_2addr_b64 v236, v[11:12], v[13:14] offset1:1
	flat_load_b128 v[11:14], v[2:3] offset:-512
	;; [unrolled: 6-line block ×3, first 2 shown]
	v_dual_mov_b32 v2, v9 :: v_dual_mov_b32 v3, v10
	s_wait_loadcnt_dscnt 0x0
	ds_store_2addr_b64 v187, v[11:12], v[13:14] offset1:1
.LBB48_102:                             ;   in Loop: Header=BB48_4 Depth=1
	v_add_nc_u32_e32 v4, v189, v196
	v_add_nc_u32_e32 v13, v194, v196
	s_wait_loadcnt_dscnt 0x0
	s_barrier_signal -1
	s_barrier_wait -1
	global_inv scope:SCOPE_SE
	ds_load_b128 v[9:12], v4
	ds_load_b128 v[13:16], v13
	ds_load_b128 v[17:20], v204 offset:128
	ds_load_b128 v[21:24], v195 offset:128
	;; [unrolled: 1-line block ×4, first 2 shown]
	s_wait_dscnt 0x2
	v_mul_f64_e32 v[35:36], v[23:24], v[19:20]
	v_mul_f64_e32 v[33:34], v[11:12], v[15:16]
	;; [unrolled: 1-line block ×4, first 2 shown]
	s_delay_alu instid0(VALU_DEP_4) | instskip(NEXT) | instid1(VALU_DEP_4)
	v_fma_f64 v[17:18], v[21:22], v[17:18], v[35:36]
	v_fma_f64 v[33:34], v[9:10], v[13:14], v[33:34]
	s_delay_alu instid0(VALU_DEP_4)
	v_fma_f64 v[37:38], v[9:10], v[15:16], -v[11:12]
	ds_load_b128 v[9:12], v204 offset:256
	ds_load_b128 v[13:16], v204 offset:384
	v_fma_f64 v[19:20], v[21:22], v[19:20], -v[23:24]
	s_wait_dscnt 0x1
	v_mul_f64_e32 v[39:40], v[27:28], v[11:12]
	v_mul_f64_e32 v[27:28], v[27:28], v[9:10]
	v_add_f64_e32 v[21:22], 0, v[33:34]
	v_add_f64_e32 v[23:24], 0, v[37:38]
	s_wait_dscnt 0x0
	v_mul_f64_e32 v[33:34], v[31:32], v[15:16]
	v_mul_f64_e32 v[31:32], v[31:32], v[13:14]
	v_fma_f64 v[9:10], v[25:26], v[9:10], v[39:40]
	v_fma_f64 v[11:12], v[25:26], v[11:12], -v[27:28]
	v_add_f64_e32 v[17:18], v[21:22], v[17:18]
	v_add_f64_e32 v[19:20], v[23:24], v[19:20]
	v_fma_f64 v[13:14], v[29:30], v[13:14], v[33:34]
	v_fma_f64 v[15:16], v[29:30], v[15:16], -v[31:32]
	s_delay_alu instid0(VALU_DEP_4) | instskip(NEXT) | instid1(VALU_DEP_4)
	v_add_f64_e32 v[9:10], v[17:18], v[9:10]
	v_add_f64_e32 v[11:12], v[19:20], v[11:12]
	s_delay_alu instid0(VALU_DEP_2) | instskip(NEXT) | instid1(VALU_DEP_2)
	v_add_f64_e32 v[43:44], v[9:10], v[13:14]
	v_add_f64_e32 v[45:46], v[11:12], v[15:16]
	ds_load_b128 v[33:36], v194 offset:512
	ds_load_b128 v[25:28], v194 offset:528
	;; [unrolled: 1-line block ×4, first 2 shown]
	ds_load_b128 v[29:32], v240
	ds_load_b128 v[21:24], v240 offset:528
	ds_load_b128 v[37:40], v239
	ds_load_b128 v[17:20], v240 offset:1056
	s_wait_loadcnt_dscnt 0x0
	s_barrier_signal -1
	s_barrier_wait -1
	global_inv scope:SCOPE_SE
	ds_store_b128 v195, v[43:46]
	s_wait_loadcnt_dscnt 0x0
	s_barrier_signal -1
	s_barrier_wait -1
	global_inv scope:SCOPE_SE
	s_and_saveexec_b32 s22, s20
	s_cbranch_execz .LBB48_104
; %bb.103:                              ;   in Loop: Header=BB48_4 Depth=1
	ds_load_b128 v[43:46], v192
	ds_load_b128 v[47:50], v192 offset:16
	s_wait_dscnt 0x1
	v_add_f64_e32 v[4:5], v[5:6], v[43:44]
	v_add_f64_e32 v[6:7], v[7:8], v[45:46]
	s_wait_dscnt 0x0
	s_delay_alu instid0(VALU_DEP_2) | instskip(NEXT) | instid1(VALU_DEP_2)
	v_add_f64_e32 v[47:48], v[4:5], v[47:48]
	v_add_f64_e32 v[49:50], v[6:7], v[49:50]
	ds_load_b128 v[4:7], v192 offset:32
	ds_load_b128 v[43:46], v192 offset:48
	s_wait_dscnt 0x1
	v_add_f64_e32 v[4:5], v[47:48], v[4:5]
	v_add_f64_e32 v[6:7], v[49:50], v[6:7]
	s_wait_dscnt 0x0
	s_delay_alu instid0(VALU_DEP_2) | instskip(NEXT) | instid1(VALU_DEP_2)
	v_add_f64_e32 v[47:48], v[4:5], v[43:44]
	v_add_f64_e32 v[49:50], v[6:7], v[45:46]
	ds_load_b128 v[4:7], v192 offset:64
	;; [unrolled: 9-line block ×3, first 2 shown]
	ds_load_b128 v[43:46], v192 offset:112
	s_wait_dscnt 0x1
	v_add_f64_e32 v[4:5], v[47:48], v[4:5]
	v_add_f64_e32 v[7:8], v[49:50], v[6:7]
	s_wait_dscnt 0x0
	s_delay_alu instid0(VALU_DEP_2) | instskip(NEXT) | instid1(VALU_DEP_2)
	v_add_f64_e32 v[5:6], v[4:5], v[43:44]
	v_add_f64_e32 v[7:8], v[7:8], v[45:46]
.LBB48_104:                             ;   in Loop: Header=BB48_4 Depth=1
	s_wait_alu 0xfffe
	s_or_b32 exec_lo, exec_lo, s22
	v_mul_f64_e32 v[43:44], v[35:36], v[39:40]
	v_mul_f64_e32 v[39:40], v[33:34], v[39:40]
	;; [unrolled: 1-line block ×4, first 2 shown]
	s_wait_loadcnt 0x0
	s_barrier_signal -1
	s_barrier_wait -1
	global_inv scope:SCOPE_SE
	v_fma_f64 v[33:34], v[33:34], v[37:38], -v[43:44]
	v_fma_f64 v[35:36], v[35:36], v[37:38], v[39:40]
	v_mul_f64_e32 v[37:38], v[15:16], v[23:24]
	v_mul_f64_e32 v[23:24], v[13:14], v[23:24]
	v_fma_f64 v[25:26], v[25:26], v[29:30], -v[45:46]
	v_fma_f64 v[27:28], v[27:28], v[29:30], v[31:32]
	v_add_f64_e32 v[29:30], 0, v[33:34]
	v_add_f64_e32 v[31:32], 0, v[35:36]
	v_mul_f64_e32 v[33:34], v[11:12], v[19:20]
	v_mul_f64_e32 v[19:20], v[9:10], v[19:20]
	v_fma_f64 v[13:14], v[13:14], v[21:22], -v[37:38]
	v_fma_f64 v[15:16], v[15:16], v[21:22], v[23:24]
	v_add_f64_e32 v[21:22], v[29:30], v[25:26]
	v_add_f64_e32 v[23:24], v[31:32], v[27:28]
	v_fma_f64 v[9:10], v[9:10], v[17:18], -v[33:34]
	v_fma_f64 v[11:12], v[11:12], v[17:18], v[19:20]
	s_delay_alu instid0(VALU_DEP_4) | instskip(NEXT) | instid1(VALU_DEP_4)
	v_add_f64_e32 v[13:14], v[21:22], v[13:14]
	v_add_f64_e32 v[15:16], v[23:24], v[15:16]
	s_delay_alu instid0(VALU_DEP_2) | instskip(NEXT) | instid1(VALU_DEP_2)
	v_add_f64_e32 v[9:10], v[13:14], v[9:10]
	v_add_f64_e32 v[11:12], v[15:16], v[11:12]
	ds_store_b128 v195, v[9:12]
	s_wait_loadcnt_dscnt 0x0
	s_barrier_signal -1
	s_barrier_wait -1
	global_inv scope:SCOPE_SE
	s_and_saveexec_b32 s22, s14
	s_cbranch_execz .LBB48_106
; %bb.105:                              ;   in Loop: Header=BB48_4 Depth=1
	ds_load_b128 v[9:12], v192
	ds_load_b128 v[13:16], v192 offset:16
	s_wait_dscnt 0x1
	v_add_f64_e32 v[4:5], v[5:6], v[9:10]
	v_add_f64_e32 v[6:7], v[7:8], v[11:12]
	s_wait_dscnt 0x0
	s_delay_alu instid0(VALU_DEP_2) | instskip(NEXT) | instid1(VALU_DEP_2)
	v_add_f64_e32 v[12:13], v[4:5], v[13:14]
	v_add_f64_e32 v[14:15], v[6:7], v[15:16]
	ds_load_b128 v[4:7], v192 offset:32
	ds_load_b128 v[8:11], v192 offset:48
	s_wait_dscnt 0x1
	v_add_f64_e32 v[4:5], v[12:13], v[4:5]
	v_add_f64_e32 v[6:7], v[14:15], v[6:7]
	s_wait_dscnt 0x0
	s_delay_alu instid0(VALU_DEP_2) | instskip(NEXT) | instid1(VALU_DEP_2)
	v_add_f64_e32 v[12:13], v[4:5], v[8:9]
	v_add_f64_e32 v[14:15], v[6:7], v[10:11]
	ds_load_b128 v[4:7], v192 offset:64
	ds_load_b128 v[8:11], v192 offset:80
	s_wait_dscnt 0x1
	v_add_f64_e32 v[4:5], v[12:13], v[4:5]
	v_add_f64_e32 v[6:7], v[14:15], v[6:7]
	s_wait_dscnt 0x0
	s_delay_alu instid0(VALU_DEP_2) | instskip(NEXT) | instid1(VALU_DEP_2)
	v_add_f64_e32 v[12:13], v[4:5], v[8:9]
	v_add_f64_e32 v[14:15], v[6:7], v[10:11]
	ds_load_b128 v[4:7], v192 offset:96
	ds_load_b128 v[8:11], v192 offset:112
	s_wait_dscnt 0x1
	v_add_f64_e32 v[4:5], v[12:13], v[4:5]
	v_add_f64_e32 v[12:13], v[14:15], v[6:7]
	s_wait_dscnt 0x0
	s_delay_alu instid0(VALU_DEP_2) | instskip(NEXT) | instid1(VALU_DEP_2)
	v_add_f64_e32 v[5:6], v[4:5], v[8:9]
	v_add_f64_e32 v[7:8], v[12:13], v[10:11]
.LBB48_106:                             ;   in Loop: Header=BB48_4 Depth=1
	s_wait_alu 0xfffe
	s_or_b32 exec_lo, exec_lo, s22
	s_mul_u64 s[72:73], s[50:51], s[34:35]
	s_and_not1_b32 vcc_lo, exec_lo, s47
	s_wait_alu 0xfffe
	s_lshl_b64 s[72:73], s[72:73], 4
	s_wait_loadcnt 0x0
	s_wait_alu 0xfffe
	s_add_nc_u64 s[72:73], s[52:53], s[72:73]
	s_barrier_signal -1
	s_barrier_wait -1
	global_inv scope:SCOPE_SE
	s_cbranch_vccnz .LBB48_164
; %bb.107:                              ;   in Loop: Header=BB48_4 Depth=1
	scratch_load_b32 v4, off, off offset:8  ; 4-byte Folded Reload
	v_add_co_u32 v241, vcc_lo, v41, s70
	s_wait_alu 0xfffd
	v_add_co_ci_u32_e64 v242, null, s71, v42, vcc_lo
	s_mov_b32 s81, ttmp9
	s_mov_b32 s74, s80
	s_wait_loadcnt 0x0
	v_add_co_u32 v243, vcc_lo, v2, v4
	scratch_load_b32 v4, off, off offset:4  ; 4-byte Folded Reload
	s_wait_loadcnt 0x0
	s_wait_alu 0xfffd
	v_add_co_ci_u32_e64 v244, null, v3, v4, vcc_lo
	scratch_load_b32 v4, off, off offset:16 ; 4-byte Folded Reload
	s_wait_loadcnt 0x0
	v_add_co_u32 v245, vcc_lo, v2, v4
	scratch_load_b32 v4, off, off offset:12 ; 4-byte Folded Reload
	s_wait_loadcnt 0x0
	s_wait_alu 0xfffd
	v_add_co_ci_u32_e64 v246, null, v3, v4, vcc_lo
	scratch_load_b32 v4, off, off offset:20 ; 4-byte Folded Reload
	s_wait_loadcnt 0x0
	v_add_co_u32 v247, vcc_lo, v2, v4
	scratch_load_b32 v4, off, off offset:24 ; 4-byte Folded Reload
	s_wait_loadcnt 0x0
	s_wait_alu 0xfffd
	v_add_co_ci_u32_e64 v248, null, v3, v4, vcc_lo
	scratch_load_b32 v4, off, off offset:32 ; 4-byte Folded Reload
	s_wait_loadcnt 0x0
	v_add_co_u32 v249, vcc_lo, v2, v4
	scratch_load_b32 v4, off, off offset:28 ; 4-byte Folded Reload
	s_wait_loadcnt 0x0
	s_wait_alu 0xfffd
	v_add_co_ci_u32_e64 v250, null, v3, v4, vcc_lo
	scratch_load_b32 v4, off, off offset:36 ; 4-byte Folded Reload
	s_wait_loadcnt 0x0
	v_add_co_u32 v251, vcc_lo, v2, v4
	scratch_load_b32 v4, off, off offset:40 ; 4-byte Folded Reload
	s_wait_loadcnt 0x0
	s_wait_alu 0xfffd
	v_add_co_ci_u32_e64 v252, null, v3, v4, vcc_lo
	scratch_load_b32 v4, off, off offset:48 ; 4-byte Folded Reload
	s_wait_loadcnt 0x0
	v_add_co_u32 v253, vcc_lo, v2, v4
	scratch_load_b32 v4, off, off offset:44 ; 4-byte Folded Reload
	s_wait_loadcnt 0x0
	s_wait_alu 0xfffd
	v_add_co_ci_u32_e64 v254, null, v3, v4, vcc_lo
	scratch_load_b32 v4, off, off offset:52 ; 4-byte Folded Reload
	s_wait_loadcnt 0x0
	v_add_co_u32 v255, vcc_lo, v2, v4
	scratch_load_b32 v4, off, off offset:56 ; 4-byte Folded Reload
	s_wait_loadcnt 0x0
	s_wait_alu 0xfffd
	v_add_co_ci_u32_e64 v205, null, v3, v4, vcc_lo
	scratch_load_b32 v4, off, off offset:60 ; 4-byte Folded Reload
	s_wait_loadcnt 0x0
	v_add_co_u32 v206, vcc_lo, v2, v4
	scratch_load_b32 v4, off, off offset:64 ; 4-byte Folded Reload
	s_wait_loadcnt 0x0
	s_wait_alu 0xfffd
	v_add_co_ci_u32_e64 v207, null, v3, v4, vcc_lo
	scratch_load_b32 v4, off, off offset:72 ; 4-byte Folded Reload
	s_wait_loadcnt 0x0
	v_add_co_u32 v208, vcc_lo, v2, v4
	scratch_load_b32 v4, off, off offset:68 ; 4-byte Folded Reload
	s_wait_loadcnt 0x0
	s_wait_alu 0xfffd
	v_add_co_ci_u32_e64 v209, null, v3, v4, vcc_lo
	scratch_load_b32 v4, off, off offset:80 ; 4-byte Folded Reload
	s_wait_loadcnt 0x0
	v_add_co_u32 v210, vcc_lo, v2, v4
	scratch_load_b32 v4, off, off offset:76 ; 4-byte Folded Reload
	s_wait_loadcnt 0x0
	s_wait_alu 0xfffd
	v_add_co_ci_u32_e64 v211, null, v3, v4, vcc_lo
	scratch_load_b32 v4, off, off offset:84 ; 4-byte Folded Reload
	s_wait_loadcnt 0x0
	v_add_co_u32 v212, vcc_lo, v2, v4
	scratch_load_b32 v4, off, off offset:88 ; 4-byte Folded Reload
	s_wait_loadcnt 0x0
	s_wait_alu 0xfffd
	v_add_co_ci_u32_e64 v213, null, v3, v4, vcc_lo
	scratch_load_b32 v4, off, off offset:96 ; 4-byte Folded Reload
	s_wait_loadcnt 0x0
	v_add_co_u32 v214, vcc_lo, v2, v4
	scratch_load_b32 v4, off, off offset:92 ; 4-byte Folded Reload
	s_wait_loadcnt 0x0
	s_wait_alu 0xfffd
	v_add_co_ci_u32_e64 v215, null, v3, v4, vcc_lo
	scratch_load_b32 v4, off, off offset:100 ; 4-byte Folded Reload
	s_wait_loadcnt 0x0
	v_add_co_u32 v216, vcc_lo, v2, v4
	scratch_load_b32 v4, off, off offset:104 ; 4-byte Folded Reload
	s_wait_loadcnt 0x0
	s_wait_alu 0xfffd
	v_add_co_ci_u32_e64 v217, null, v3, v4, vcc_lo
	scratch_load_b32 v4, off, off offset:112 ; 4-byte Folded Reload
	s_wait_loadcnt 0x0
	v_add_co_u32 v218, vcc_lo, v2, v4
	scratch_load_b32 v4, off, off offset:108 ; 4-byte Folded Reload
	s_wait_loadcnt 0x0
	s_wait_alu 0xfffd
	v_add_co_ci_u32_e64 v219, null, v3, v4, vcc_lo
	scratch_load_b32 v4, off, off offset:116 ; 4-byte Folded Reload
	s_wait_loadcnt 0x0
	v_add_co_u32 v220, vcc_lo, v2, v4
	scratch_load_b32 v4, off, off offset:120 ; 4-byte Folded Reload
	s_wait_loadcnt 0x0
	s_wait_alu 0xfffd
	v_add_co_ci_u32_e64 v221, null, v3, v4, vcc_lo
	scratch_load_b32 v4, off, off offset:128 ; 4-byte Folded Reload
	s_wait_loadcnt 0x0
	v_add_co_u32 v222, vcc_lo, v2, v4
	scratch_load_b32 v2, off, off offset:124 ; 4-byte Folded Reload
	s_wait_loadcnt 0x0
	s_wait_alu 0xfffd
	v_add_co_ci_u32_e64 v223, null, v3, v2, vcc_lo
	s_cmp_eq_u32 s78, s81
	s_cselect_b32 s82, s33, 0
	s_and_saveexec_b32 s22, s0
	s_cbranch_execz .LBB48_112
.LBB48_108:                             ;   in Loop: Header=BB48_4 Depth=1
	s_wait_alu 0xfffe
	v_cmp_le_i32_e32 vcc_lo, s82, v181
	s_cmp_lg_u32 s82, 0
	s_cselect_b32 s75, -1, 0
	s_wait_alu 0xfffe
	s_and_b32 s75, s75, vcc_lo
	s_wait_alu 0xfffe
	s_and_saveexec_b32 s83, s75
	s_wait_alu 0xfffe
	s_xor_b32 s75, exec_lo, s83
; %bb.109:                              ;   in Loop: Header=BB48_4 Depth=1
	v_dual_mov_b32 v2, v1 :: v_dual_mov_b32 v3, v1
	v_mov_b32_e32 v4, v1
	ds_store_b128 v0, v[1:4]
; %bb.110:                              ;   in Loop: Header=BB48_4 Depth=1
	s_wait_alu 0xfffe
	s_and_not1_saveexec_b32 s75, s75
	s_cbranch_execz .LBB48_112
; %bb.111:                              ;   in Loop: Header=BB48_4 Depth=1
	s_ashr_i32 s75, s74, 31
	s_wait_alu 0xfffe
	s_mul_u64 s[84:85], s[44:45], s[74:75]
	s_wait_alu 0xfffe
	s_lshl_b64 s[84:85], s[84:85], 4
	s_wait_alu 0xfffe
	v_add_co_u32 v2, vcc_lo, v241, s84
	s_wait_alu 0xfffd
	v_add_co_ci_u32_e64 v3, null, s85, v242, vcc_lo
	flat_load_b128 v[9:12], v[2:3]
	s_wait_loadcnt_dscnt 0x0
	ds_store_2addr_b64 v0, v[9:10], v[11:12] offset1:1
.LBB48_112:                             ;   Parent Loop BB48_4 Depth=1
                                        ; =>  This Inner Loop Header: Depth=2
	s_wait_alu 0xfffe
	s_or_b32 exec_lo, exec_lo, s22
	s_cmp_eq_u32 s82, 0
	v_add_co_u32 v2, vcc_lo, v251, v182
	s_cselect_b32 s75, -1, 0
	s_cmp_lg_u32 s82, 0
	s_wait_alu 0xfffd
	v_add_co_ci_u32_e64 v3, null, 0, v252, vcc_lo
	s_cselect_b32 s22, -1, 0
	s_wait_dscnt 0x0
	s_wait_alu 0xfffe
	s_and_b32 vcc_lo, exec_lo, s22
	s_barrier_signal -1
	s_barrier_wait -1
	global_inv scope:SCOPE_SE
	s_wait_alu 0xfffe
	s_cbranch_vccz .LBB48_120
; %bb.113:                              ;   in Loop: Header=BB48_112 Depth=2
	v_mov_b32_e32 v9, 0
	v_dual_mov_b32 v10, 0 :: v_dual_mov_b32 v13, 0
	v_dual_mov_b32 v15, 0 :: v_dual_mov_b32 v14, 0
	v_mov_b32_e32 v16, 0
	s_mov_b32 s83, exec_lo
	v_cmpx_gt_i32_e64 s82, v197
	s_cbranch_execz .LBB48_115
; %bb.114:                              ;   in Loop: Header=BB48_112 Depth=2
	flat_load_b128 v[13:16], v[2:3]
.LBB48_115:                             ;   in Loop: Header=BB48_112 Depth=2
	s_wait_alu 0xfffe
	s_or_b32 exec_lo, exec_lo, s83
	v_mov_b32_e32 v11, 0
	v_or_b32_e32 v4, 1, v197
	v_mov_b32_e32 v12, 0
	s_mov_b32 s83, exec_lo
	s_delay_alu instid0(VALU_DEP_2)
	v_cmpx_gt_i32_e64 s82, v4
	s_cbranch_execz .LBB48_117
; %bb.116:                              ;   in Loop: Header=BB48_112 Depth=2
	v_add_co_u32 v9, vcc_lo, v247, v182
	s_wait_alu 0xfffd
	v_add_co_ci_u32_e64 v10, null, 0, v248, vcc_lo
	flat_load_b128 v[9:12], v[9:10]
.LBB48_117:                             ;   in Loop: Header=BB48_112 Depth=2
	s_wait_alu 0xfffe
	s_or_b32 exec_lo, exec_lo, s83
	v_mov_b32_e32 v17, 0
	v_dual_mov_b32 v18, 0 :: v_dual_mov_b32 v19, 0
	v_or_b32_e32 v4, 2, v197
	v_mov_b32_e32 v20, 0
	s_mov_b32 s83, exec_lo
	s_delay_alu instid0(VALU_DEP_2)
	v_cmpx_gt_i32_e64 s82, v4
	s_cbranch_execz .LBB48_119
; %bb.118:                              ;   in Loop: Header=BB48_112 Depth=2
	v_add_co_u32 v17, vcc_lo, v243, v182
	s_wait_alu 0xfffd
	v_add_co_ci_u32_e64 v18, null, 0, v244, vcc_lo
	flat_load_b128 v[17:20], v[17:18] offset:-8
.LBB48_119:                             ;   in Loop: Header=BB48_112 Depth=2
	s_wait_alu 0xfffe
	s_or_b32 exec_lo, exec_lo, s83
	v_or_b32_e32 v4, 3, v197
	s_delay_alu instid0(VALU_DEP_1)
	v_cmp_gt_i32_e64 s83, s82, v4
	s_branch .LBB48_122
.LBB48_120:                             ;   in Loop: Header=BB48_112 Depth=2
	s_mov_b32 s83, 0
                                        ; implicit-def: $vgpr19_vgpr20
                                        ; implicit-def: $vgpr11_vgpr12
                                        ; implicit-def: $vgpr15_vgpr16
	s_cbranch_execz .LBB48_122
; %bb.121:                              ;   in Loop: Header=BB48_112 Depth=2
	s_wait_loadcnt_dscnt 0x0
	v_add_co_u32 v9, vcc_lo, v247, v182
	s_wait_alu 0xfffd
	v_add_co_ci_u32_e64 v10, null, 0, v248, vcc_lo
	v_add_co_u32 v17, vcc_lo, v243, v182
	s_wait_alu 0xfffd
	v_add_co_ci_u32_e64 v18, null, 0, v244, vcc_lo
	flat_load_b128 v[13:16], v[2:3]
	flat_load_b128 v[9:12], v[9:10]
	flat_load_b128 v[17:20], v[17:18] offset:-8
	s_wait_alu 0xfffe
	s_or_b32 s83, s83, exec_lo
.LBB48_122:                             ;   in Loop: Header=BB48_112 Depth=2
	v_mov_b32_e32 v21, 0
	v_dual_mov_b32 v22, 0 :: v_dual_mov_b32 v23, 0
	v_mov_b32_e32 v24, 0
	s_wait_alu 0xfffe
	s_and_saveexec_b32 s84, s83
	s_cbranch_execz .LBB48_124
; %bb.123:                              ;   in Loop: Header=BB48_112 Depth=2
	v_add_co_u32 v2, vcc_lo, v255, v182
	s_wait_alu 0xfffd
	v_add_co_ci_u32_e64 v3, null, 0, v205, vcc_lo
	flat_load_b128 v[21:24], v[2:3]
.LBB48_124:                             ;   in Loop: Header=BB48_112 Depth=2
	s_wait_alu 0xfffe
	s_or_b32 exec_lo, exec_lo, s84
	ds_load_b128 v[29:32], v183
	ds_load_b128 v[25:28], v198
	v_cndmask_b32_e64 v4, 0, 1, s22
	s_wait_loadcnt_dscnt 0x1
	v_mul_f64_e32 v[2:3], v[15:16], v[31:32]
	v_mul_f64_e32 v[33:34], v[15:16], v[29:30]
	;; [unrolled: 1-line block ×8, first 2 shown]
	v_fma_f64 v[41:42], v[13:14], v[29:30], v[2:3]
	v_fma_f64 v[43:44], v[13:14], v[31:32], -v[33:34]
	v_fma_f64 v[45:46], v[9:10], v[29:30], v[35:36]
	v_fma_f64 v[47:48], v[9:10], v[31:32], -v[37:38]
	v_fma_f64 v[49:50], v[17:18], v[29:30], v[39:40]
	v_fma_f64 v[51:52], v[17:18], v[31:32], -v[51:52]
	v_fma_f64 v[53:54], v[21:22], v[29:30], v[53:54]
	v_fma_f64 v[55:56], v[21:22], v[31:32], -v[55:56]
	ds_load_b128 v[37:40], v198 offset:16
	ds_load_b128 v[33:36], v198 offset:32
	;; [unrolled: 1-line block ×3, first 2 shown]
	v_add_co_u32 v2, vcc_lo, v216, v182
	s_wait_alu 0xfffd
	v_add_co_ci_u32_e64 v3, null, 0, v217, vcc_lo
	s_and_not1_b32 vcc_lo, exec_lo, s22
	ds_store_b128 v199, v[41:44]
	ds_store_b128 v199, v[45:48] offset:1072
	ds_store_b128 v199, v[49:52] offset:2144
	;; [unrolled: 1-line block ×3, first 2 shown]
	s_wait_dscnt 0x0
	s_barrier_signal -1
	s_barrier_wait -1
	global_inv scope:SCOPE_SE
	ds_load_b128 v[97:100], v200
	ds_load_b128 v[93:96], v200 offset:16
	ds_load_b128 v[89:92], v200 offset:32
	;; [unrolled: 1-line block ×3, first 2 shown]
	s_wait_loadcnt_dscnt 0x0
	s_barrier_signal -1
	s_barrier_wait -1
	global_inv scope:SCOPE_SE
	s_wait_alu 0xfffe
	s_cbranch_vccnz .LBB48_132
; %bb.125:                              ;   in Loop: Header=BB48_112 Depth=2
	v_mov_b32_e32 v41, 0
	v_mov_b32_e32 v45, 0
	;; [unrolled: 1-line block ×3, first 2 shown]
	v_dual_mov_b32 v42, 0 :: v_dual_add_nc_u32 v43, 16, v197
	v_mov_b32_e32 v46, 0
	v_mov_b32_e32 v48, 0
	s_mov_b32 s22, exec_lo
	s_delay_alu instid0(VALU_DEP_3)
	v_cmpx_gt_i32_e64 s82, v43
	s_cbranch_execz .LBB48_127
; %bb.126:                              ;   in Loop: Header=BB48_112 Depth=2
	flat_load_b128 v[45:48], v[2:3]
.LBB48_127:                             ;   in Loop: Header=BB48_112 Depth=2
	s_wait_alu 0xfffe
	s_or_b32 exec_lo, exec_lo, s22
	v_mov_b32_e32 v43, 0
	v_dual_mov_b32 v44, 0 :: v_dual_add_nc_u32 v49, 17, v197
	s_mov_b32 s22, exec_lo
	s_delay_alu instid0(VALU_DEP_1)
	v_cmpx_gt_i32_e64 s82, v49
	s_cbranch_execz .LBB48_129
; %bb.128:                              ;   in Loop: Header=BB48_112 Depth=2
	v_add_co_u32 v41, vcc_lo, v212, v182
	s_wait_alu 0xfffd
	v_add_co_ci_u32_e64 v42, null, 0, v213, vcc_lo
	flat_load_b128 v[41:44], v[41:42]
.LBB48_129:                             ;   in Loop: Header=BB48_112 Depth=2
	s_wait_alu 0xfffe
	s_or_b32 exec_lo, exec_lo, s22
	v_mov_b32_e32 v49, 0
	v_mov_b32_e32 v51, 0
	v_dual_mov_b32 v50, 0 :: v_dual_add_nc_u32 v53, 18, v197
	v_mov_b32_e32 v52, 0
	s_mov_b32 s22, exec_lo
	s_delay_alu instid0(VALU_DEP_2)
	v_cmpx_gt_i32_e64 s82, v53
	s_cbranch_execz .LBB48_131
; %bb.130:                              ;   in Loop: Header=BB48_112 Depth=2
	v_add_co_u32 v49, vcc_lo, v208, v182
	s_wait_alu 0xfffd
	v_add_co_ci_u32_e64 v50, null, 0, v209, vcc_lo
	flat_load_b128 v[49:52], v[49:50] offset:-8
.LBB48_131:                             ;   in Loop: Header=BB48_112 Depth=2
	s_wait_alu 0xfffe
	s_or_b32 exec_lo, exec_lo, s22
	v_add_nc_u32_e32 v53, 19, v197
	s_delay_alu instid0(VALU_DEP_1)
	v_cmp_gt_i32_e64 s22, s82, v53
	s_branch .LBB48_134
.LBB48_132:                             ;   in Loop: Header=BB48_112 Depth=2
	s_mov_b32 s22, 0
                                        ; implicit-def: $vgpr51_vgpr52
                                        ; implicit-def: $vgpr43_vgpr44
                                        ; implicit-def: $vgpr47_vgpr48
	s_cbranch_execz .LBB48_134
; %bb.133:                              ;   in Loop: Header=BB48_112 Depth=2
	s_wait_loadcnt_dscnt 0x0
	v_add_co_u32 v41, vcc_lo, v212, v182
	s_wait_alu 0xfffd
	v_add_co_ci_u32_e64 v42, null, 0, v213, vcc_lo
	v_add_co_u32 v49, vcc_lo, v208, v182
	s_wait_alu 0xfffd
	v_add_co_ci_u32_e64 v50, null, 0, v209, vcc_lo
	flat_load_b128 v[45:48], v[2:3]
	flat_load_b128 v[41:44], v[41:42]
	flat_load_b128 v[49:52], v[49:50] offset:-8
	s_wait_alu 0xfffe
	s_or_b32 s22, s22, exec_lo
.LBB48_134:                             ;   in Loop: Header=BB48_112 Depth=2
	v_mov_b32_e32 v53, 0
	v_dual_mov_b32 v54, 0 :: v_dual_mov_b32 v55, 0
	v_mov_b32_e32 v56, 0
	s_wait_alu 0xfffe
	s_and_saveexec_b32 s83, s22
	s_cbranch_execz .LBB48_136
; %bb.135:                              ;   in Loop: Header=BB48_112 Depth=2
	v_add_co_u32 v2, vcc_lo, v220, v182
	s_wait_alu 0xfffd
	v_add_co_ci_u32_e64 v3, null, 0, v221, vcc_lo
	flat_load_b128 v[53:56], v[2:3]
.LBB48_136:                             ;   in Loop: Header=BB48_112 Depth=2
	s_wait_alu 0xfffe
	s_or_b32 exec_lo, exec_lo, s83
	ds_load_b128 v[61:64], v183
	ds_load_b128 v[57:60], v198 offset:256
	v_cmp_ne_u32_e32 vcc_lo, 1, v4
	s_and_b32 vcc_lo, exec_lo, vcc_lo
	s_wait_loadcnt_dscnt 0x1
	v_mul_f64_e32 v[2:3], v[47:48], v[63:64]
	v_mul_f64_e32 v[65:66], v[47:48], v[61:62]
	;; [unrolled: 1-line block ×8, first 2 shown]
	v_fma_f64 v[73:74], v[45:46], v[61:62], v[2:3]
	v_fma_f64 v[75:76], v[45:46], v[63:64], -v[65:66]
	v_fma_f64 v[77:78], v[41:42], v[61:62], v[67:68]
	v_fma_f64 v[79:80], v[41:42], v[63:64], -v[69:70]
	;; [unrolled: 2-line block ×4, first 2 shown]
	ds_load_b128 v[69:72], v198 offset:272
	ds_load_b128 v[65:68], v198 offset:288
	;; [unrolled: 1-line block ×3, first 2 shown]
	v_add_co_u32 v2, s22, v214, v182
	s_wait_alu 0xf1ff
	v_add_co_ci_u32_e64 v3, null, 0, v215, s22
	ds_store_b128 v199, v[73:76]
	ds_store_b128 v199, v[77:80] offset:1072
	ds_store_b128 v199, v[81:84] offset:2144
	;; [unrolled: 1-line block ×3, first 2 shown]
	s_wait_dscnt 0x0
	s_barrier_signal -1
	s_barrier_wait -1
	global_inv scope:SCOPE_SE
	ds_load_b128 v[145:148], v200
	ds_load_b128 v[141:144], v200 offset:16
	ds_load_b128 v[137:140], v200 offset:32
	;; [unrolled: 1-line block ×3, first 2 shown]
	s_wait_loadcnt_dscnt 0x0
	s_barrier_signal -1
	s_barrier_wait -1
	global_inv scope:SCOPE_SE
	s_wait_alu 0xfffe
	s_cbranch_vccnz .LBB48_144
; %bb.137:                              ;   in Loop: Header=BB48_112 Depth=2
	v_mov_b32_e32 v73, 0
	v_mov_b32_e32 v77, 0
	;; [unrolled: 1-line block ×3, first 2 shown]
	v_dual_mov_b32 v74, 0 :: v_dual_add_nc_u32 v75, 32, v197
	v_mov_b32_e32 v78, 0
	v_mov_b32_e32 v80, 0
	s_mov_b32 s22, exec_lo
	s_delay_alu instid0(VALU_DEP_3)
	v_cmpx_gt_i32_e64 s82, v75
	s_cbranch_execz .LBB48_139
; %bb.138:                              ;   in Loop: Header=BB48_112 Depth=2
	flat_load_b128 v[77:80], v[2:3] offset:-8
.LBB48_139:                             ;   in Loop: Header=BB48_112 Depth=2
	s_wait_alu 0xfffe
	s_or_b32 exec_lo, exec_lo, s22
	v_mov_b32_e32 v75, 0
	v_dual_mov_b32 v76, 0 :: v_dual_add_nc_u32 v81, 33, v197
	s_mov_b32 s22, exec_lo
	s_delay_alu instid0(VALU_DEP_1)
	v_cmpx_gt_i32_e64 s82, v81
	s_cbranch_execz .LBB48_141
; %bb.140:                              ;   in Loop: Header=BB48_112 Depth=2
	v_add_co_u32 v73, vcc_lo, v218, v182
	s_wait_alu 0xfffd
	v_add_co_ci_u32_e64 v74, null, 0, v219, vcc_lo
	flat_load_b128 v[73:76], v[73:74] offset:-8
.LBB48_141:                             ;   in Loop: Header=BB48_112 Depth=2
	s_wait_alu 0xfffe
	s_or_b32 exec_lo, exec_lo, s22
	v_mov_b32_e32 v81, 0
	v_mov_b32_e32 v83, 0
	v_dual_mov_b32 v82, 0 :: v_dual_add_nc_u32 v101, 34, v197
	v_mov_b32_e32 v84, 0
	s_mov_b32 s22, exec_lo
	s_delay_alu instid0(VALU_DEP_2)
	v_cmpx_gt_i32_e64 s82, v101
	s_cbranch_execz .LBB48_143
; %bb.142:                              ;   in Loop: Header=BB48_112 Depth=2
	v_add_co_u32 v81, vcc_lo, v222, v182
	s_wait_alu 0xfffd
	v_add_co_ci_u32_e64 v82, null, 0, v223, vcc_lo
	flat_load_b128 v[81:84], v[81:82] offset:-8
.LBB48_143:                             ;   in Loop: Header=BB48_112 Depth=2
	s_wait_alu 0xfffe
	s_or_b32 exec_lo, exec_lo, s22
	v_add_nc_u32_e32 v101, 35, v197
	s_delay_alu instid0(VALU_DEP_1)
	v_cmp_gt_i32_e64 s22, s82, v101
	s_branch .LBB48_146
.LBB48_144:                             ;   in Loop: Header=BB48_112 Depth=2
	s_mov_b32 s22, 0
                                        ; implicit-def: $vgpr83_vgpr84
                                        ; implicit-def: $vgpr75_vgpr76
                                        ; implicit-def: $vgpr79_vgpr80
	s_cbranch_execz .LBB48_146
; %bb.145:                              ;   in Loop: Header=BB48_112 Depth=2
	s_wait_loadcnt_dscnt 0x0
	v_add_co_u32 v73, vcc_lo, v218, v182
	s_wait_alu 0xfffd
	v_add_co_ci_u32_e64 v74, null, 0, v219, vcc_lo
	v_add_co_u32 v81, vcc_lo, v222, v182
	s_wait_alu 0xfffd
	v_add_co_ci_u32_e64 v82, null, 0, v223, vcc_lo
	flat_load_b128 v[77:80], v[2:3] offset:-8
	flat_load_b128 v[73:76], v[73:74] offset:-8
	;; [unrolled: 1-line block ×3, first 2 shown]
	s_wait_alu 0xfffe
	s_or_b32 s22, s22, exec_lo
.LBB48_146:                             ;   in Loop: Header=BB48_112 Depth=2
	v_mov_b32_e32 v101, 0
	v_dual_mov_b32 v102, 0 :: v_dual_mov_b32 v103, 0
	v_mov_b32_e32 v104, 0
	s_wait_alu 0xfffe
	s_and_saveexec_b32 s83, s22
	s_cbranch_execz .LBB48_148
; %bb.147:                              ;   in Loop: Header=BB48_112 Depth=2
	v_add_co_u32 v2, vcc_lo, v210, v182
	s_wait_alu 0xfffd
	v_add_co_ci_u32_e64 v3, null, 0, v211, vcc_lo
	flat_load_b128 v[101:104], v[2:3] offset:-8
.LBB48_148:                             ;   in Loop: Header=BB48_112 Depth=2
	s_wait_alu 0xfffe
	s_or_b32 exec_lo, exec_lo, s83
	ds_load_b128 v[109:112], v183
	ds_load_b128 v[105:108], v198 offset:512
	v_cmp_ne_u32_e32 vcc_lo, 1, v4
	s_and_b32 vcc_lo, exec_lo, vcc_lo
	s_wait_loadcnt_dscnt 0x1
	v_mul_f64_e32 v[2:3], v[79:80], v[111:112]
	v_mul_f64_e32 v[115:116], v[79:80], v[109:110]
	;; [unrolled: 1-line block ×6, first 2 shown]
	v_fma_f64 v[113:114], v[77:78], v[109:110], v[2:3]
	v_mul_f64_e32 v[2:3], v[83:84], v[109:110]
	v_fma_f64 v[115:116], v[77:78], v[111:112], -v[115:116]
	v_fma_f64 v[117:118], v[73:74], v[109:110], v[117:118]
	v_fma_f64 v[119:120], v[73:74], v[111:112], -v[119:120]
	v_fma_f64 v[121:122], v[81:82], v[109:110], v[121:122]
	v_fma_f64 v[127:128], v[101:102], v[111:112], -v[127:128]
	ds_store_b128 v199, v[113:116]
	ds_store_b128 v199, v[117:120] offset:1072
	v_fma_f64 v[123:124], v[81:82], v[111:112], -v[2:3]
	v_mul_f64_e32 v[2:3], v[103:104], v[111:112]
	s_delay_alu instid0(VALU_DEP_1)
	v_fma_f64 v[125:126], v[101:102], v[109:110], v[2:3]
	ds_load_b128 v[113:116], v198 offset:528
	ds_load_b128 v[109:112], v198 offset:544
	ds_store_b128 v199, v[121:124] offset:2144
	ds_load_b128 v[117:120], v198 offset:560
	v_add_co_u32 v2, s22, v249, v182
	s_wait_alu 0xf1ff
	v_add_co_ci_u32_e64 v3, null, 0, v250, s22
	ds_store_b128 v199, v[125:128] offset:3216
	s_wait_dscnt 0x0
	s_barrier_signal -1
	s_barrier_wait -1
	global_inv scope:SCOPE_SE
	ds_load_b128 v[169:172], v200
	ds_load_b128 v[165:168], v200 offset:16
	ds_load_b128 v[161:164], v200 offset:32
	;; [unrolled: 1-line block ×3, first 2 shown]
	s_wait_loadcnt_dscnt 0x0
	s_barrier_signal -1
	s_barrier_wait -1
	global_inv scope:SCOPE_SE
	s_wait_alu 0xfffe
	s_cbranch_vccnz .LBB48_156
; %bb.149:                              ;   in Loop: Header=BB48_112 Depth=2
	v_dual_mov_b32 v121, 0 :: v_dual_add_nc_u32 v4, 48, v197
	v_dual_mov_b32 v122, 0 :: v_dual_mov_b32 v125, 0
	v_dual_mov_b32 v126, 0 :: v_dual_mov_b32 v127, 0
	v_mov_b32_e32 v128, 0
	s_mov_b32 s22, exec_lo
	v_cmpx_gt_i32_e64 s82, v4
	s_cbranch_execz .LBB48_151
; %bb.150:                              ;   in Loop: Header=BB48_112 Depth=2
	flat_load_b128 v[125:128], v[2:3] offset:-8
.LBB48_151:                             ;   in Loop: Header=BB48_112 Depth=2
	s_wait_alu 0xfffe
	s_or_b32 exec_lo, exec_lo, s22
	v_dual_mov_b32 v123, 0 :: v_dual_add_nc_u32 v4, 49, v197
	v_mov_b32_e32 v124, 0
	s_mov_b32 s22, exec_lo
	s_delay_alu instid0(VALU_DEP_2)
	v_cmpx_gt_i32_e64 s82, v4
	s_cbranch_execz .LBB48_153
; %bb.152:                              ;   in Loop: Header=BB48_112 Depth=2
	v_add_co_u32 v121, vcc_lo, v253, v182
	s_wait_alu 0xfffd
	v_add_co_ci_u32_e64 v122, null, 0, v254, vcc_lo
	flat_load_b128 v[121:124], v[121:122] offset:-8
.LBB48_153:                             ;   in Loop: Header=BB48_112 Depth=2
	s_wait_alu 0xfffe
	s_or_b32 exec_lo, exec_lo, s22
	v_dual_mov_b32 v129, 0 :: v_dual_add_nc_u32 v4, 50, v197
	v_dual_mov_b32 v130, 0 :: v_dual_mov_b32 v131, 0
	v_mov_b32_e32 v132, 0
	s_mov_b32 s22, exec_lo
	s_delay_alu instid0(VALU_DEP_3)
	v_cmpx_gt_i32_e64 s82, v4
	s_cbranch_execz .LBB48_155
; %bb.154:                              ;   in Loop: Header=BB48_112 Depth=2
	v_add_co_u32 v129, vcc_lo, v206, v182
	s_wait_alu 0xfffd
	v_add_co_ci_u32_e64 v130, null, 0, v207, vcc_lo
	flat_load_b128 v[129:132], v[129:130]
.LBB48_155:                             ;   in Loop: Header=BB48_112 Depth=2
	s_wait_alu 0xfffe
	s_or_b32 exec_lo, exec_lo, s22
	v_add_nc_u32_e32 v4, 51, v197
	s_delay_alu instid0(VALU_DEP_1)
	v_cmp_gt_i32_e64 s22, s82, v4
	s_branch .LBB48_158
.LBB48_156:                             ;   in Loop: Header=BB48_112 Depth=2
	s_mov_b32 s22, 0
                                        ; implicit-def: $vgpr131_vgpr132
                                        ; implicit-def: $vgpr123_vgpr124
                                        ; implicit-def: $vgpr127_vgpr128
	s_cbranch_execz .LBB48_158
; %bb.157:                              ;   in Loop: Header=BB48_112 Depth=2
	s_wait_loadcnt_dscnt 0x0
	v_add_co_u32 v121, vcc_lo, v253, v182
	s_wait_alu 0xfffd
	v_add_co_ci_u32_e64 v122, null, 0, v254, vcc_lo
	v_add_co_u32 v129, vcc_lo, v206, v182
	s_wait_alu 0xfffd
	v_add_co_ci_u32_e64 v130, null, 0, v207, vcc_lo
	flat_load_b128 v[125:128], v[2:3] offset:-8
	flat_load_b128 v[121:124], v[121:122] offset:-8
	flat_load_b128 v[129:132], v[129:130]
	s_wait_alu 0xfffe
	s_or_b32 s22, s22, exec_lo
.LBB48_158:                             ;   in Loop: Header=BB48_112 Depth=2
	v_mov_b32_e32 v149, 0
	v_dual_mov_b32 v150, 0 :: v_dual_mov_b32 v151, 0
	v_mov_b32_e32 v152, 0
	s_wait_alu 0xfffe
	s_and_saveexec_b32 s83, s22
	s_cbranch_execz .LBB48_160
; %bb.159:                              ;   in Loop: Header=BB48_112 Depth=2
	v_add_co_u32 v2, vcc_lo, v245, v182
	s_wait_alu 0xfffd
	v_add_co_ci_u32_e64 v3, null, 0, v246, vcc_lo
	flat_load_b128 v[149:152], v[2:3] offset:-8
.LBB48_160:                             ;   in Loop: Header=BB48_112 Depth=2
	s_wait_alu 0xfffe
	s_or_b32 exec_lo, exec_lo, s83
	ds_load_b128 v[224:227], v183
	ds_load_b128 v[153:156], v198 offset:768
	v_cmp_gt_i32_e32 vcc_lo, s82, v181
	s_or_b32 s22, s75, vcc_lo
	s_wait_alu 0xfffe
	s_and_b32 s75, s21, s22
	s_wait_loadcnt_dscnt 0x1
	v_mul_f64_e32 v[2:3], v[127:128], v[226:227]
	v_mul_f64_e32 v[175:176], v[127:128], v[224:225]
	;; [unrolled: 1-line block ×4, first 2 shown]
	s_delay_alu instid0(VALU_DEP_4) | instskip(SKIP_4) | instid1(VALU_DEP_4)
	v_fma_f64 v[228:229], v[125:126], v[224:225], v[2:3]
	v_mul_f64_e32 v[2:3], v[123:124], v[226:227]
	v_fma_f64 v[230:231], v[125:126], v[226:227], -v[175:176]
	v_mul_f64_e32 v[175:176], v[123:124], v[224:225]
	v_fma_f64 v[177:178], v[129:130], v[226:227], -v[177:178]
	v_fma_f64 v[232:233], v[121:122], v[224:225], v[2:3]
	v_mul_f64_e32 v[2:3], v[131:132], v[226:227]
	s_delay_alu instid0(VALU_DEP_4) | instskip(NEXT) | instid1(VALU_DEP_2)
	v_fma_f64 v[234:235], v[121:122], v[226:227], -v[175:176]
	v_fma_f64 v[175:176], v[129:130], v[224:225], v[2:3]
	v_mul_f64_e32 v[2:3], v[151:152], v[226:227]
	v_fma_f64 v[226:227], v[149:150], v[226:227], -v[190:191]
	s_delay_alu instid0(VALU_DEP_2)
	v_fma_f64 v[224:225], v[149:150], v[224:225], v[2:3]
	v_add_f64_e32 v[2:3], 0, v[169:170]
	v_add_f64_e32 v[169:170], 0, v[171:172]
	ds_store_b128 v199, v[228:231]
	ds_store_b128 v199, v[232:235] offset:1072
	ds_store_b128 v199, v[175:178] offset:2144
	;; [unrolled: 1-line block ×3, first 2 shown]
	v_add_f64_e32 v[2:3], v[2:3], v[165:166]
	v_add_f64_e32 v[165:166], v[169:170], v[167:168]
	s_delay_alu instid0(VALU_DEP_2) | instskip(NEXT) | instid1(VALU_DEP_2)
	v_add_f64_e32 v[2:3], v[2:3], v[161:162]
	v_add_f64_e32 v[161:162], v[165:166], v[163:164]
	s_delay_alu instid0(VALU_DEP_2) | instskip(SKIP_2) | instid1(VALU_DEP_4)
	v_add_f64_e32 v[157:158], v[2:3], v[157:158]
	v_add_f64_e32 v[2:3], 0, v[97:98]
	;; [unrolled: 1-line block ×4, first 2 shown]
	s_delay_alu instid0(VALU_DEP_3) | instskip(NEXT) | instid1(VALU_DEP_3)
	v_add_f64_e32 v[2:3], v[2:3], v[93:94]
	v_add_f64_e32 v[93:94], v[97:98], v[95:96]
	s_delay_alu instid0(VALU_DEP_2) | instskip(NEXT) | instid1(VALU_DEP_2)
	v_add_f64_e32 v[2:3], v[2:3], v[89:90]
	v_add_f64_e32 v[89:90], v[93:94], v[91:92]
	s_delay_alu instid0(VALU_DEP_2) | instskip(SKIP_2) | instid1(VALU_DEP_4)
	v_add_f64_e32 v[97:98], v[2:3], v[85:86]
	v_add_f64_e32 v[85:86], 0, v[147:148]
	;; [unrolled: 1-line block ×4, first 2 shown]
	s_delay_alu instid0(VALU_DEP_3) | instskip(NEXT) | instid1(VALU_DEP_3)
	v_add_f64_e32 v[85:86], v[85:86], v[143:144]
	v_add_f64_e32 v[2:3], v[2:3], v[141:142]
	s_delay_alu instid0(VALU_DEP_2) | instskip(NEXT) | instid1(VALU_DEP_2)
	v_add_f64_e32 v[85:86], v[85:86], v[139:140]
	v_add_f64_e32 v[2:3], v[2:3], v[137:138]
	s_delay_alu instid0(VALU_DEP_2)
	v_add_f64_e32 v[135:136], v[85:86], v[135:136]
	ds_load_b128 v[93:96], v198 offset:784
	ds_load_b128 v[89:92], v198 offset:800
	;; [unrolled: 1-line block ×3, first 2 shown]
	s_wait_dscnt 0x0
	s_barrier_signal -1
	s_barrier_wait -1
	global_inv scope:SCOPE_SE
	ds_load_b128 v[137:140], v200
	ds_load_b128 v[141:144], v200 offset:16
	v_add_f64_e32 v[133:134], v[2:3], v[133:134]
	s_wait_dscnt 0x1
	v_add_f64_e32 v[2:3], 0, v[137:138]
	v_add_f64_e32 v[137:138], 0, v[139:140]
	s_wait_dscnt 0x0
	s_delay_alu instid0(VALU_DEP_2) | instskip(NEXT) | instid1(VALU_DEP_2)
	v_add_f64_e32 v[2:3], v[2:3], v[141:142]
	v_add_f64_e32 v[145:146], v[137:138], v[143:144]
	ds_load_b128 v[137:140], v200 offset:32
	ds_load_b128 v[141:144], v200 offset:48
	s_wait_loadcnt_dscnt 0x0
	s_barrier_signal -1
	s_barrier_wait -1
	global_inv scope:SCOPE_SE
	ds_store_b128 v237, v[97:100]
	ds_store_b128 v237, v[133:136] offset:256
	ds_store_b128 v237, v[157:160] offset:512
	v_add_f64_e32 v[2:3], v[2:3], v[137:138]
	v_add_f64_e32 v[139:140], v[145:146], v[139:140]
	s_delay_alu instid0(VALU_DEP_2) | instskip(NEXT) | instid1(VALU_DEP_2)
	v_add_f64_e32 v[137:138], v[2:3], v[141:142]
	v_add_f64_e32 v[139:140], v[139:140], v[143:144]
	ds_store_b128 v237, v[137:140] offset:768
	s_wait_loadcnt_dscnt 0x0
	s_barrier_signal -1
	s_barrier_wait -1
	global_inv scope:SCOPE_SE
	s_wait_alu 0xfffe
	s_and_saveexec_b32 s22, s75
	s_cbranch_execz .LBB48_162
; %bb.161:                              ;   in Loop: Header=BB48_112 Depth=2
	ds_load_b128 v[97:100], v201
	ds_load_b128 v[133:136], v201 offset:16
	s_wait_dscnt 0x0
	v_add_f64_e32 v[2:3], v[133:134], v[97:98]
	v_add_f64_e32 v[137:138], v[135:136], v[99:100]
	ds_load_b128 v[97:100], v201 offset:32
	ds_load_b128 v[133:136], v201 offset:48
	s_wait_dscnt 0x1
	v_add_f64_e32 v[2:3], v[2:3], v[97:98]
	v_add_f64_e32 v[97:98], v[137:138], v[99:100]
	s_wait_dscnt 0x0
	s_delay_alu instid0(VALU_DEP_2) | instskip(NEXT) | instid1(VALU_DEP_2)
	v_add_f64_e32 v[2:3], v[2:3], v[133:134]
	v_add_f64_e32 v[137:138], v[97:98], v[135:136]
	ds_load_b128 v[97:100], v201 offset:64
	ds_load_b128 v[133:136], v201 offset:80
	s_wait_dscnt 0x1
	v_add_f64_e32 v[2:3], v[2:3], v[97:98]
	v_add_f64_e32 v[97:98], v[137:138], v[99:100]
	s_wait_dscnt 0x0
	s_delay_alu instid0(VALU_DEP_2) | instskip(NEXT) | instid1(VALU_DEP_2)
	;; [unrolled: 9-line block ×6, first 2 shown]
	v_add_f64_e32 v[2:3], v[2:3], v[133:134]
	v_add_f64_e32 v[137:138], v[97:98], v[135:136]
	ds_load_b128 v[97:100], v201 offset:224
	ds_load_b128 v[133:136], v202
	s_wait_dscnt 0x1
	v_add_f64_e32 v[2:3], v[2:3], v[97:98]
	v_add_f64_e32 v[99:100], v[137:138], v[99:100]
	s_wait_dscnt 0x0
	s_delay_alu instid0(VALU_DEP_2) | instskip(NEXT) | instid1(VALU_DEP_2)
	v_add_f64_e32 v[97:98], v[2:3], v[133:134]
	v_add_f64_e32 v[99:100], v[99:100], v[135:136]
	v_add_nc_u32_e32 v2, s74, v181
	s_delay_alu instid0(VALU_DEP_1) | instskip(NEXT) | instid1(VALU_DEP_1)
	v_ashrrev_i32_e32 v3, 31, v2
	v_lshlrev_b64_e32 v[2:3], 4, v[2:3]
	s_delay_alu instid0(VALU_DEP_1) | instskip(SKIP_1) | instid1(VALU_DEP_2)
	v_add_co_u32 v2, vcc_lo, s72, v2
	s_wait_alu 0xfffd
	v_add_co_ci_u32_e64 v3, null, s73, v3, vcc_lo
	global_store_b128 v[2:3], v[97:100], off
.LBB48_162:                             ;   in Loop: Header=BB48_112 Depth=2
	s_wait_alu 0xfffe
	s_or_b32 exec_lo, exec_lo, s22
	v_mul_f64_e32 v[2:3], v[15:16], v[27:28]
	v_add_co_u32 v243, vcc_lo, v243, s62
	s_wait_alu 0xfffd
	v_add_co_ci_u32_e64 v244, null, s63, v244, vcc_lo
	v_add_co_u32 v245, vcc_lo, v245, s62
	s_wait_alu 0xfffd
	v_add_co_ci_u32_e64 v246, null, s63, v246, vcc_lo
	;; [unrolled: 3-line block ×9, first 2 shown]
	v_add_co_u32 v210, vcc_lo, v210, s62
	v_fma_f64 v[2:3], v[13:14], v[25:26], -v[2:3]
	v_mul_f64_e32 v[13:14], v[13:14], v[27:28]
	v_mul_f64_e32 v[27:28], v[43:44], v[71:72]
	s_wait_alu 0xfffd
	v_add_co_ci_u32_e64 v211, null, s63, v211, vcc_lo
	v_add_co_u32 v212, vcc_lo, v212, s62
	s_wait_alu 0xfffd
	v_add_co_ci_u32_e64 v213, null, s63, v213, vcc_lo
	v_add_co_u32 v214, vcc_lo, v214, s62
	;; [unrolled: 3-line block ×6, first 2 shown]
	s_wait_alu 0xfffd
	v_add_co_ci_u32_e64 v223, null, s63, v223, vcc_lo
	s_add_co_i32 s75, s81, 2
	s_add_co_i32 s22, s81, 1
	;; [unrolled: 1-line block ×3, first 2 shown]
	s_wait_alu 0xfffe
	s_cmp_ge_u32 s75, s46
	s_wait_loadcnt 0x0
	s_wait_storecnt 0x0
	s_barrier_signal -1
	s_barrier_wait -1
	global_inv scope:SCOPE_SE
	v_add_f64_e32 v[2:3], v[5:6], v[2:3]
	v_fma_f64 v[13:14], v[15:16], v[25:26], v[13:14]
	v_mul_f64_e32 v[15:16], v[11:12], v[39:40]
	v_mul_f64_e32 v[25:26], v[45:46], v[59:60]
	v_fma_f64 v[27:28], v[41:42], v[69:70], -v[27:28]
	s_delay_alu instid0(VALU_DEP_4) | instskip(NEXT) | instid1(VALU_DEP_4)
	v_add_f64_e32 v[4:5], v[7:8], v[13:14]
	v_fma_f64 v[15:16], v[9:10], v[37:38], -v[15:16]
	v_mul_f64_e32 v[9:10], v[9:10], v[39:40]
	v_fma_f64 v[25:26], v[47:48], v[57:58], v[25:26]
	v_mul_f64_e32 v[39:40], v[79:80], v[107:108]
	s_delay_alu instid0(VALU_DEP_4) | instskip(NEXT) | instid1(VALU_DEP_4)
	v_add_f64_e32 v[2:3], v[2:3], v[15:16]
	v_fma_f64 v[9:10], v[11:12], v[37:38], v[9:10]
	v_mul_f64_e32 v[11:12], v[19:20], v[35:36]
	v_mul_f64_e32 v[37:38], v[53:54], v[63:64]
	v_fma_f64 v[39:40], v[77:78], v[105:106], -v[39:40]
	s_delay_alu instid0(VALU_DEP_4) | instskip(NEXT) | instid1(VALU_DEP_4)
	v_add_f64_e32 v[4:5], v[4:5], v[9:10]
	v_fma_f64 v[11:12], v[17:18], v[33:34], -v[11:12]
	v_mul_f64_e32 v[17:18], v[17:18], v[35:36]
	v_mul_f64_e32 v[35:36], v[55:56], v[63:64]
	v_fma_f64 v[37:38], v[55:56], v[61:62], v[37:38]
	v_mul_f64_e32 v[55:56], v[127:128], v[155:156]
	v_mul_f64_e32 v[63:64], v[131:132], v[91:92]
	v_add_f64_e32 v[2:3], v[2:3], v[11:12]
	v_fma_f64 v[17:18], v[19:20], v[33:34], v[17:18]
	v_mul_f64_e32 v[19:20], v[23:24], v[31:32]
	v_mul_f64_e32 v[33:34], v[49:50], v[67:68]
	v_fma_f64 v[35:36], v[53:54], v[61:62], -v[35:36]
	v_mul_f64_e32 v[53:54], v[101:102], v[119:120]
	v_fma_f64 v[55:56], v[125:126], v[153:154], -v[55:56]
	;; [unrolled: 2-line block ×3, first 2 shown]
	v_add_f64_e32 v[4:5], v[4:5], v[17:18]
	v_fma_f64 v[19:20], v[21:22], v[29:30], -v[19:20]
	v_mul_f64_e32 v[21:22], v[21:22], v[31:32]
	v_mul_f64_e32 v[31:32], v[51:52], v[67:68]
	v_fma_f64 v[33:34], v[51:52], v[65:66], v[33:34]
	v_mul_f64_e32 v[51:52], v[103:104], v[119:120]
	v_fma_f64 v[53:54], v[103:104], v[117:118], v[53:54]
	v_fma_f64 v[61:62], v[123:124], v[93:94], v[61:62]
	v_mul_f64_e32 v[67:68], v[151:152], v[87:88]
	v_add_f64_e32 v[2:3], v[2:3], v[19:20]
	v_fma_f64 v[21:22], v[23:24], v[29:30], v[21:22]
	v_mul_f64_e32 v[23:24], v[47:48], v[59:60]
	v_mul_f64_e32 v[29:30], v[41:42], v[71:72]
	v_fma_f64 v[31:32], v[49:50], v[65:66], -v[31:32]
	v_mul_f64_e32 v[41:42], v[77:78], v[107:108]
	v_mul_f64_e32 v[47:48], v[83:84], v[111:112]
	;; [unrolled: 1-line block ×3, first 2 shown]
	v_fma_f64 v[51:52], v[101:102], v[117:118], -v[51:52]
	v_mul_f64_e32 v[59:60], v[123:124], v[95:96]
	v_mul_f64_e32 v[65:66], v[129:130], v[91:92]
	v_fma_f64 v[67:68], v[149:150], v[85:86], -v[67:68]
	v_add_f64_e32 v[4:5], v[4:5], v[21:22]
	v_fma_f64 v[23:24], v[45:46], v[57:58], -v[23:24]
	v_fma_f64 v[29:30], v[43:44], v[69:70], v[29:30]
	v_mul_f64_e32 v[43:44], v[75:76], v[115:116]
	v_fma_f64 v[41:42], v[79:80], v[105:106], v[41:42]
	v_mul_f64_e32 v[45:46], v[73:74], v[115:116]
	v_fma_f64 v[47:48], v[81:82], v[109:110], -v[47:48]
	v_fma_f64 v[49:50], v[83:84], v[109:110], v[49:50]
	v_mul_f64_e32 v[57:58], v[125:126], v[155:156]
	v_fma_f64 v[59:60], v[121:122], v[93:94], -v[59:60]
	v_fma_f64 v[65:66], v[131:132], v[89:90], v[65:66]
	v_mul_f64_e32 v[69:70], v[149:150], v[87:88]
	v_add_f64_e32 v[4:5], v[4:5], v[25:26]
	v_add_f64_e32 v[2:3], v[2:3], v[23:24]
	v_fma_f64 v[43:44], v[73:74], v[113:114], -v[43:44]
	v_fma_f64 v[45:46], v[75:76], v[113:114], v[45:46]
	v_fma_f64 v[57:58], v[127:128], v[153:154], v[57:58]
	;; [unrolled: 1-line block ×3, first 2 shown]
	v_add_f64_e32 v[4:5], v[4:5], v[29:30]
	v_add_f64_e32 v[2:3], v[2:3], v[27:28]
	s_delay_alu instid0(VALU_DEP_2) | instskip(NEXT) | instid1(VALU_DEP_2)
	v_add_f64_e32 v[4:5], v[4:5], v[33:34]
	v_add_f64_e32 v[2:3], v[2:3], v[31:32]
	s_delay_alu instid0(VALU_DEP_2) | instskip(NEXT) | instid1(VALU_DEP_2)
	;; [unrolled: 3-line block ×10, first 2 shown]
	v_add_f64_e32 v[7:8], v[7:8], v[69:70]
	v_add_f64_e32 v[5:6], v[2:3], v[67:68]
	s_cbranch_scc1 .LBB48_164
; %bb.163:                              ;   in Loop: Header=BB48_112 Depth=2
	s_mov_b32 s81, s22
	s_delay_alu instid0(SALU_CYCLE_1)
	s_cmp_eq_u32 s78, s81
	s_cselect_b32 s82, s33, 0
	s_and_saveexec_b32 s22, s0
	s_cbranch_execnz .LBB48_108
	s_branch .LBB48_112
.LBB48_164:                             ;   in Loop: Header=BB48_4 Depth=1
	scratch_load_b32 v2, off, off           ; 4-byte Folded Reload
	s_wait_loadcnt 0x0
	ds_store_b128 v2, v[5:8]
	s_wait_dscnt 0x0
	s_barrier_signal -1
	s_barrier_wait -1
	global_inv scope:SCOPE_SE
	s_and_saveexec_b32 s22, s79
	s_cbranch_execz .LBB48_2
; %bb.165:                              ;   in Loop: Header=BB48_4 Depth=1
	ds_load_b128 v[2:5], v182 offset:1072
	ds_load_b128 v[6:9], v182
	s_wait_dscnt 0x0
	v_add_f64_e32 v[10:11], v[2:3], v[6:7]
	v_add_f64_e32 v[12:13], v[4:5], v[8:9]
	ds_load_b128 v[2:5], v182 offset:2144
	ds_load_b128 v[6:9], v182 offset:3216
	s_wait_dscnt 0x1
	v_add_f64_e32 v[2:3], v[10:11], v[2:3]
	v_add_f64_e32 v[4:5], v[12:13], v[4:5]
	s_wait_dscnt 0x0
	s_delay_alu instid0(VALU_DEP_2)
	v_add_f64_e32 v[2:3], v[2:3], v[6:7]
	scratch_load_b64 v[6:7], off, off offset:132 ; 8-byte Folded Reload
	v_add_f64_e32 v[4:5], v[4:5], v[8:9]
	s_wait_loadcnt 0x0
	s_wait_alu 0xfffe
	v_add_co_u32 v6, vcc_lo, s72, v6
	s_wait_alu 0xfffd
	v_add_co_ci_u32_e64 v7, null, s73, v7, vcc_lo
	global_store_b128 v[6:7], v[2:5], off
	s_branch .LBB48_2
.LBB48_166:                             ;   in Loop: Header=BB48_4 Depth=1
	ds_load_b128 v[2:5], v240
	s_mov_b32 s22, exec_lo
	s_wait_dscnt 0x0
	v_xor_b32_e32 v5, 0x80000000, v5
	ds_store_b64 v193, v[2:3]
	s_wait_alu 0xfffe
	s_or_saveexec_b32 s72, s72
	v_mov_b32_e32 v2, v193
	s_wait_alu 0xfffe
	s_xor_b32 exec_lo, exec_lo, s72
	s_cbranch_execz .LBB48_34
.LBB48_167:                             ;   in Loop: Header=BB48_4 Depth=1
	v_mov_b32_e32 v4, 0
	v_dual_mov_b32 v5, 0 :: v_dual_mov_b32 v2, v188
	s_and_not1_b32 s22, s22, exec_lo
	s_and_b32 s73, s9, exec_lo
	s_wait_alu 0xfffe
	s_or_b32 s22, s22, s73
	s_or_b32 exec_lo, exec_lo, s72
	s_wait_alu 0xfffe
	s_and_saveexec_b32 s72, s22
	s_cbranch_execnz .LBB48_35
	s_branch .LBB48_36
.LBB48_168:                             ;   in Loop: Header=BB48_4 Depth=1
	ds_load_b128 v[9:12], v240
	s_mov_b32 s22, exec_lo
	s_wait_dscnt 0x0
	v_xor_b32_e32 v12, 0x80000000, v12
	ds_store_b64 v193, v[9:10]
	s_wait_alu 0xfffe
	s_or_saveexec_b32 s72, s72
	v_mov_b32_e32 v2, v193
	s_wait_alu 0xfffe
	s_xor_b32 exec_lo, exec_lo, s72
	s_cbranch_execz .LBB48_72
.LBB48_169:                             ;   in Loop: Header=BB48_4 Depth=1
	v_dual_mov_b32 v11, 0 :: v_dual_mov_b32 v2, v188
	v_mov_b32_e32 v12, 0
	s_and_not1_b32 s22, s22, exec_lo
	s_and_b32 s73, s9, exec_lo
	s_wait_alu 0xfffe
	s_or_b32 s22, s22, s73
	s_or_b32 exec_lo, exec_lo, s72
	s_wait_alu 0xfffe
	s_and_saveexec_b32 s72, s22
	s_cbranch_execnz .LBB48_73
	s_branch .LBB48_74
.LBB48_170:                             ;   in Loop: Header=BB48_4 Depth=1
	flat_load_b128 v[9:12], v[7:8]
	s_wait_loadcnt_dscnt 0x0
	ds_store_2addr_b64 v184, v[9:10], v[11:12] offset1:1
	s_or_b32 exec_lo, exec_lo, s22
	s_and_saveexec_b32 s22, s3
	s_wait_alu 0xfffe
	s_xor_b32 s22, exec_lo, s22
	s_cbranch_execz .LBB48_17
.LBB48_171:                             ;   in Loop: Header=BB48_4 Depth=1
	v_dual_mov_b32 v2, v1 :: v_dual_mov_b32 v3, v1
	v_mov_b32_e32 v4, v1
	ds_store_b128 v236, v[1:4]
	s_wait_alu 0xfffe
	s_and_not1_saveexec_b32 s22, s22
	s_cbranch_execz .LBB48_18
.LBB48_172:                             ;   in Loop: Header=BB48_4 Depth=1
	v_add_co_u32 v2, vcc_lo, v7, s54
	s_wait_alu 0xfffd
	v_add_co_ci_u32_e64 v3, null, s55, v8, vcc_lo
	flat_load_b128 v[9:12], v[2:3]
	s_wait_loadcnt_dscnt 0x0
	ds_store_2addr_b64 v236, v[9:10], v[11:12] offset1:1
	s_wait_alu 0xfffe
	s_or_b32 exec_lo, exec_lo, s22
	s_and_saveexec_b32 s22, s4
	s_wait_alu 0xfffe
	s_xor_b32 s22, exec_lo, s22
	s_cbranch_execz .LBB48_19
.LBB48_173:                             ;   in Loop: Header=BB48_4 Depth=1
	v_dual_mov_b32 v2, v1 :: v_dual_mov_b32 v3, v1
	v_mov_b32_e32 v4, v1
	ds_store_b128 v203, v[1:4]
	s_wait_alu 0xfffe
	s_and_not1_saveexec_b32 s22, s22
	s_cbranch_execz .LBB48_20
.LBB48_174:                             ;   in Loop: Header=BB48_4 Depth=1
	v_add_co_u32 v2, vcc_lo, v7, s56
	s_wait_alu 0xfffd
	v_add_co_ci_u32_e64 v3, null, s57, v8, vcc_lo
	flat_load_b128 v[9:12], v[2:3]
	s_wait_loadcnt_dscnt 0x0
	ds_store_2addr_b64 v203, v[9:10], v[11:12] offset1:1
	s_wait_alu 0xfffe
	s_or_b32 exec_lo, exec_lo, s22
	s_and_saveexec_b32 s22, s5
	s_wait_alu 0xfffe
	s_xor_b32 s22, exec_lo, s22
	s_cbranch_execz .LBB48_21
.LBB48_175:                             ;   in Loop: Header=BB48_4 Depth=1
	v_dual_mov_b32 v2, v1 :: v_dual_mov_b32 v3, v1
	v_mov_b32_e32 v4, v1
	ds_store_b128 v187, v[1:4]
	s_wait_alu 0xfffe
	s_and_not1_saveexec_b32 s22, s22
	s_cbranch_execnz .LBB48_22
	s_branch .LBB48_23
.LBB48_176:                             ;   in Loop: Header=BB48_4 Depth=1
	flat_load_b128 v[17:20], v[11:12]
	s_wait_loadcnt_dscnt 0x0
	ds_store_2addr_b64 v184, v[17:18], v[19:20] offset1:1
	s_or_b32 exec_lo, exec_lo, s22
	s_and_saveexec_b32 s22, s17
	s_wait_alu 0xfffe
	s_xor_b32 s22, exec_lo, s22
	s_cbranch_execz .LBB48_55
.LBB48_177:                             ;   in Loop: Header=BB48_4 Depth=1
	v_dual_mov_b32 v2, v1 :: v_dual_mov_b32 v3, v1
	v_mov_b32_e32 v4, v1
	ds_store_b128 v236, v[1:4]
	s_wait_alu 0xfffe
	s_and_not1_saveexec_b32 s22, s22
	s_cbranch_execz .LBB48_56
.LBB48_178:                             ;   in Loop: Header=BB48_4 Depth=1
	v_add_co_u32 v2, vcc_lo, v11, s54
	s_wait_alu 0xfffd
	v_add_co_ci_u32_e64 v3, null, s55, v12, vcc_lo
	flat_load_b128 v[17:20], v[2:3]
	s_wait_loadcnt_dscnt 0x0
	ds_store_2addr_b64 v236, v[17:18], v[19:20] offset1:1
	s_wait_alu 0xfffe
	s_or_b32 exec_lo, exec_lo, s22
	s_and_saveexec_b32 s22, s18
	s_wait_alu 0xfffe
	s_xor_b32 s22, exec_lo, s22
	s_cbranch_execz .LBB48_57
.LBB48_179:                             ;   in Loop: Header=BB48_4 Depth=1
	v_dual_mov_b32 v2, v1 :: v_dual_mov_b32 v3, v1
	v_mov_b32_e32 v4, v1
	ds_store_b128 v203, v[1:4]
	s_wait_alu 0xfffe
	s_and_not1_saveexec_b32 s22, s22
	s_cbranch_execz .LBB48_58
.LBB48_180:                             ;   in Loop: Header=BB48_4 Depth=1
	v_add_co_u32 v2, vcc_lo, v11, s56
	s_wait_alu 0xfffd
	v_add_co_ci_u32_e64 v3, null, s57, v12, vcc_lo
	flat_load_b128 v[17:20], v[2:3]
	s_wait_loadcnt_dscnt 0x0
	ds_store_2addr_b64 v203, v[17:18], v[19:20] offset1:1
	s_wait_alu 0xfffe
	s_or_b32 exec_lo, exec_lo, s22
	s_and_saveexec_b32 s22, s19
	s_wait_alu 0xfffe
	s_xor_b32 s22, exec_lo, s22
	s_cbranch_execz .LBB48_59
.LBB48_181:                             ;   in Loop: Header=BB48_4 Depth=1
	v_dual_mov_b32 v2, v1 :: v_dual_mov_b32 v3, v1
	v_mov_b32_e32 v4, v1
	ds_store_b128 v187, v[1:4]
	s_wait_alu 0xfffe
	s_and_not1_saveexec_b32 s22, s22
	s_cbranch_execnz .LBB48_60
	s_branch .LBB48_61
.LBB48_182:                             ;   in Loop: Header=BB48_4 Depth=1
	flat_load_b128 v[15:18], v[11:12]
	s_wait_loadcnt_dscnt 0x0
	ds_store_2addr_b64 v184, v[15:16], v[17:18] offset1:1
	s_or_b32 exec_lo, exec_lo, s22
	s_and_saveexec_b32 s22, s17
	s_wait_alu 0xfffe
	s_xor_b32 s22, exec_lo, s22
	s_cbranch_execz .LBB48_93
.LBB48_183:                             ;   in Loop: Header=BB48_4 Depth=1
	v_dual_mov_b32 v2, v1 :: v_dual_mov_b32 v3, v1
	v_mov_b32_e32 v4, v1
	ds_store_b128 v236, v[1:4]
	s_wait_alu 0xfffe
	s_and_not1_saveexec_b32 s22, s22
	s_cbranch_execz .LBB48_94
.LBB48_184:                             ;   in Loop: Header=BB48_4 Depth=1
	v_add_co_u32 v2, vcc_lo, v11, s54
	s_wait_alu 0xfffd
	v_add_co_ci_u32_e64 v3, null, s55, v12, vcc_lo
	flat_load_b128 v[15:18], v[2:3]
	s_wait_loadcnt_dscnt 0x0
	ds_store_2addr_b64 v236, v[15:16], v[17:18] offset1:1
	s_wait_alu 0xfffe
	s_or_b32 exec_lo, exec_lo, s22
	s_and_saveexec_b32 s22, s18
	s_wait_alu 0xfffe
	s_xor_b32 s22, exec_lo, s22
	s_cbranch_execz .LBB48_95
.LBB48_185:                             ;   in Loop: Header=BB48_4 Depth=1
	v_dual_mov_b32 v2, v1 :: v_dual_mov_b32 v3, v1
	v_mov_b32_e32 v4, v1
	ds_store_b128 v203, v[1:4]
	s_wait_alu 0xfffe
	s_and_not1_saveexec_b32 s22, s22
	s_cbranch_execz .LBB48_96
.LBB48_186:                             ;   in Loop: Header=BB48_4 Depth=1
	v_add_co_u32 v2, vcc_lo, v11, s56
	s_wait_alu 0xfffd
	v_add_co_ci_u32_e64 v3, null, s57, v12, vcc_lo
	flat_load_b128 v[15:18], v[2:3]
	s_wait_loadcnt_dscnt 0x0
	ds_store_2addr_b64 v203, v[15:16], v[17:18] offset1:1
	s_wait_alu 0xfffe
	s_or_b32 exec_lo, exec_lo, s22
	s_and_saveexec_b32 s22, s19
	s_wait_alu 0xfffe
	s_xor_b32 s22, exec_lo, s22
	s_cbranch_execz .LBB48_97
.LBB48_187:                             ;   in Loop: Header=BB48_4 Depth=1
	v_dual_mov_b32 v2, v1 :: v_dual_mov_b32 v3, v1
	v_mov_b32_e32 v4, v1
	ds_store_b128 v187, v[1:4]
	s_wait_alu 0xfffe
	s_and_not1_saveexec_b32 s22, s22
	s_cbranch_execnz .LBB48_98
	s_branch .LBB48_99
.LBB48_188:
	s_nop 0
	s_sendmsg sendmsg(MSG_DEALLOC_VGPRS)
	s_endpgm
	.section	.rodata,"a",@progbits
	.p2align	6, 0x0
	.amdhsa_kernel _ZL26rocblas_hemvn_kernel_upperILb1ELi64ELi4ELi33ELi32ELi16ElPK19rocblas_complex_numIdEPKS3_PS1_EviT6_lT7_lT5_lS8_lS9_lS7_lT8_i
		.amdhsa_group_segment_fixed_size 19200
		.amdhsa_private_segment_fixed_size 144
		.amdhsa_kernarg_size 376
		.amdhsa_user_sgpr_count 2
		.amdhsa_user_sgpr_dispatch_ptr 0
		.amdhsa_user_sgpr_queue_ptr 0
		.amdhsa_user_sgpr_kernarg_segment_ptr 1
		.amdhsa_user_sgpr_dispatch_id 0
		.amdhsa_user_sgpr_private_segment_size 0
		.amdhsa_wavefront_size32 1
		.amdhsa_uses_dynamic_stack 0
		.amdhsa_enable_private_segment 1
		.amdhsa_system_sgpr_workgroup_id_x 1
		.amdhsa_system_sgpr_workgroup_id_y 0
		.amdhsa_system_sgpr_workgroup_id_z 1
		.amdhsa_system_sgpr_workgroup_info 0
		.amdhsa_system_vgpr_workitem_id 1
		.amdhsa_next_free_vgpr 256
		.amdhsa_next_free_sgpr 86
		.amdhsa_reserve_vcc 1
		.amdhsa_float_round_mode_32 0
		.amdhsa_float_round_mode_16_64 0
		.amdhsa_float_denorm_mode_32 3
		.amdhsa_float_denorm_mode_16_64 3
		.amdhsa_fp16_overflow 0
		.amdhsa_workgroup_processor_mode 1
		.amdhsa_memory_ordered 1
		.amdhsa_forward_progress 1
		.amdhsa_inst_pref_size 111
		.amdhsa_round_robin_scheduling 0
		.amdhsa_exception_fp_ieee_invalid_op 0
		.amdhsa_exception_fp_denorm_src 0
		.amdhsa_exception_fp_ieee_div_zero 0
		.amdhsa_exception_fp_ieee_overflow 0
		.amdhsa_exception_fp_ieee_underflow 0
		.amdhsa_exception_fp_ieee_inexact 0
		.amdhsa_exception_int_div_zero 0
	.end_amdhsa_kernel
	.section	.text._ZL26rocblas_hemvn_kernel_upperILb1ELi64ELi4ELi33ELi32ELi16ElPK19rocblas_complex_numIdEPKS3_PS1_EviT6_lT7_lT5_lS8_lS9_lS7_lT8_i,"axG",@progbits,_ZL26rocblas_hemvn_kernel_upperILb1ELi64ELi4ELi33ELi32ELi16ElPK19rocblas_complex_numIdEPKS3_PS1_EviT6_lT7_lT5_lS8_lS9_lS7_lT8_i,comdat
.Lfunc_end48:
	.size	_ZL26rocblas_hemvn_kernel_upperILb1ELi64ELi4ELi33ELi32ELi16ElPK19rocblas_complex_numIdEPKS3_PS1_EviT6_lT7_lT5_lS8_lS9_lS7_lT8_i, .Lfunc_end48-_ZL26rocblas_hemvn_kernel_upperILb1ELi64ELi4ELi33ELi32ELi16ElPK19rocblas_complex_numIdEPKS3_PS1_EviT6_lT7_lT5_lS8_lS9_lS7_lT8_i
                                        ; -- End function
	.set _ZL26rocblas_hemvn_kernel_upperILb1ELi64ELi4ELi33ELi32ELi16ElPK19rocblas_complex_numIdEPKS3_PS1_EviT6_lT7_lT5_lS8_lS9_lS7_lT8_i.num_vgpr, 256
	.set _ZL26rocblas_hemvn_kernel_upperILb1ELi64ELi4ELi33ELi32ELi16ElPK19rocblas_complex_numIdEPKS3_PS1_EviT6_lT7_lT5_lS8_lS9_lS7_lT8_i.num_agpr, 0
	.set _ZL26rocblas_hemvn_kernel_upperILb1ELi64ELi4ELi33ELi32ELi16ElPK19rocblas_complex_numIdEPKS3_PS1_EviT6_lT7_lT5_lS8_lS9_lS7_lT8_i.numbered_sgpr, 86
	.set _ZL26rocblas_hemvn_kernel_upperILb1ELi64ELi4ELi33ELi32ELi16ElPK19rocblas_complex_numIdEPKS3_PS1_EviT6_lT7_lT5_lS8_lS9_lS7_lT8_i.num_named_barrier, 0
	.set _ZL26rocblas_hemvn_kernel_upperILb1ELi64ELi4ELi33ELi32ELi16ElPK19rocblas_complex_numIdEPKS3_PS1_EviT6_lT7_lT5_lS8_lS9_lS7_lT8_i.private_seg_size, 144
	.set _ZL26rocblas_hemvn_kernel_upperILb1ELi64ELi4ELi33ELi32ELi16ElPK19rocblas_complex_numIdEPKS3_PS1_EviT6_lT7_lT5_lS8_lS9_lS7_lT8_i.uses_vcc, 1
	.set _ZL26rocblas_hemvn_kernel_upperILb1ELi64ELi4ELi33ELi32ELi16ElPK19rocblas_complex_numIdEPKS3_PS1_EviT6_lT7_lT5_lS8_lS9_lS7_lT8_i.uses_flat_scratch, 1
	.set _ZL26rocblas_hemvn_kernel_upperILb1ELi64ELi4ELi33ELi32ELi16ElPK19rocblas_complex_numIdEPKS3_PS1_EviT6_lT7_lT5_lS8_lS9_lS7_lT8_i.has_dyn_sized_stack, 0
	.set _ZL26rocblas_hemvn_kernel_upperILb1ELi64ELi4ELi33ELi32ELi16ElPK19rocblas_complex_numIdEPKS3_PS1_EviT6_lT7_lT5_lS8_lS9_lS7_lT8_i.has_recursion, 0
	.set _ZL26rocblas_hemvn_kernel_upperILb1ELi64ELi4ELi33ELi32ELi16ElPK19rocblas_complex_numIdEPKS3_PS1_EviT6_lT7_lT5_lS8_lS9_lS7_lT8_i.has_indirect_call, 0
	.section	.AMDGPU.csdata,"",@progbits
; Kernel info:
; codeLenInByte = 14136
; TotalNumSgprs: 88
; NumVgprs: 256
; ScratchSize: 144
; MemoryBound: 1
; FloatMode: 240
; IeeeMode: 1
; LDSByteSize: 19200 bytes/workgroup (compile time only)
; SGPRBlocks: 0
; VGPRBlocks: 31
; NumSGPRsForWavesPerEU: 88
; NumVGPRsForWavesPerEU: 256
; Occupancy: 5
; WaveLimiterHint : 0
; COMPUTE_PGM_RSRC2:SCRATCH_EN: 1
; COMPUTE_PGM_RSRC2:USER_SGPR: 2
; COMPUTE_PGM_RSRC2:TRAP_HANDLER: 0
; COMPUTE_PGM_RSRC2:TGID_X_EN: 1
; COMPUTE_PGM_RSRC2:TGID_Y_EN: 0
; COMPUTE_PGM_RSRC2:TGID_Z_EN: 1
; COMPUTE_PGM_RSRC2:TIDIG_COMP_CNT: 1
	.section	.text._ZL36rocblas_hemvn_kernel_upper_block_sumILi64ElPK19rocblas_complex_numIdEPKPS1_S1_EviT1_lS7_lT2_lT0_lPT3_i,"axG",@progbits,_ZL36rocblas_hemvn_kernel_upper_block_sumILi64ElPK19rocblas_complex_numIdEPKPS1_S1_EviT1_lS7_lT2_lT0_lPT3_i,comdat
	.globl	_ZL36rocblas_hemvn_kernel_upper_block_sumILi64ElPK19rocblas_complex_numIdEPKPS1_S1_EviT1_lS7_lT2_lT0_lPT3_i ; -- Begin function _ZL36rocblas_hemvn_kernel_upper_block_sumILi64ElPK19rocblas_complex_numIdEPKPS1_S1_EviT1_lS7_lT2_lT0_lPT3_i
	.p2align	8
	.type	_ZL36rocblas_hemvn_kernel_upper_block_sumILi64ElPK19rocblas_complex_numIdEPKPS1_S1_EviT1_lS7_lT2_lT0_lPT3_i,@function
_ZL36rocblas_hemvn_kernel_upper_block_sumILi64ElPK19rocblas_complex_numIdEPKPS1_S1_EviT1_lS7_lT2_lT0_lPT3_i: ; @_ZL36rocblas_hemvn_kernel_upper_block_sumILi64ElPK19rocblas_complex_numIdEPKPS1_S1_EviT1_lS7_lT2_lT0_lPT3_i
; %bb.0:
	s_load_b32 s22, s[0:1], 0x50
	s_lshr_b32 s2, ttmp7, 16
	s_wait_kmcnt 0x0
	s_cmp_ge_u32 s2, s22
	s_cbranch_scc1 .LBB49_26
; %bb.1:
	s_clause 0x2
	s_load_b32 s20, s[0:1], 0x0
	s_load_b128 s[12:15], s[0:1], 0x30
	s_load_b64 s[24:25], s[0:1], 0x48
	v_lshl_or_b32 v0, ttmp9, 6, v0
	s_clause 0x1
	s_load_b64 s[16:17], s[0:1], 0x28
	s_load_b256 s[4:11], s[0:1], 0x8
	s_add_nc_u64 s[18:19], s[0:1], 0x58
	v_mov_b32_e32 v18, 0
	s_mov_b32 s3, 0
	v_ashrrev_i32_e32 v1, 31, v0
	s_delay_alu instid0(VALU_DEP_1)
	v_lshlrev_b64_e32 v[2:3], 4, v[0:1]
	s_wait_kmcnt 0x0
	v_cmp_gt_i32_e64 s0, s20, v0
	v_mul_lo_u32 v4, s14, v1
	v_mul_lo_u32 v5, s15, v0
	v_mad_co_u64_u32 v[0:1], null, s14, v0, 0
	v_add_co_u32 v2, vcc_lo, s24, v2
	s_delay_alu instid0(VALU_DEP_1)
	v_add_co_ci_u32_e64 v3, null, s25, v3, vcc_lo
	s_ashr_i32 s21, s20, 31
	v_add_co_u32 v12, vcc_lo, v2, 8
	v_add3_u32 v1, v1, v4, v5
	s_wait_alu 0xfffd
	v_add_co_ci_u32_e64 v13, null, 0, v3, vcc_lo
	s_cmp_gt_i32 ttmp9, -1
	v_lshlrev_b64_e32 v[14:15], 4, v[0:1]
	s_cselect_b32 s23, -1, 0
	s_add_co_i32 s24, ttmp9, 1
	s_wait_alu 0xfffe
	s_lshl_b64 s[14:15], s[20:21], 4
	s_lshl_b64 s[12:13], s[12:13], 4
	s_branch .LBB49_4
.LBB49_2:                               ;   in Loop: Header=BB49_4 Depth=1
	s_wait_alu 0xfffe
	s_or_b32 exec_lo, exec_lo, s1
.LBB49_3:                               ;   in Loop: Header=BB49_4 Depth=1
	s_add_co_i32 s2, s2, 0x10000
	s_wait_alu 0xfffe
	s_cmp_lt_u32 s2, s22
	s_cbranch_scc0 .LBB49_26
.LBB49_4:                               ; =>This Loop Header: Depth=1
                                        ;     Child Loop BB49_17 Depth 2
	s_mul_u64 s[20:21], s[6:7], s[2:3]
	s_wait_alu 0xfffe
	s_lshl_b64 s[20:21], s[20:21], 4
	s_wait_alu 0xfffe
	s_add_nc_u64 s[20:21], s[4:5], s[20:21]
	global_load_b128 v[4:7], v18, s[20:21]
	s_mul_u64 s[20:21], s[10:11], s[2:3]
	s_wait_alu 0xfffe
	s_lshl_b64 s[20:21], s[20:21], 4
	s_wait_alu 0xfffe
	s_add_nc_u64 s[20:21], s[8:9], s[20:21]
	s_wait_loadcnt 0x1
	global_load_b128 v[0:3], v18, s[20:21]
	s_wait_loadcnt 0x1
	v_cmp_neq_f64_e32 vcc_lo, 0, v[4:5]
	v_cmp_neq_f64_e64 s1, 0, v[6:7]
	s_or_b32 s20, vcc_lo, s1
	s_mov_b32 s1, -1
	s_wait_alu 0xfffe
	s_and_b32 vcc_lo, exec_lo, s20
	s_wait_alu 0xfffe
	s_cbranch_vccz .LBB49_6
; %bb.5:                                ;   in Loop: Header=BB49_4 Depth=1
	s_and_not1_b32 vcc_lo, exec_lo, s1
	s_wait_alu 0xfffe
	s_cbranch_vccnz .LBB49_3
	s_branch .LBB49_7
.LBB49_6:                               ;   in Loop: Header=BB49_4 Depth=1
	s_wait_loadcnt 0x0
	v_cmp_neq_f64_e32 vcc_lo, 1.0, v[0:1]
	v_cmp_neq_f64_e64 s1, 0, v[2:3]
	s_or_b32 s1, vcc_lo, s1
	s_wait_alu 0xfffe
	s_and_not1_b32 vcc_lo, exec_lo, s1
	s_wait_alu 0xfffe
	s_cbranch_vccnz .LBB49_3
.LBB49_7:                               ;   in Loop: Header=BB49_4 Depth=1
	s_lshl_b64 s[26:27], s[2:3], 3
	s_xor_b32 s1, s20, -1
	s_add_nc_u64 s[26:27], s[16:17], s[26:27]
	s_wait_alu 0xfffe
	s_and_not1_b32 vcc_lo, exec_lo, s1
	s_load_b64 s[26:27], s[26:27], 0x0
	s_wait_kmcnt 0x0
	s_add_nc_u64 s[20:21], s[26:27], s[12:13]
	s_cbranch_vccnz .LBB49_12
; %bb.8:                                ;   in Loop: Header=BB49_4 Depth=1
	s_mov_b32 s26, 0
	s_mov_b32 s25, 0
                                        ; implicit-def: $vgpr10_vgpr11
	s_and_saveexec_b32 s27, s0
	s_cbranch_execz .LBB49_13
; %bb.9:                                ;   in Loop: Header=BB49_4 Depth=1
	s_wait_loadcnt 0x0
	v_cmp_neq_f64_e32 vcc_lo, 0, v[0:1]
	v_cmp_neq_f64_e64 s1, 0, v[2:3]
	v_mov_b32_e32 v10, 0
	v_dual_mov_b32 v11, 0 :: v_dual_mov_b32 v8, 0
	v_mov_b32_e32 v9, 0
	s_or_b32 s1, vcc_lo, s1
	s_wait_alu 0xfffe
	s_and_not1_b32 vcc_lo, exec_lo, s1
	s_wait_alu 0xfffe
	s_cbranch_vccnz .LBB49_11
; %bb.10:                               ;   in Loop: Header=BB49_4 Depth=1
	v_add_co_u32 v8, vcc_lo, s20, v14
	s_wait_alu 0xfffd
	v_add_co_ci_u32_e64 v9, null, s21, v15, vcc_lo
	flat_load_b128 v[19:22], v[8:9]
	s_wait_loadcnt_dscnt 0x0
	v_mul_f64_e32 v[8:9], v[2:3], v[21:22]
	v_mul_f64_e32 v[10:11], v[0:1], v[21:22]
	s_delay_alu instid0(VALU_DEP_2) | instskip(NEXT) | instid1(VALU_DEP_2)
	v_fma_f64 v[8:9], v[0:1], v[19:20], -v[8:9]
	v_fma_f64 v[10:11], v[2:3], v[19:20], v[10:11]
.LBB49_11:                              ;   in Loop: Header=BB49_4 Depth=1
	s_mov_b32 s25, exec_lo
	s_or_b32 exec_lo, exec_lo, s27
	s_delay_alu instid0(SALU_CYCLE_1)
	s_and_b32 vcc_lo, exec_lo, s26
	s_wait_alu 0xfffe
	s_cbranch_vccnz .LBB49_14
	s_branch .LBB49_24
.LBB49_12:                              ;   in Loop: Header=BB49_4 Depth=1
	s_mov_b32 s25, 0
                                        ; implicit-def: $vgpr10_vgpr11
	s_cbranch_execnz .LBB49_14
	s_branch .LBB49_24
.LBB49_13:                              ;   in Loop: Header=BB49_4 Depth=1
	s_or_b32 exec_lo, exec_lo, s27
	s_delay_alu instid0(SALU_CYCLE_1)
	s_and_b32 vcc_lo, exec_lo, s26
	s_wait_alu 0xfffe
	s_cbranch_vccz .LBB49_24
.LBB49_14:                              ;   in Loop: Header=BB49_4 Depth=1
                                        ; implicit-def: $vgpr10_vgpr11
	s_and_saveexec_b32 s26, s0
	s_cbranch_execz .LBB49_23
; %bb.15:                               ;   in Loop: Header=BB49_4 Depth=1
	v_mov_b32_e32 v8, 0
	v_dual_mov_b32 v9, 0 :: v_dual_mov_b32 v10, 0
	v_mov_b32_e32 v11, 0
	s_and_not1_b32 vcc_lo, exec_lo, s23
	s_wait_alu 0xfffe
	s_cbranch_vccnz .LBB49_18
; %bb.16:                               ;   in Loop: Header=BB49_4 Depth=1
	s_load_b32 s28, s[18:19], 0x0
	s_mov_b32 s29, s3
	v_mov_b32_e32 v10, 0
	s_mov_b32 s1, s24
	v_mov_b32_e32 v11, 0
	s_wait_kmcnt 0x0
	s_wait_alu 0xfffe
	s_mul_u64 s[28:29], s[14:15], s[28:29]
	s_wait_alu 0xfffe
	v_mad_co_u64_u32 v[16:17], null, s28, s2, v[12:13]
	s_delay_alu instid0(VALU_DEP_1) | instskip(NEXT) | instid1(VALU_DEP_1)
	v_mov_b32_e32 v8, v17
	v_mad_co_u64_u32 v[19:20], null, s29, s2, v[8:9]
	v_mov_b32_e32 v8, 0
	v_mov_b32_e32 v9, 0
	s_delay_alu instid0(VALU_DEP_3)
	v_mov_b32_e32 v17, v19
.LBB49_17:                              ;   Parent Loop BB49_4 Depth=1
                                        ; =>  This Inner Loop Header: Depth=2
	global_load_b128 v[19:22], v[16:17], off offset:-8
	v_add_co_u32 v16, vcc_lo, v16, s14
	s_wait_alu 0xfffd
	v_add_co_ci_u32_e64 v17, null, s15, v17, vcc_lo
	s_wait_alu 0xfffe
	s_add_co_i32 s1, s1, -1
	s_wait_alu 0xfffe
	s_cmp_eq_u32 s1, 0
	s_wait_loadcnt 0x0
	v_add_f64_e32 v[10:11], v[10:11], v[19:20]
	v_add_f64_e32 v[8:9], v[8:9], v[21:22]
	s_cbranch_scc0 .LBB49_17
.LBB49_18:                              ;   in Loop: Header=BB49_4 Depth=1
	s_delay_alu instid0(VALU_DEP_1) | instskip(SKIP_4) | instid1(VALU_DEP_4)
	v_mul_f64_e32 v[16:17], v[6:7], v[8:9]
	v_mul_f64_e32 v[19:20], v[4:5], v[8:9]
	s_wait_loadcnt 0x0
	v_cmp_neq_f64_e32 vcc_lo, 0, v[0:1]
	v_cmp_neq_f64_e64 s1, 0, v[2:3]
	v_fma_f64 v[8:9], v[4:5], v[10:11], -v[16:17]
	s_delay_alu instid0(VALU_DEP_4)
	v_fma_f64 v[10:11], v[6:7], v[10:11], v[19:20]
	s_or_b32 s1, vcc_lo, s1
	s_wait_alu 0xfffe
	s_and_not1_b32 vcc_lo, exec_lo, s1
	s_mov_b32 s1, -1
	s_wait_alu 0xfffe
	s_cbranch_vccz .LBB49_20
; %bb.19:                               ;   in Loop: Header=BB49_4 Depth=1
	s_mov_b32 s1, 0
.LBB49_20:                              ;   in Loop: Header=BB49_4 Depth=1
	s_wait_alu 0xfffe
	s_and_not1_b32 vcc_lo, exec_lo, s1
	s_wait_alu 0xfffe
	s_cbranch_vccnz .LBB49_22
; %bb.21:                               ;   in Loop: Header=BB49_4 Depth=1
	v_add_co_u32 v4, vcc_lo, s20, v14
	s_wait_alu 0xfffd
	v_add_co_ci_u32_e64 v5, null, s21, v15, vcc_lo
	flat_load_b128 v[4:7], v[4:5]
	s_wait_loadcnt_dscnt 0x0
	v_mul_f64_e32 v[16:17], v[2:3], v[6:7]
	v_mul_f64_e32 v[6:7], v[0:1], v[6:7]
	s_delay_alu instid0(VALU_DEP_2) | instskip(NEXT) | instid1(VALU_DEP_2)
	v_fma_f64 v[0:1], v[0:1], v[4:5], -v[16:17]
	v_fma_f64 v[2:3], v[2:3], v[4:5], v[6:7]
	s_delay_alu instid0(VALU_DEP_2) | instskip(NEXT) | instid1(VALU_DEP_2)
	v_add_f64_e32 v[8:9], v[8:9], v[0:1]
	v_add_f64_e32 v[10:11], v[10:11], v[2:3]
.LBB49_22:                              ;   in Loop: Header=BB49_4 Depth=1
	s_or_b32 s25, s25, exec_lo
.LBB49_23:                              ;   in Loop: Header=BB49_4 Depth=1
	s_or_b32 exec_lo, exec_lo, s26
.LBB49_24:                              ;   in Loop: Header=BB49_4 Depth=1
	s_wait_alu 0xfffe
	s_and_saveexec_b32 s1, s25
	s_cbranch_execz .LBB49_2
; %bb.25:                               ;   in Loop: Header=BB49_4 Depth=1
	s_wait_loadcnt 0x0
	v_add_co_u32 v0, vcc_lo, s20, v14
	s_wait_alu 0xfffd
	v_add_co_ci_u32_e64 v1, null, s21, v15, vcc_lo
	flat_store_b128 v[0:1], v[8:11]
	s_branch .LBB49_2
.LBB49_26:
	s_endpgm
	.section	.rodata,"a",@progbits
	.p2align	6, 0x0
	.amdhsa_kernel _ZL36rocblas_hemvn_kernel_upper_block_sumILi64ElPK19rocblas_complex_numIdEPKPS1_S1_EviT1_lS7_lT2_lT0_lPT3_i
		.amdhsa_group_segment_fixed_size 0
		.amdhsa_private_segment_fixed_size 0
		.amdhsa_kernarg_size 344
		.amdhsa_user_sgpr_count 2
		.amdhsa_user_sgpr_dispatch_ptr 0
		.amdhsa_user_sgpr_queue_ptr 0
		.amdhsa_user_sgpr_kernarg_segment_ptr 1
		.amdhsa_user_sgpr_dispatch_id 0
		.amdhsa_user_sgpr_private_segment_size 0
		.amdhsa_wavefront_size32 1
		.amdhsa_uses_dynamic_stack 0
		.amdhsa_enable_private_segment 0
		.amdhsa_system_sgpr_workgroup_id_x 1
		.amdhsa_system_sgpr_workgroup_id_y 0
		.amdhsa_system_sgpr_workgroup_id_z 1
		.amdhsa_system_sgpr_workgroup_info 0
		.amdhsa_system_vgpr_workitem_id 0
		.amdhsa_next_free_vgpr 23
		.amdhsa_next_free_sgpr 30
		.amdhsa_reserve_vcc 1
		.amdhsa_float_round_mode_32 0
		.amdhsa_float_round_mode_16_64 0
		.amdhsa_float_denorm_mode_32 3
		.amdhsa_float_denorm_mode_16_64 3
		.amdhsa_fp16_overflow 0
		.amdhsa_workgroup_processor_mode 1
		.amdhsa_memory_ordered 1
		.amdhsa_forward_progress 1
		.amdhsa_inst_pref_size 9
		.amdhsa_round_robin_scheduling 0
		.amdhsa_exception_fp_ieee_invalid_op 0
		.amdhsa_exception_fp_denorm_src 0
		.amdhsa_exception_fp_ieee_div_zero 0
		.amdhsa_exception_fp_ieee_overflow 0
		.amdhsa_exception_fp_ieee_underflow 0
		.amdhsa_exception_fp_ieee_inexact 0
		.amdhsa_exception_int_div_zero 0
	.end_amdhsa_kernel
	.section	.text._ZL36rocblas_hemvn_kernel_upper_block_sumILi64ElPK19rocblas_complex_numIdEPKPS1_S1_EviT1_lS7_lT2_lT0_lPT3_i,"axG",@progbits,_ZL36rocblas_hemvn_kernel_upper_block_sumILi64ElPK19rocblas_complex_numIdEPKPS1_S1_EviT1_lS7_lT2_lT0_lPT3_i,comdat
.Lfunc_end49:
	.size	_ZL36rocblas_hemvn_kernel_upper_block_sumILi64ElPK19rocblas_complex_numIdEPKPS1_S1_EviT1_lS7_lT2_lT0_lPT3_i, .Lfunc_end49-_ZL36rocblas_hemvn_kernel_upper_block_sumILi64ElPK19rocblas_complex_numIdEPKPS1_S1_EviT1_lS7_lT2_lT0_lPT3_i
                                        ; -- End function
	.set _ZL36rocblas_hemvn_kernel_upper_block_sumILi64ElPK19rocblas_complex_numIdEPKPS1_S1_EviT1_lS7_lT2_lT0_lPT3_i.num_vgpr, 23
	.set _ZL36rocblas_hemvn_kernel_upper_block_sumILi64ElPK19rocblas_complex_numIdEPKPS1_S1_EviT1_lS7_lT2_lT0_lPT3_i.num_agpr, 0
	.set _ZL36rocblas_hemvn_kernel_upper_block_sumILi64ElPK19rocblas_complex_numIdEPKPS1_S1_EviT1_lS7_lT2_lT0_lPT3_i.numbered_sgpr, 30
	.set _ZL36rocblas_hemvn_kernel_upper_block_sumILi64ElPK19rocblas_complex_numIdEPKPS1_S1_EviT1_lS7_lT2_lT0_lPT3_i.num_named_barrier, 0
	.set _ZL36rocblas_hemvn_kernel_upper_block_sumILi64ElPK19rocblas_complex_numIdEPKPS1_S1_EviT1_lS7_lT2_lT0_lPT3_i.private_seg_size, 0
	.set _ZL36rocblas_hemvn_kernel_upper_block_sumILi64ElPK19rocblas_complex_numIdEPKPS1_S1_EviT1_lS7_lT2_lT0_lPT3_i.uses_vcc, 1
	.set _ZL36rocblas_hemvn_kernel_upper_block_sumILi64ElPK19rocblas_complex_numIdEPKPS1_S1_EviT1_lS7_lT2_lT0_lPT3_i.uses_flat_scratch, 0
	.set _ZL36rocblas_hemvn_kernel_upper_block_sumILi64ElPK19rocblas_complex_numIdEPKPS1_S1_EviT1_lS7_lT2_lT0_lPT3_i.has_dyn_sized_stack, 0
	.set _ZL36rocblas_hemvn_kernel_upper_block_sumILi64ElPK19rocblas_complex_numIdEPKPS1_S1_EviT1_lS7_lT2_lT0_lPT3_i.has_recursion, 0
	.set _ZL36rocblas_hemvn_kernel_upper_block_sumILi64ElPK19rocblas_complex_numIdEPKPS1_S1_EviT1_lS7_lT2_lT0_lPT3_i.has_indirect_call, 0
	.section	.AMDGPU.csdata,"",@progbits
; Kernel info:
; codeLenInByte = 1060
; TotalNumSgprs: 32
; NumVgprs: 23
; ScratchSize: 0
; MemoryBound: 0
; FloatMode: 240
; IeeeMode: 1
; LDSByteSize: 0 bytes/workgroup (compile time only)
; SGPRBlocks: 0
; VGPRBlocks: 2
; NumSGPRsForWavesPerEU: 32
; NumVGPRsForWavesPerEU: 23
; Occupancy: 16
; WaveLimiterHint : 1
; COMPUTE_PGM_RSRC2:SCRATCH_EN: 0
; COMPUTE_PGM_RSRC2:USER_SGPR: 2
; COMPUTE_PGM_RSRC2:TRAP_HANDLER: 0
; COMPUTE_PGM_RSRC2:TGID_X_EN: 1
; COMPUTE_PGM_RSRC2:TGID_Y_EN: 0
; COMPUTE_PGM_RSRC2:TGID_Z_EN: 1
; COMPUTE_PGM_RSRC2:TIDIG_COMP_CNT: 0
	.section	.text._ZL26rocblas_hemvn_kernel_upperILb1ELi64ELi4ELi33ELi32ELi16EiPK19rocblas_complex_numIdEPKS3_PS1_EviT6_lT7_lT5_lS8_lS9_lS7_lT8_i,"axG",@progbits,_ZL26rocblas_hemvn_kernel_upperILb1ELi64ELi4ELi33ELi32ELi16EiPK19rocblas_complex_numIdEPKS3_PS1_EviT6_lT7_lT5_lS8_lS9_lS7_lT8_i,comdat
	.globl	_ZL26rocblas_hemvn_kernel_upperILb1ELi64ELi4ELi33ELi32ELi16EiPK19rocblas_complex_numIdEPKS3_PS1_EviT6_lT7_lT5_lS8_lS9_lS7_lT8_i ; -- Begin function _ZL26rocblas_hemvn_kernel_upperILb1ELi64ELi4ELi33ELi32ELi16EiPK19rocblas_complex_numIdEPKS3_PS1_EviT6_lT7_lT5_lS8_lS9_lS7_lT8_i
	.p2align	8
	.type	_ZL26rocblas_hemvn_kernel_upperILb1ELi64ELi4ELi33ELi32ELi16EiPK19rocblas_complex_numIdEPKS3_PS1_EviT6_lT7_lT5_lS8_lS9_lS7_lT8_i,@function
_ZL26rocblas_hemvn_kernel_upperILb1ELi64ELi4ELi33ELi32ELi16EiPK19rocblas_complex_numIdEPKS3_PS1_EviT6_lT7_lT5_lS8_lS9_lS7_lT8_i: ; @_ZL26rocblas_hemvn_kernel_upperILb1ELi64ELi4ELi33ELi32ELi16EiPK19rocblas_complex_numIdEPKS3_PS1_EviT6_lT7_lT5_lS8_lS9_lS7_lT8_i
; %bb.0:
	s_clause 0x1
	s_load_b64 s[2:3], s[0:1], 0x84
	s_load_b32 s33, s[0:1], 0x70
	s_lshr_b32 s34, ttmp7, 16
	s_wait_kmcnt 0x0
	s_lshr_b32 s4, s2, 16
	s_and_b32 s2, s2, 0xffff
	s_and_b32 s3, s3, 0xffff
	s_mul_i32 s2, s4, s2
	s_delay_alu instid0(SALU_CYCLE_1) | instskip(NEXT) | instid1(SALU_CYCLE_1)
	s_mul_i32 s2, s2, s3
	s_cmp_lg_u32 s2, 0x100
	s_cselect_b32 s2, -1, 0
	s_cmp_ge_u32 s34, s33
	s_cselect_b32 s3, -1, 0
	s_delay_alu instid0(SALU_CYCLE_1) | instskip(NEXT) | instid1(SALU_CYCLE_1)
	s_or_b32 s2, s2, s3
	s_and_b32 vcc_lo, exec_lo, s2
	s_cbranch_vccnz .LBB50_188
; %bb.1:
	s_clause 0x1
	s_load_b32 s2, s[0:1], 0x0
	s_load_b32 s22, s[0:1], 0x28
	s_add_nc_u64 s[6:7], s[0:1], 0x78
	s_load_b32 s62, s[0:1], 0x48
	s_load_b32 s44, s[6:7], 0x0
	s_clause 0x1
	s_load_b128 s[36:39], s[0:1], 0x38
	s_load_b256 s[24:31], s[0:1], 0x8
	v_bfe_u32 v4, v0, 10, 10
	s_clause 0x1
	s_load_b64 s[6:7], s[0:1], 0x68
	s_load_b128 s[40:43], s[0:1], 0x58
	v_and_b32_e32 v173, 0x3ff, v0
	s_lshl_b32 s66, ttmp9, 6
	s_mov_b32 s4, ttmp9
	v_lshlrev_b32_e32 v13, 6, v4
	v_dual_mov_b32 v1, 0 :: v_dual_and_b32 v2, 31, v0
	s_mov_b32 s35, 0
	v_add_nc_u32_e32 v3, s66, v173
	s_delay_alu instid0(VALU_DEP_3) | instskip(NEXT) | instid1(VALU_DEP_3)
	v_add_nc_u32_e32 v14, v13, v173
	v_lshlrev_b32_e32 v15, 4, v2
	s_mov_b32 s45, s35
	v_lshlrev_b32_e32 v24, 4, v173
	v_lshlrev_b32_e32 v200, 2, v4
	v_lshrrev_b32_e32 v11, 5, v14
	s_wait_kmcnt 0x0
	s_ashr_i32 s3, s2, 31
	s_add_co_i32 s5, s44, -1
	s_lshr_b32 s1, s3, 26
	s_ashr_i32 s23, s22, 31
	s_add_co_i32 s1, s2, s1
	v_lshlrev_b32_e32 v18, 2, v11
	s_and_not1_b32 s1, s1, 63
	v_lshl_or_b32 v19, v2, 9, v15
	s_sub_co_i32 s76, s2, s1
	s_cmp_eq_u32 ttmp9, s5
	v_or_b32_e32 v21, 1, v18
	s_cselect_b32 s46, s76, 0
	v_or_b32_e32 v22, 2, v18
	s_cmp_lg_u32 s46, 0
	v_cmp_ge_u32_e64 s8, v18, v2
	s_cselect_b32 s77, -1, 0
	s_cmp_eq_u32 s46, 0
	v_lshlrev_b32_e32 v20, 6, v11
	s_cselect_b32 s1, -1, 0
	s_ashr_i32 s5, ttmp9, 31
	v_add_nc_u32_e32 v16, 16, v11
	s_mul_u64 s[4:5], s[2:3], s[4:5]
	s_mul_u64 s[48:49], s[44:45], s[2:3]
	s_lshl_b64 s[4:5], s[4:5], 4
	v_sub_co_u32 v9, s2, 0, v2
	s_add_nc_u64 s[50:51], s[6:7], s[4:5]
	v_cmp_le_u32_e64 s6, v18, v2
	v_cmp_eq_u32_e64 s7, v18, v2
	v_or_b32_e32 v18, 3, v18
	s_sub_co_i32 s19, s46, 32
	v_mad_co_u64_u32 v[7:8], null, s22, v11, v[2:3]
	v_add_nc_u32_e32 v12, 8, v11
	s_delay_alu instid0(VALU_DEP_3)
	v_cmp_le_u32_e64 s12, v18, v2
	v_cmp_eq_u32_e64 s13, v18, v2
	v_or_b32_e32 v18, 32, v2
	v_sub_co_ci_u32_e64 v10, null, 0, 0, s2
	v_mad_u32_u24 v186, 0x210, v11, v15
	v_cmp_le_i32_e64 s2, s46, v11
	v_add_nc_u32_e32 v17, 24, v11
	v_add_nc_u32_e32 v193, v19, v20
	v_mul_u32_u24_e32 v19, 0x840, v11
	v_cmp_le_u32_e64 s10, v22, v2
	v_cmp_eq_u32_e64 s11, v22, v2
	v_lshlrev_b32_e32 v22, 4, v11
	v_cmp_le_i32_e64 s16, s19, v11
	v_cmp_eq_u32_e64 s20, 1, v11
	v_mul_i32_i24_e32 v11, 0xffffffd0, v11
	v_cmp_le_i32_e64 s4, s46, v16
	v_cmp_gt_i32_e64 s15, s46, v18
	v_cmp_le_i32_e64 s18, s19, v16
	v_lshrrev_b32_e32 v16, 4, v14
	v_and_b32_e32 v18, 48, v0
	v_cmp_eq_u32_e64 s0, 0, v4
	v_cmp_le_i32_e64 s3, s46, v12
	v_cmp_le_i32_e64 s17, s19, v12
	v_mad_u32_u24 v203, 0x10c0, v4, v24
	v_mad_u32_u24 v4, 0x430, v4, v24
	scratch_store_b32 off, v11, off offset:4 ; 4-byte Folded Spill
	v_mad_co_u64_u32 v[11:12], null, s22, v200, v[173:174]
	v_cmp_le_i32_e64 s5, s46, v17
	v_add_nc_u32_e32 v198, 0x4700, v20
	v_cmp_le_i32_e64 s19, s19, v17
	v_and_b32_e32 v17, 15, v0
	v_lshlrev_b32_e32 v20, 6, v16
	v_add_nc_u32_e32 v0, 0x4300, v13
	v_lshlrev_b32_e32 v13, 4, v18
	v_or_b32_e32 v18, 0xf0, v24
	v_cmp_gt_i32_e32 vcc_lo, s46, v173
	v_ashrrev_i32_e32 v8, 31, v7
	v_mad_u32_u24 v204, 0x430, v17, v20
	v_mad_u32_u24 v205, 0x430, v17, v13
	;; [unrolled: 1-line block ×3, first 2 shown]
	v_add_nc_u32_e32 v13, 0x4700, v22
	v_add_nc_u32_e32 v17, 64, v3
	v_ashrrev_i32_e32 v12, 31, v11
	s_lshl_b32 s60, s22, 5
	s_or_b32 s58, s1, vcc_lo
	s_ashr_i32 s61, s60, 31
	s_clause 0x1
	scratch_store_b32 off, v4, off offset:8
	scratch_store_b32 off, v17, off offset:32
	v_lshlrev_b64_e32 v[17:18], 4, v[7:8]
	scratch_store_b32 off, v13, off offset:12 ; 4-byte Folded Spill
	v_add_co_u32 v13, vcc_lo, s60, v11
	s_mul_i32 s68, s22, s66
	s_lshl_b32 s52, s22, 3
	s_lshl_b32 s70, s22, 4
	s_mul_i32 s54, s22, 24
	v_cmp_gt_u32_e64 s14, 32, v14
	s_mul_i32 s56, s62, s66
	v_cmp_gt_u32_e64 s21, 64, v14
	v_add_co_ci_u32_e64 v14, null, s61, v12, vcc_lo
	s_add_co_i32 s63, ttmp9, 1
	s_xor_b32 s78, s58, -1
	s_ashr_i32 s67, s66, 31
	s_ashr_i32 s69, s68, 31
	;; [unrolled: 1-line block ×7, first 2 shown]
	s_cmp_lt_u32 s63, s44
	v_lshlrev_b64_e32 v[11:12], 4, v[11:12]
	s_cselect_b32 s45, -1, 0
	s_lshl_b64 s[86:87], s[22:23], 5
	s_lshl_b64 s[60:61], s[60:61], 4
	v_lshlrev_b64_e32 v[13:14], 4, v[13:14]
	v_mul_u32_u24_e32 v23, 0x210, v21
	v_cmp_eq_u32_e64 s9, v21, v2
	v_mul_u32_u24_e32 v21, 33, v2
	s_wait_alu 0xfffe
	s_add_nc_u64 s[88:89], s[86:87], s[60:61]
	s_mul_i32 s84, s22, 3
	v_add_co_u32 v7, vcc_lo, s88, v11
	v_lshlrev_b32_e32 v196, 4, v21
	v_mad_co_i64_i32 v[20:21], null, s70, 48, v[13:14]
	s_wait_alu 0xfffd
	v_add_co_ci_u32_e64 v8, null, s89, v12, vcc_lo
	v_or_b32_e32 v7, 8, v7
	s_ashr_i32 s85, s84, 31
	s_clause 0x1
	scratch_store_b64 off, v[17:18], off offset:16
	scratch_store_b32 off, v8, off offset:44
	s_lshl_b64 s[84:85], s[84:85], 4
	scratch_store_b32 off, v7, off offset:48 ; 4-byte Folded Spill
	v_add_co_u32 v7, vcc_lo, v20, s84
	s_lshl_b32 s64, s22, 1
	s_wait_alu 0xfffd
	v_add_co_ci_u32_e64 v8, null, s85, v21, vcc_lo
	v_or_b32_e32 v7, 8, v7
	s_ashr_i32 s65, s64, 31
	s_lshl_b64 s[74:75], s[22:23], 4
	s_and_b32 s81, s0, s58
	s_lshl_b64 s[58:59], s[22:23], 7
	v_sub_co_u32 v210, s22, 0, v17
	s_add_nc_u64 s[92:93], s[74:75], s[60:61]
	s_lshl_b64 s[94:95], s[64:65], 4
	v_sub_co_ci_u32_e64 v211, null, 0, v18, s22
	scratch_store_b32 off, v8, off offset:52 ; 4-byte Folded Spill
	v_add_co_u32 v8, s22, s92, v11
	scratch_store_b32 off, v7, off offset:56 ; 4-byte Folded Spill
	v_add_co_u32 v7, vcc_lo, v20, s94
	v_or_b32_e32 v20, 8, v20
	v_mul_lo_u32 v5, s62, v3
	v_ashrrev_i32_e32 v4, 31, v3
	s_delay_alu instid0(VALU_DEP_4)
	v_or_b32_e32 v7, 8, v7
	scratch_store_b32 off, v8, off offset:60 ; 4-byte Folded Spill
	s_wait_alu 0xf1ff
	v_add_co_ci_u32_e64 v8, null, s93, v12, s22
	s_add_nc_u64 s[22:23], s[60:61], s[94:95]
	scratch_store_b32 off, v7, off offset:72 ; 4-byte Folded Spill
	v_ashrrev_i32_e32 v6, 31, v5
	scratch_store_b32 off, v8, off offset:64 ; 4-byte Folded Spill
	s_wait_alu 0xfffd
	v_add_co_ci_u32_e64 v8, null, s95, v21, vcc_lo
	v_add_co_u32 v7, vcc_lo, s60, v11
	v_cmp_gt_i32_e64 s1, s46, v2
	scratch_store_b32 off, v8, off offset:68 ; 4-byte Folded Spill
	v_mad_u32_u24 v192, 0x210, v2, v15
	scratch_store_b32 off, v7, off offset:76 ; 4-byte Folded Spill
	s_wait_alu 0xfffd
	v_add_co_ci_u32_e64 v7, null, s61, v12, vcc_lo
	v_lshlrev_b64_e32 v[5:6], 4, v[5:6]
	v_lshlrev_b64_e32 v[3:4], 4, v[3:4]
	v_lshlrev_b32_e32 v2, 4, v2
	scratch_store_b32 off, v7, off offset:80 ; 4-byte Folded Spill
	s_wait_alu 0xfffe
	v_add_co_u32 v7, vcc_lo, s22, v11
	s_mul_u64 s[90:91], s[70:71], 48
	s_lshl_b64 s[64:65], s[70:71], 4
	s_lshl_b32 s80, s62, 6
	scratch_store_b32 off, v7, off offset:84 ; 4-byte Folded Spill
	s_wait_alu 0xfffd
	v_add_co_ci_u32_e64 v7, null, s23, v12, vcc_lo
	s_add_nc_u64 s[22:23], s[60:61], s[84:85]
	s_mul_i32 s62, s62, s63
	v_mul_i32_i24_e32 v16, 0xffffffd0, v16
	scratch_store_b32 off, v7, off offset:88 ; 4-byte Folded Spill
	v_add_co_u32 v7, vcc_lo, v20, s74
	s_clause 0x1
	scratch_store_b32 off, v7, off offset:92
	scratch_store_b64 off, v[20:21], off offset:36
	s_wait_alu 0xfffd
	v_add_co_ci_u32_e64 v7, null, s75, v21, vcc_lo
	s_wait_alu 0xfffe
	s_lshl_b32 s82, s62, 6
	s_lshl_b64 s[62:63], s[70:71], 6
	s_lshl_b64 s[70:71], s[70:71], 5
	s_clause 0x3
	scratch_store_b32 off, v7, off offset:96
	scratch_store_b64 off, v[5:6], off offset:24
	scratch_store_b64 off, v[3:4], off offset:196
	scratch_store_b32 off, v2, off
	v_add_co_u32 v7, vcc_lo, s22, v11
	v_lshlrev_b64_e32 v[174:175], 4, v[9:10]
	v_add_nc_u32_e32 v187, 0x4700, v24
	v_add_nc_u32_e32 v199, v196, v22
	scratch_store_b32 off, v7, off offset:100 ; 4-byte Folded Spill
	s_wait_alu 0xfffd
	v_add_co_ci_u32_e64 v7, null, s23, v12, vcc_lo
	s_add_nc_u64 s[22:23], s[90:91], s[86:87]
	s_wait_alu 0xfffe
	s_add_nc_u64 s[86:87], s[70:71], s[60:61]
	s_add_nc_u64 s[70:71], s[88:89], s[70:71]
	scratch_store_b32 off, v7, off offset:104 ; 4-byte Folded Spill
	v_add_co_u32 v7, vcc_lo, s22, v13
	s_add_nc_u64 s[90:91], s[86:87], s[84:85]
	s_add_nc_u64 s[74:75], s[86:87], s[74:75]
	v_add_nc_u32_e32 v202, 0x4300, v24
	scratch_store_b32 off, v7, off offset:108 ; 4-byte Folded Spill
	s_wait_alu 0xfffd
	v_add_co_ci_u32_e64 v7, null, s23, v14, vcc_lo
	s_add_nc_u64 s[22:23], s[88:89], s[64:65]
	v_add_nc_u32_e32 v250, v204, v16
	v_add_nc_u32_e32 v197, v15, v19
	scratch_store_b32 off, v7, off offset:112 ; 4-byte Folded Spill
	s_wait_alu 0xfffe
	v_add_co_u32 v7, vcc_lo, s22, v11
	s_wait_alu 0xfffd
	v_add_co_ci_u32_e64 v13, null, s23, v12, vcc_lo
	v_add_co_u32 v8, s22, s90, v11
	s_delay_alu instid0(VALU_DEP_3)
	v_or_b32_e32 v7, 8, v7
	scratch_store_b32 off, v13, off offset:116 ; 4-byte Folded Spill
	v_add_nc_u32_e32 v194, v15, v23
	s_sub_nc_u64 s[72:73], 0, s[56:57]
	s_add_co_i32 s79, s44, -2
	scratch_store_b32 off, v7, off offset:120 ; 4-byte Folded Spill
	s_wait_alu 0xf1ff
	v_add_co_ci_u32_e64 v7, null, s91, v12, s22
	s_add_nc_u64 s[22:23], s[92:93], s[64:65]
	s_add_nc_u64 s[90:91], s[86:87], s[94:95]
	s_sub_nc_u64 s[56:57], 0, s[46:47]
	scratch_store_b32 off, v7, off offset:124 ; 4-byte Folded Spill
	v_or_b32_e32 v7, 8, v8
	s_wait_alu 0xfffe
	v_add_co_u32 v8, s22, s22, v11
	s_lshl_b64 s[38:39], s[38:39], 4
	s_lshl_b64 s[30:31], s[30:31], 4
	scratch_store_b32 off, v7, off offset:128 ; 4-byte Folded Spill
	v_add_co_u32 v7, vcc_lo, s90, v11
	s_lshl_b64 s[66:67], s[66:67], 4
	s_lshl_b64 s[68:69], s[68:69], 4
	v_or_b32_e32 v7, 8, v7
	scratch_store_b32 off, v8, off offset:132 ; 4-byte Folded Spill
	v_add_co_ci_u32_e64 v8, null, s23, v12, s22
	s_clause 0x1
	scratch_store_b32 off, v7, off offset:144
	scratch_store_b32 off, v8, off offset:136
	s_wait_alu 0xfffd
	v_add_co_ci_u32_e64 v8, null, s91, v12, vcc_lo
	v_add_co_u32 v7, vcc_lo, s86, v11
	s_add_nc_u64 s[90:91], s[60:61], s[64:65]
	v_or_b32_e32 v7, 8, v7
	scratch_store_b32 off, v8, off offset:140 ; 4-byte Folded Spill
	s_wait_alu 0xfffe
	v_add_co_u32 v8, s22, s90, v11
	s_clause 0x1
	scratch_store_b32 off, v7, off offset:160
	scratch_store_b32 off, v8, off offset:148
	s_wait_alu 0xf1ff
	v_add_co_ci_u32_e64 v8, null, s91, v12, s22
	s_add_nc_u64 s[22:23], s[90:91], s[94:95]
	scratch_store_b32 off, v8, off offset:152 ; 4-byte Folded Spill
	s_wait_alu 0xfffd
	v_add_co_ci_u32_e64 v8, null, s87, v12, vcc_lo
	v_add_co_u32 v7, vcc_lo, s74, v11
	s_delay_alu instid0(VALU_DEP_1)
	v_or_b32_e32 v7, 8, v7
	scratch_store_b32 off, v8, off offset:156 ; 4-byte Folded Spill
	s_wait_alu 0xfffe
	v_add_co_u32 v8, s22, s22, v11
	s_clause 0x1
	scratch_store_b32 off, v7, off offset:176
	scratch_store_b32 off, v8, off offset:164
	s_wait_alu 0xf1ff
	v_add_co_ci_u32_e64 v8, null, s23, v12, s22
	s_add_nc_u64 s[22:23], s[90:91], s[84:85]
	scratch_store_b32 off, v8, off offset:168 ; 4-byte Folded Spill
	s_wait_alu 0xfffd
	v_add_co_ci_u32_e64 v8, null, s75, v12, vcc_lo
	v_add_co_u32 v7, vcc_lo, s70, v11
	s_delay_alu instid0(VALU_DEP_1)
	v_or_b32_e32 v7, 8, v7
	scratch_store_b32 off, v8, off offset:172 ; 4-byte Folded Spill
	s_wait_alu 0xfffe
	v_add_co_u32 v8, s22, s22, v11
	s_clause 0x1
	scratch_store_b32 off, v7, off offset:192
	scratch_store_b32 off, v8, off offset:180
	s_wait_alu 0xf1ff
	v_add_co_ci_u32_e64 v8, null, s23, v12, s22
	scratch_store_b32 off, v8, off offset:184 ; 4-byte Folded Spill
	s_wait_alu 0xfffd
	v_add_co_ci_u32_e64 v8, null, s71, v12, vcc_lo
	s_lshl_b64 s[70:71], s[72:73], 4
	scratch_store_b32 off, v8, off offset:188 ; 4-byte Folded Spill
	s_branch .LBB50_4
.LBB50_2:                               ;   in Loop: Header=BB50_4 Depth=1
	s_wait_alu 0xfffe
	s_or_b32 exec_lo, exec_lo, s22
.LBB50_3:                               ;   in Loop: Header=BB50_4 Depth=1
	s_add_co_i32 s34, s34, 0x10000
	s_delay_alu instid0(SALU_CYCLE_1)
	s_cmp_lt_u32 s34, s33
	s_cbranch_scc0 .LBB50_188
.LBB50_4:                               ; =>This Loop Header: Depth=1
                                        ;     Child Loop BB50_112 Depth 2
	s_mul_u64 s[22:23], s[26:27], s[34:35]
	s_wait_alu 0xfffe
	s_lshl_b64 s[22:23], s[22:23], 4
	s_wait_alu 0xfffe
	s_add_nc_u64 s[22:23], s[24:25], s[22:23]
	global_load_b128 v[2:5], v1, s[22:23]
	s_wait_loadcnt 0x0
	v_cmp_neq_f64_e32 vcc_lo, 0, v[2:3]
	v_cmp_neq_f64_e64 s22, 0, v[4:5]
	s_wait_alu 0xfffe
	s_or_b32 s22, vcc_lo, s22
	s_wait_alu 0xfffe
	s_and_b32 vcc_lo, exec_lo, s22
	s_mov_b32 s22, -1
	s_wait_alu 0xfffe
	s_cbranch_vccz .LBB50_6
; %bb.5:                                ;   in Loop: Header=BB50_4 Depth=1
	s_and_not1_b32 vcc_lo, exec_lo, s22
	s_wait_alu 0xfffe
	s_cbranch_vccnz .LBB50_3
	s_branch .LBB50_7
.LBB50_6:                               ;   in Loop: Header=BB50_4 Depth=1
	s_mul_u64 s[22:23], s[42:43], s[34:35]
	s_wait_alu 0xfffe
	s_lshl_b64 s[22:23], s[22:23], 4
	s_wait_alu 0xfffe
	s_add_nc_u64 s[22:23], s[40:41], s[22:23]
	global_load_b128 v[2:5], v1, s[22:23]
	s_wait_loadcnt 0x0
	v_cmp_eq_f64_e32 vcc_lo, 1.0, v[2:3]
	v_cmp_eq_f64_e64 s22, 0, v[4:5]
	s_wait_alu 0xfffe
	s_and_b32 s22, vcc_lo, s22
	s_wait_alu 0xfffe
	s_and_not1_b32 vcc_lo, exec_lo, s22
	s_cbranch_execnz .LBB50_3
.LBB50_7:                               ;   in Loop: Header=BB50_4 Depth=1
	s_lshl_b64 s[22:23], s[34:35], 3
	scratch_load_b64 v[7:8], off, off offset:24 ; 8-byte Folded Reload
	s_wait_alu 0xfffe
	s_add_nc_u64 s[72:73], s[36:37], s[22:23]
	s_add_nc_u64 s[22:23], s[28:29], s[22:23]
	s_clause 0x1
	global_load_b64 v[2:3], v1, s[72:73]
	global_load_b64 v[5:6], v1, s[22:23]
	s_wait_loadcnt 0x1
	v_add_co_u32 v2, vcc_lo, v2, s38
	s_wait_alu 0xfffd
	v_add_co_ci_u32_e64 v3, null, s39, v3, vcc_lo
	s_delay_alu instid0(VALU_DEP_2) | instskip(SKIP_1) | instid1(VALU_DEP_2)
	v_add_co_u32 v41, vcc_lo, v2, v7
	s_wait_alu 0xfffd
	v_add_co_ci_u32_e64 v42, null, v3, v8, vcc_lo
	s_and_saveexec_b32 s22, s0
	s_cbranch_execz .LBB50_12
; %bb.8:                                ;   in Loop: Header=BB50_4 Depth=1
	s_and_saveexec_b32 s23, s78
	s_wait_alu 0xfffe
	s_xor_b32 s23, exec_lo, s23
; %bb.9:                                ;   in Loop: Header=BB50_4 Depth=1
	v_dual_mov_b32 v2, v1 :: v_dual_mov_b32 v3, v1
	v_mov_b32_e32 v4, v1
	ds_store_b128 v187, v[1:4]
; %bb.10:                               ;   in Loop: Header=BB50_4 Depth=1
	s_wait_alu 0xfffe
	s_and_not1_saveexec_b32 s23, s23
	s_cbranch_execz .LBB50_12
; %bb.11:                               ;   in Loop: Header=BB50_4 Depth=1
	flat_load_b128 v[7:10], v[41:42]
	s_wait_loadcnt_dscnt 0x0
	ds_store_2addr_b64 v187, v[7:8], v[9:10] offset1:1
.LBB50_12:                              ;   in Loop: Header=BB50_4 Depth=1
	s_wait_alu 0xfffe
	s_or_b32 exec_lo, exec_lo, s22
	s_wait_loadcnt 0x0
	v_add_co_u32 v2, vcc_lo, v5, s30
	scratch_load_b64 v[4:5], off, off offset:16 ; 8-byte Folded Reload
	s_wait_alu 0xfffd
	v_add_co_ci_u32_e64 v3, null, s31, v6, vcc_lo
	v_add_co_u32 v2, vcc_lo, v2, s66
	s_mov_b32 s22, -1
	s_wait_alu 0xfffd
	v_add_co_ci_u32_e64 v3, null, s67, v3, vcc_lo
                                        ; implicit-def: $vgpr9_vgpr10
	s_wait_loadcnt 0x0
	v_add_co_u32 v2, vcc_lo, v2, v4
	s_wait_alu 0xfffd
	s_delay_alu instid0(VALU_DEP_2) | instskip(NEXT) | instid1(VALU_DEP_2)
	v_add_co_ci_u32_e64 v3, null, v3, v5, vcc_lo
	v_add_co_u32 v5, vcc_lo, v2, s68
	s_wait_alu 0xfffd
	s_delay_alu instid0(VALU_DEP_2)
	v_add_co_ci_u32_e64 v6, null, s69, v3, vcc_lo
	s_and_b32 vcc_lo, exec_lo, s77
	s_wait_alu 0xfffe
	s_cbranch_vccz .LBB50_24
; %bb.13:                               ;   in Loop: Header=BB50_4 Depth=1
	s_and_saveexec_b32 s22, s2
	s_wait_alu 0xfffe
	s_xor_b32 s22, exec_lo, s22
; %bb.14:                               ;   in Loop: Header=BB50_4 Depth=1
	v_dual_mov_b32 v2, v1 :: v_dual_mov_b32 v3, v1
	v_mov_b32_e32 v4, v1
	ds_store_b128 v186, v[1:4]
; %bb.15:                               ;   in Loop: Header=BB50_4 Depth=1
	s_wait_alu 0xfffe
	s_or_saveexec_b32 s22, s22
	v_add_co_u32 v2, vcc_lo, v5, v174
	s_wait_alu 0xfffd
	v_add_co_ci_u32_e64 v3, null, v6, v175, vcc_lo
	s_lshl_b64 s[72:73], s[46:47], 4
	s_wait_alu 0xfffe
	v_add_co_u32 v2, vcc_lo, v2, s72
	s_wait_alu 0xfffd
	v_add_co_ci_u32_e64 v3, null, s73, v3, vcc_lo
	s_delay_alu instid0(VALU_DEP_2) | instskip(SKIP_1) | instid1(VALU_DEP_2)
	v_add_co_u32 v2, vcc_lo, v2, -16
	s_wait_alu 0xfffd
	v_add_co_ci_u32_e64 v3, null, -1, v3, vcc_lo
	s_delay_alu instid0(VALU_DEP_2) | instskip(NEXT) | instid1(VALU_DEP_2)
	v_cndmask_b32_e64 v7, v2, v5, s1
	v_cndmask_b32_e64 v8, v3, v6, s1
	s_xor_b32 exec_lo, exec_lo, s22
	s_cbranch_execnz .LBB50_170
; %bb.16:                               ;   in Loop: Header=BB50_4 Depth=1
	s_or_b32 exec_lo, exec_lo, s22
	s_and_saveexec_b32 s22, s3
	s_wait_alu 0xfffe
	s_xor_b32 s22, exec_lo, s22
	s_cbranch_execnz .LBB50_171
.LBB50_17:                              ;   in Loop: Header=BB50_4 Depth=1
	s_wait_alu 0xfffe
	s_and_not1_saveexec_b32 s22, s22
	s_cbranch_execnz .LBB50_172
.LBB50_18:                              ;   in Loop: Header=BB50_4 Depth=1
	s_wait_alu 0xfffe
	s_or_b32 exec_lo, exec_lo, s22
	s_and_saveexec_b32 s22, s4
	s_wait_alu 0xfffe
	s_xor_b32 s22, exec_lo, s22
	s_cbranch_execnz .LBB50_173
.LBB50_19:                              ;   in Loop: Header=BB50_4 Depth=1
	s_wait_alu 0xfffe
	s_and_not1_saveexec_b32 s22, s22
	s_cbranch_execnz .LBB50_174
.LBB50_20:                              ;   in Loop: Header=BB50_4 Depth=1
	s_wait_alu 0xfffe
	s_or_b32 exec_lo, exec_lo, s22
	s_and_saveexec_b32 s22, s5
	s_wait_alu 0xfffe
	s_xor_b32 s22, exec_lo, s22
	s_cbranch_execnz .LBB50_175
.LBB50_21:                              ;   in Loop: Header=BB50_4 Depth=1
	s_wait_alu 0xfffe
	s_and_not1_saveexec_b32 s22, s22
	s_cbranch_execz .LBB50_23
.LBB50_22:                              ;   in Loop: Header=BB50_4 Depth=1
	s_lshl_b64 s[72:73], s[54:55], 4
	s_wait_alu 0xfffe
	v_add_co_u32 v2, vcc_lo, v7, s72
	s_wait_alu 0xfffd
	v_add_co_ci_u32_e64 v3, null, s73, v8, vcc_lo
	flat_load_b128 v[9:12], v[2:3]
	v_add_nc_u32_e32 v2, 0x3180, v186
	s_wait_loadcnt_dscnt 0x0
	ds_store_2addr_b64 v2, v[9:10], v[11:12] offset1:1
.LBB50_23:                              ;   in Loop: Header=BB50_4 Depth=1
	s_wait_alu 0xfffe
	s_or_b32 exec_lo, exec_lo, s22
	scratch_load_b32 v2, off, off           ; 4-byte Folded Reload
	s_lshl_b64 s[22:23], s[56:57], 4
	s_wait_loadcnt 0x0
	v_add_co_u32 v2, vcc_lo, v7, v2
	s_wait_alu 0xfffd
	v_add_co_ci_u32_e64 v3, null, 0, v8, vcc_lo
	s_wait_alu 0xfffe
	s_delay_alu instid0(VALU_DEP_2) | instskip(SKIP_1) | instid1(VALU_DEP_2)
	v_add_co_u32 v2, vcc_lo, v2, s22
	s_wait_alu 0xfffd
	v_add_co_ci_u32_e64 v3, null, s23, v3, vcc_lo
	s_mov_b32 s22, 0
	v_add_co_u32 v2, vcc_lo, v2, 16
	s_wait_alu 0xfffd
	v_add_co_ci_u32_e64 v3, null, 0, v3, vcc_lo
	s_delay_alu instid0(VALU_DEP_2) | instskip(NEXT) | instid1(VALU_DEP_2)
	v_cndmask_b32_e64 v9, v2, v5, s1
	v_cndmask_b32_e64 v10, v3, v6, s1
.LBB50_24:                              ;   in Loop: Header=BB50_4 Depth=1
	s_wait_alu 0xfffe
	s_and_b32 vcc_lo, exec_lo, s22
	s_wait_alu 0xfffe
	s_cbranch_vccz .LBB50_26
; %bb.25:                               ;   in Loop: Header=BB50_4 Depth=1
	flat_load_b128 v[7:10], v[5:6]
	s_lshl_b64 s[22:23], s[52:53], 4
	v_add_nc_u32_e32 v4, 0x1080, v186
	s_wait_alu 0xfffe
	v_add_co_u32 v2, vcc_lo, v5, s22
	s_wait_alu 0xfffd
	v_add_co_ci_u32_e64 v3, null, s23, v6, vcc_lo
	s_wait_loadcnt_dscnt 0x0
	ds_store_2addr_b64 v186, v[7:8], v[9:10] offset1:1
	flat_load_b128 v[7:10], v[2:3]
	v_add_co_u32 v2, vcc_lo, v2, s58
	s_wait_alu 0xfffd
	v_add_co_ci_u32_e64 v3, null, s59, v3, vcc_lo
	s_wait_loadcnt_dscnt 0x0
	ds_store_2addr_b64 v4, v[7:8], v[9:10] offset1:1
	flat_load_b128 v[7:10], v[2:3]
	v_add_co_u32 v2, vcc_lo, v2, s58
	v_add_nc_u32_e32 v4, 0x2100, v186
	s_wait_alu 0xfffd
	v_add_co_ci_u32_e64 v3, null, s59, v3, vcc_lo
	s_wait_loadcnt_dscnt 0x0
	ds_store_2addr_b64 v4, v[7:8], v[9:10] offset1:1
	flat_load_b128 v[11:14], v[2:3]
	v_dual_mov_b32 v10, v6 :: v_dual_mov_b32 v9, v5
	v_add_nc_u32_e32 v2, 0x3180, v186
	s_wait_loadcnt_dscnt 0x0
	ds_store_2addr_b64 v2, v[11:12], v[13:14] offset1:1
.LBB50_26:                              ;   in Loop: Header=BB50_4 Depth=1
	s_mov_b32 s22, 0
	s_wait_storecnt_dscnt 0x0
	s_barrier_signal -1
	s_barrier_wait -1
	global_inv scope:SCOPE_SE
	s_and_saveexec_b32 s23, s6
	s_wait_alu 0xfffe
	s_xor_b32 s23, exec_lo, s23
; %bb.27:                               ;   in Loop: Header=BB50_4 Depth=1
	s_and_b32 s22, s7, exec_lo
; %bb.28:                               ;   in Loop: Header=BB50_4 Depth=1
	s_wait_alu 0xfffe
	s_or_saveexec_b32 s23, s23
	v_mov_b32_e32 v4, 0
	v_dual_mov_b32 v5, 0 :: v_dual_mov_b32 v6, v192
	s_wait_alu 0xfffe
	s_xor_b32 exec_lo, exec_lo, s23
	s_cbranch_execz .LBB50_30
; %bb.29:                               ;   in Loop: Header=BB50_4 Depth=1
	ds_load_b128 v[2:5], v197
	v_mov_b32_e32 v6, v193
	s_or_b32 s22, s22, exec_lo
	s_wait_dscnt 0x0
	v_xor_b32_e32 v5, 0x80000000, v5
	ds_store_b64 v193, v[2:3]
.LBB50_30:                              ;   in Loop: Header=BB50_4 Depth=1
	s_or_b32 exec_lo, exec_lo, s23
	s_wait_alu 0xfffe
	s_and_saveexec_b32 s23, s22
; %bb.31:                               ;   in Loop: Header=BB50_4 Depth=1
	ds_store_b64 v6, v[4:5] offset:8
; %bb.32:                               ;   in Loop: Header=BB50_4 Depth=1
	s_wait_alu 0xfffe
	s_or_b32 exec_lo, exec_lo, s23
	s_mov_b32 s22, 0
                                        ; implicit-def: $vgpr4_vgpr5
	s_and_saveexec_b32 s23, s8
	s_wait_alu 0xfffe
	s_xor_b32 s23, exec_lo, s23
	s_cbranch_execnz .LBB50_166
; %bb.33:                               ;   in Loop: Header=BB50_4 Depth=1
	s_wait_alu 0xfffe
	s_or_saveexec_b32 s23, s23
	v_add_nc_u32_e32 v2, 16, v193
	s_wait_alu 0xfffe
	s_xor_b32 exec_lo, exec_lo, s23
	s_cbranch_execnz .LBB50_167
.LBB50_34:                              ;   in Loop: Header=BB50_4 Depth=1
	s_or_b32 exec_lo, exec_lo, s23
	s_and_saveexec_b32 s23, s22
.LBB50_35:                              ;   in Loop: Header=BB50_4 Depth=1
	ds_store_b64 v2, v[4:5] offset:8
.LBB50_36:                              ;   in Loop: Header=BB50_4 Depth=1
	s_wait_alu 0xfffe
	s_or_b32 exec_lo, exec_lo, s23
	s_mov_b32 s22, 0
	s_and_saveexec_b32 s23, s10
	s_wait_alu 0xfffe
	s_xor_b32 s23, exec_lo, s23
; %bb.37:                               ;   in Loop: Header=BB50_4 Depth=1
	s_and_b32 s22, s11, exec_lo
; %bb.38:                               ;   in Loop: Header=BB50_4 Depth=1
	s_wait_alu 0xfffe
	s_or_saveexec_b32 s23, s23
	v_mov_b32_e32 v4, 0
	v_dual_mov_b32 v5, 0 :: v_dual_mov_b32 v6, v192
	s_wait_alu 0xfffe
	s_xor_b32 exec_lo, exec_lo, s23
	s_cbranch_execz .LBB50_40
; %bb.39:                               ;   in Loop: Header=BB50_4 Depth=1
	ds_load_b128 v[2:5], v194 offset:528
	v_add_nc_u32_e32 v7, 32, v193
	s_or_b32 s22, s22, exec_lo
	s_delay_alu instid0(VALU_DEP_1)
	v_mov_b32_e32 v6, v7
	s_wait_dscnt 0x0
	v_xor_b32_e32 v5, 0x80000000, v5
	ds_store_b64 v7, v[2:3]
.LBB50_40:                              ;   in Loop: Header=BB50_4 Depth=1
	s_or_b32 exec_lo, exec_lo, s23
	s_wait_alu 0xfffe
	s_and_saveexec_b32 s23, s22
; %bb.41:                               ;   in Loop: Header=BB50_4 Depth=1
	ds_store_b64 v6, v[4:5] offset:8
; %bb.42:                               ;   in Loop: Header=BB50_4 Depth=1
	s_wait_alu 0xfffe
	s_or_b32 exec_lo, exec_lo, s23
	s_mov_b32 s22, 0
	s_and_saveexec_b32 s23, s12
	s_wait_alu 0xfffe
	s_xor_b32 s23, exec_lo, s23
; %bb.43:                               ;   in Loop: Header=BB50_4 Depth=1
	s_and_b32 s22, s13, exec_lo
; %bb.44:                               ;   in Loop: Header=BB50_4 Depth=1
	s_wait_alu 0xfffe
	s_or_saveexec_b32 s23, s23
	v_mov_b32_e32 v4, 0
	v_dual_mov_b32 v5, 0 :: v_dual_mov_b32 v6, v192
	s_wait_alu 0xfffe
	s_xor_b32 exec_lo, exec_lo, s23
	s_cbranch_execz .LBB50_46
; %bb.45:                               ;   in Loop: Header=BB50_4 Depth=1
	ds_load_b128 v[2:5], v194 offset:1056
	v_add_nc_u32_e32 v7, 48, v193
	s_or_b32 s22, s22, exec_lo
	s_delay_alu instid0(VALU_DEP_1)
	v_mov_b32_e32 v6, v7
	s_wait_dscnt 0x0
	v_xor_b32_e32 v5, 0x80000000, v5
	ds_store_b64 v7, v[2:3]
.LBB50_46:                              ;   in Loop: Header=BB50_4 Depth=1
	s_or_b32 exec_lo, exec_lo, s23
	s_wait_alu 0xfffe
	s_and_saveexec_b32 s23, s22
; %bb.47:                               ;   in Loop: Header=BB50_4 Depth=1
	ds_store_b64 v6, v[4:5] offset:8
; %bb.48:                               ;   in Loop: Header=BB50_4 Depth=1
	s_wait_alu 0xfffe
	s_or_b32 exec_lo, exec_lo, s23
	s_wait_loadcnt_dscnt 0x0
	s_barrier_signal -1
	s_barrier_wait -1
	global_inv scope:SCOPE_SE
	ds_load_b128 v[2:5], v197
	ds_load_b128 v[11:14], v198
	ds_load_b128 v[15:18], v198 offset:16
	ds_load_b128 v[19:22], v194 offset:1056
	s_wait_dscnt 0x2
	v_mul_f64_e32 v[27:28], v[13:14], v[4:5]
	v_mul_f64_e32 v[29:30], v[11:12], v[4:5]
	ds_load_b128 v[4:7], v194
	ds_load_b128 v[23:26], v194 offset:528
	s_wait_dscnt 0x1
	v_mul_f64_e32 v[31:32], v[17:18], v[6:7]
	v_mul_f64_e32 v[6:7], v[15:16], v[6:7]
	v_fma_f64 v[33:34], v[11:12], v[2:3], -v[27:28]
	v_fma_f64 v[2:3], v[13:14], v[2:3], v[29:30]
	ds_load_b128 v[11:14], v198 offset:32
	ds_load_b128 v[27:30], v198 offset:48
	s_wait_loadcnt_dscnt 0x0
	s_barrier_signal -1
	s_barrier_wait -1
	global_inv scope:SCOPE_SE
	v_mul_f64_e32 v[35:36], v[13:14], v[25:26]
	v_mul_f64_e32 v[25:26], v[11:12], v[25:26]
	v_fma_f64 v[15:16], v[15:16], v[4:5], -v[31:32]
	v_fma_f64 v[4:5], v[17:18], v[4:5], v[6:7]
	v_mul_f64_e32 v[17:18], v[29:30], v[21:22]
	v_mul_f64_e32 v[21:22], v[27:28], v[21:22]
	v_add_f64_e32 v[6:7], 0, v[33:34]
	v_add_f64_e32 v[2:3], 0, v[2:3]
	v_fma_f64 v[11:12], v[11:12], v[23:24], -v[35:36]
	v_fma_f64 v[13:14], v[13:14], v[23:24], v[25:26]
	s_delay_alu instid0(VALU_DEP_4) | instskip(NEXT) | instid1(VALU_DEP_4)
	v_add_f64_e32 v[6:7], v[6:7], v[15:16]
	v_add_f64_e32 v[2:3], v[2:3], v[4:5]
	v_fma_f64 v[4:5], v[27:28], v[19:20], -v[17:18]
	v_fma_f64 v[15:16], v[29:30], v[19:20], v[21:22]
	s_delay_alu instid0(VALU_DEP_4) | instskip(NEXT) | instid1(VALU_DEP_4)
	v_add_f64_e32 v[6:7], v[6:7], v[11:12]
	v_add_f64_e32 v[2:3], v[2:3], v[13:14]
	s_delay_alu instid0(VALU_DEP_2) | instskip(NEXT) | instid1(VALU_DEP_2)
	v_add_f64_e32 v[11:12], v[6:7], v[4:5]
	v_add_f64_e32 v[13:14], v[2:3], v[15:16]
	v_mov_b32_e32 v5, 0
	v_dual_mov_b32 v6, 0 :: v_dual_mov_b32 v7, 0
	v_mov_b32_e32 v8, 0
	ds_store_b128 v199, v[11:14]
	s_wait_loadcnt_dscnt 0x0
	s_barrier_signal -1
	s_barrier_wait -1
	global_inv scope:SCOPE_SE
	s_and_saveexec_b32 s22, s14
	s_cbranch_execz .LBB50_50
; %bb.49:                               ;   in Loop: Header=BB50_4 Depth=1
	ds_load_b128 v[2:5], v196
	ds_load_b128 v[11:14], v196 offset:16
	s_wait_dscnt 0x0
	v_add_f64_e32 v[6:7], v[11:12], v[2:3]
	v_add_f64_e32 v[15:16], v[13:14], v[4:5]
	ds_load_b128 v[2:5], v196 offset:32
	ds_load_b128 v[11:14], v196 offset:48
	s_wait_dscnt 0x1
	v_add_f64_e32 v[2:3], v[6:7], v[2:3]
	v_add_f64_e32 v[4:5], v[15:16], v[4:5]
	s_wait_dscnt 0x0
	s_delay_alu instid0(VALU_DEP_2) | instskip(NEXT) | instid1(VALU_DEP_2)
	v_add_f64_e32 v[6:7], v[2:3], v[11:12]
	v_add_f64_e32 v[15:16], v[4:5], v[13:14]
	ds_load_b128 v[2:5], v196 offset:64
	ds_load_b128 v[11:14], v196 offset:80
	s_wait_dscnt 0x1
	v_add_f64_e32 v[2:3], v[6:7], v[2:3]
	v_add_f64_e32 v[4:5], v[15:16], v[4:5]
	s_wait_dscnt 0x0
	s_delay_alu instid0(VALU_DEP_2) | instskip(NEXT) | instid1(VALU_DEP_2)
	;; [unrolled: 9-line block ×3, first 2 shown]
	v_add_f64_e32 v[5:6], v[2:3], v[11:12]
	v_add_f64_e32 v[7:8], v[7:8], v[13:14]
.LBB50_50:                              ;   in Loop: Header=BB50_4 Depth=1
	s_wait_alu 0xfffe
	s_or_b32 exec_lo, exec_lo, s22
	v_add_co_u32 v15, vcc_lo, v9, s60
	s_wait_alu 0xfffd
	v_add_co_ci_u32_e64 v16, null, s61, v10, vcc_lo
	s_mov_b32 s22, -1
	v_add_co_u32 v9, vcc_lo, 0x200, v15
	s_wait_alu 0xfffd
	v_add_co_ci_u32_e64 v10, null, 0, v16, vcc_lo
	s_and_b32 vcc_lo, exec_lo, s77
	s_wait_loadcnt 0x0
	s_barrier_signal -1
	s_barrier_wait -1
	global_inv scope:SCOPE_SE
                                        ; implicit-def: $vgpr13_vgpr14
	s_wait_alu 0xfffe
	s_cbranch_vccz .LBB50_62
; %bb.51:                               ;   in Loop: Header=BB50_4 Depth=1
	s_and_saveexec_b32 s22, s16
	s_wait_alu 0xfffe
	s_xor_b32 s22, exec_lo, s22
; %bb.52:                               ;   in Loop: Header=BB50_4 Depth=1
	v_dual_mov_b32 v2, v1 :: v_dual_mov_b32 v3, v1
	v_mov_b32_e32 v4, v1
	ds_store_b128 v186, v[1:4]
; %bb.53:                               ;   in Loop: Header=BB50_4 Depth=1
	s_wait_alu 0xfffe
	s_or_saveexec_b32 s22, s22
	v_add_co_u32 v2, vcc_lo, v15, v174
	s_wait_alu 0xfffd
	v_add_co_ci_u32_e64 v3, null, v16, v175, vcc_lo
	s_lshl_b64 s[72:73], s[46:47], 4
	s_wait_alu 0xfffe
	v_add_co_u32 v2, vcc_lo, v2, s72
	s_wait_alu 0xfffd
	v_add_co_ci_u32_e64 v3, null, s73, v3, vcc_lo
	s_delay_alu instid0(VALU_DEP_2) | instskip(SKIP_1) | instid1(VALU_DEP_2)
	v_add_co_u32 v2, vcc_lo, v2, -16
	s_wait_alu 0xfffd
	v_add_co_ci_u32_e64 v3, null, -1, v3, vcc_lo
	s_delay_alu instid0(VALU_DEP_2) | instskip(NEXT) | instid1(VALU_DEP_2)
	v_cndmask_b32_e64 v11, v2, v9, s15
	v_cndmask_b32_e64 v12, v3, v10, s15
	s_xor_b32 exec_lo, exec_lo, s22
	s_cbranch_execnz .LBB50_176
; %bb.54:                               ;   in Loop: Header=BB50_4 Depth=1
	s_or_b32 exec_lo, exec_lo, s22
	s_and_saveexec_b32 s22, s17
	s_wait_alu 0xfffe
	s_xor_b32 s22, exec_lo, s22
	s_cbranch_execnz .LBB50_177
.LBB50_55:                              ;   in Loop: Header=BB50_4 Depth=1
	s_wait_alu 0xfffe
	s_and_not1_saveexec_b32 s22, s22
	s_cbranch_execnz .LBB50_178
.LBB50_56:                              ;   in Loop: Header=BB50_4 Depth=1
	s_wait_alu 0xfffe
	s_or_b32 exec_lo, exec_lo, s22
	s_and_saveexec_b32 s22, s18
	s_wait_alu 0xfffe
	s_xor_b32 s22, exec_lo, s22
	s_cbranch_execnz .LBB50_179
.LBB50_57:                              ;   in Loop: Header=BB50_4 Depth=1
	s_wait_alu 0xfffe
	s_and_not1_saveexec_b32 s22, s22
	s_cbranch_execnz .LBB50_180
.LBB50_58:                              ;   in Loop: Header=BB50_4 Depth=1
	s_wait_alu 0xfffe
	s_or_b32 exec_lo, exec_lo, s22
	s_and_saveexec_b32 s22, s19
	s_wait_alu 0xfffe
	s_xor_b32 s22, exec_lo, s22
	s_cbranch_execnz .LBB50_181
.LBB50_59:                              ;   in Loop: Header=BB50_4 Depth=1
	s_wait_alu 0xfffe
	s_and_not1_saveexec_b32 s22, s22
	s_cbranch_execz .LBB50_61
.LBB50_60:                              ;   in Loop: Header=BB50_4 Depth=1
	s_lshl_b64 s[72:73], s[54:55], 4
	s_wait_alu 0xfffe
	v_add_co_u32 v2, vcc_lo, v11, s72
	s_wait_alu 0xfffd
	v_add_co_ci_u32_e64 v3, null, s73, v12, vcc_lo
	flat_load_b128 v[17:20], v[2:3]
	v_add_nc_u32_e32 v2, 0x3180, v186
	s_wait_loadcnt_dscnt 0x0
	ds_store_2addr_b64 v2, v[17:18], v[19:20] offset1:1
.LBB50_61:                              ;   in Loop: Header=BB50_4 Depth=1
	s_wait_alu 0xfffe
	s_or_b32 exec_lo, exec_lo, s22
	scratch_load_b32 v2, off, off           ; 4-byte Folded Reload
	s_lshl_b64 s[22:23], s[56:57], 4
	s_wait_loadcnt 0x0
	v_add_co_u32 v2, vcc_lo, v11, v2
	s_wait_alu 0xfffd
	v_add_co_ci_u32_e64 v3, null, 0, v12, vcc_lo
	s_wait_alu 0xfffe
	s_delay_alu instid0(VALU_DEP_2) | instskip(SKIP_1) | instid1(VALU_DEP_2)
	v_add_co_u32 v2, vcc_lo, v2, s22
	s_wait_alu 0xfffd
	v_add_co_ci_u32_e64 v3, null, s23, v3, vcc_lo
	s_mov_b32 s22, 0
	v_add_co_u32 v2, vcc_lo, 0x210, v2
	s_wait_alu 0xfffd
	v_add_co_ci_u32_e64 v3, null, 0, v3, vcc_lo
	s_delay_alu instid0(VALU_DEP_2) | instskip(NEXT) | instid1(VALU_DEP_2)
	v_cndmask_b32_e64 v13, v2, v9, s15
	v_cndmask_b32_e64 v14, v3, v10, s15
.LBB50_62:                              ;   in Loop: Header=BB50_4 Depth=1
	s_wait_alu 0xfffe
	s_and_b32 vcc_lo, exec_lo, s22
	s_wait_alu 0xfffe
	s_cbranch_vccz .LBB50_64
; %bb.63:                               ;   in Loop: Header=BB50_4 Depth=1
	flat_load_b128 v[11:14], v[9:10]
	s_lshl_b64 s[22:23], s[52:53], 4
	v_add_nc_u32_e32 v4, 0x1080, v186
	s_wait_alu 0xfffe
	v_add_co_u32 v2, vcc_lo, v15, s22
	s_wait_alu 0xfffd
	v_add_co_ci_u32_e64 v3, null, s23, v16, vcc_lo
	s_wait_loadcnt_dscnt 0x0
	ds_store_2addr_b64 v186, v[11:12], v[13:14] offset1:1
	flat_load_b128 v[11:14], v[2:3] offset:512
	v_add_co_u32 v2, vcc_lo, v2, s58
	s_wait_alu 0xfffd
	v_add_co_ci_u32_e64 v3, null, s59, v3, vcc_lo
	s_wait_loadcnt_dscnt 0x0
	ds_store_2addr_b64 v4, v[11:12], v[13:14] offset1:1
	flat_load_b128 v[11:14], v[2:3] offset:512
	v_add_co_u32 v2, vcc_lo, v2, s58
	v_add_nc_u32_e32 v4, 0x2100, v186
	s_wait_alu 0xfffd
	v_add_co_ci_u32_e64 v3, null, s59, v3, vcc_lo
	s_wait_loadcnt_dscnt 0x0
	ds_store_2addr_b64 v4, v[11:12], v[13:14] offset1:1
	flat_load_b128 v[15:18], v[2:3] offset:512
	v_dual_mov_b32 v14, v10 :: v_dual_mov_b32 v13, v9
	v_add_nc_u32_e32 v2, 0x3180, v186
	s_wait_loadcnt_dscnt 0x0
	ds_store_2addr_b64 v2, v[15:16], v[17:18] offset1:1
.LBB50_64:                              ;   in Loop: Header=BB50_4 Depth=1
	s_mov_b32 s22, 0
	s_wait_loadcnt_dscnt 0x0
	s_barrier_signal -1
	s_barrier_wait -1
	global_inv scope:SCOPE_SE
	s_and_saveexec_b32 s23, s6
	s_wait_alu 0xfffe
	s_xor_b32 s23, exec_lo, s23
; %bb.65:                               ;   in Loop: Header=BB50_4 Depth=1
	s_and_b32 s22, s7, exec_lo
; %bb.66:                               ;   in Loop: Header=BB50_4 Depth=1
	s_wait_alu 0xfffe
	s_or_saveexec_b32 s23, s23
	v_dual_mov_b32 v11, 0 :: v_dual_mov_b32 v2, v192
	v_mov_b32_e32 v12, 0
	s_wait_alu 0xfffe
	s_xor_b32 exec_lo, exec_lo, s23
	s_cbranch_execz .LBB50_68
; %bb.67:                               ;   in Loop: Header=BB50_4 Depth=1
	ds_load_b128 v[9:12], v197
	v_mov_b32_e32 v2, v193
	s_or_b32 s22, s22, exec_lo
	s_wait_dscnt 0x0
	v_xor_b32_e32 v12, 0x80000000, v12
	ds_store_b64 v193, v[9:10]
.LBB50_68:                              ;   in Loop: Header=BB50_4 Depth=1
	s_or_b32 exec_lo, exec_lo, s23
	s_wait_alu 0xfffe
	s_and_saveexec_b32 s23, s22
; %bb.69:                               ;   in Loop: Header=BB50_4 Depth=1
	ds_store_b64 v2, v[11:12] offset:8
; %bb.70:                               ;   in Loop: Header=BB50_4 Depth=1
	s_wait_alu 0xfffe
	s_or_b32 exec_lo, exec_lo, s23
	s_mov_b32 s22, 0
                                        ; implicit-def: $vgpr11_vgpr12
	s_and_saveexec_b32 s23, s8
	s_wait_alu 0xfffe
	s_xor_b32 s23, exec_lo, s23
	s_cbranch_execnz .LBB50_168
; %bb.71:                               ;   in Loop: Header=BB50_4 Depth=1
	s_wait_alu 0xfffe
	s_or_saveexec_b32 s23, s23
	v_add_nc_u32_e32 v2, 16, v193
	s_wait_alu 0xfffe
	s_xor_b32 exec_lo, exec_lo, s23
	s_cbranch_execnz .LBB50_169
.LBB50_72:                              ;   in Loop: Header=BB50_4 Depth=1
	s_or_b32 exec_lo, exec_lo, s23
	s_and_saveexec_b32 s23, s22
.LBB50_73:                              ;   in Loop: Header=BB50_4 Depth=1
	ds_store_b64 v2, v[11:12] offset:8
.LBB50_74:                              ;   in Loop: Header=BB50_4 Depth=1
	s_wait_alu 0xfffe
	s_or_b32 exec_lo, exec_lo, s23
	s_mov_b32 s22, 0
	s_and_saveexec_b32 s23, s10
	s_wait_alu 0xfffe
	s_xor_b32 s23, exec_lo, s23
; %bb.75:                               ;   in Loop: Header=BB50_4 Depth=1
	s_and_b32 s22, s11, exec_lo
; %bb.76:                               ;   in Loop: Header=BB50_4 Depth=1
	s_wait_alu 0xfffe
	s_or_saveexec_b32 s23, s23
	v_dual_mov_b32 v11, 0 :: v_dual_mov_b32 v2, v192
	v_mov_b32_e32 v12, 0
	s_wait_alu 0xfffe
	s_xor_b32 exec_lo, exec_lo, s23
	s_cbranch_execz .LBB50_78
; %bb.77:                               ;   in Loop: Header=BB50_4 Depth=1
	ds_load_b128 v[9:12], v194 offset:528
	v_add_nc_u32_e32 v3, 32, v193
	s_or_b32 s22, s22, exec_lo
	s_delay_alu instid0(VALU_DEP_1)
	v_mov_b32_e32 v2, v3
	s_wait_dscnt 0x0
	v_xor_b32_e32 v12, 0x80000000, v12
	ds_store_b64 v3, v[9:10]
.LBB50_78:                              ;   in Loop: Header=BB50_4 Depth=1
	s_or_b32 exec_lo, exec_lo, s23
	s_wait_alu 0xfffe
	s_and_saveexec_b32 s23, s22
; %bb.79:                               ;   in Loop: Header=BB50_4 Depth=1
	ds_store_b64 v2, v[11:12] offset:8
; %bb.80:                               ;   in Loop: Header=BB50_4 Depth=1
	s_wait_alu 0xfffe
	s_or_b32 exec_lo, exec_lo, s23
	s_mov_b32 s22, 0
	s_and_saveexec_b32 s23, s12
	s_wait_alu 0xfffe
	s_xor_b32 s23, exec_lo, s23
; %bb.81:                               ;   in Loop: Header=BB50_4 Depth=1
	s_and_b32 s22, s13, exec_lo
; %bb.82:                               ;   in Loop: Header=BB50_4 Depth=1
	s_wait_alu 0xfffe
	s_or_saveexec_b32 s23, s23
	v_dual_mov_b32 v11, 0 :: v_dual_mov_b32 v2, v192
	v_mov_b32_e32 v12, 0
	s_wait_alu 0xfffe
	s_xor_b32 exec_lo, exec_lo, s23
	s_cbranch_execz .LBB50_84
; %bb.83:                               ;   in Loop: Header=BB50_4 Depth=1
	ds_load_b128 v[9:12], v194 offset:1056
	v_add_nc_u32_e32 v3, 48, v193
	s_or_b32 s22, s22, exec_lo
	s_delay_alu instid0(VALU_DEP_1)
	v_mov_b32_e32 v2, v3
	s_wait_dscnt 0x0
	v_xor_b32_e32 v12, 0x80000000, v12
	ds_store_b64 v3, v[9:10]
.LBB50_84:                              ;   in Loop: Header=BB50_4 Depth=1
	s_or_b32 exec_lo, exec_lo, s23
	s_wait_alu 0xfffe
	s_and_saveexec_b32 s23, s22
; %bb.85:                               ;   in Loop: Header=BB50_4 Depth=1
	ds_store_b64 v2, v[11:12] offset:8
; %bb.86:                               ;   in Loop: Header=BB50_4 Depth=1
	s_wait_alu 0xfffe
	s_or_b32 exec_lo, exec_lo, s23
	s_wait_loadcnt_dscnt 0x0
	s_barrier_signal -1
	s_barrier_wait -1
	global_inv scope:SCOPE_SE
	ds_load_b128 v[9:12], v197
	ds_load_b128 v[15:18], v198 offset:512
	ds_load_b128 v[19:22], v198 offset:528
	;; [unrolled: 1-line block ×3, first 2 shown]
	ds_load_b128 v[27:30], v194
	ds_load_b128 v[31:34], v194 offset:528
	s_wait_dscnt 0x4
	v_mul_f64_e32 v[2:3], v[17:18], v[11:12]
	v_mul_f64_e32 v[11:12], v[15:16], v[11:12]
	s_wait_dscnt 0x1
	v_mul_f64_e32 v[35:36], v[21:22], v[29:30]
	v_mul_f64_e32 v[29:30], v[19:20], v[29:30]
	s_delay_alu instid0(VALU_DEP_4) | instskip(NEXT) | instid1(VALU_DEP_4)
	v_fma_f64 v[2:3], v[15:16], v[9:10], -v[2:3]
	v_fma_f64 v[37:38], v[17:18], v[9:10], v[11:12]
	ds_load_b128 v[9:12], v198 offset:544
	ds_load_b128 v[15:18], v198 offset:560
	v_fma_f64 v[19:20], v[19:20], v[27:28], -v[35:36]
	v_fma_f64 v[21:22], v[21:22], v[27:28], v[29:30]
	s_wait_loadcnt_dscnt 0x0
	s_barrier_signal -1
	s_barrier_wait -1
	global_inv scope:SCOPE_SE
	v_mul_f64_e32 v[39:40], v[11:12], v[33:34]
	v_mul_f64_e32 v[33:34], v[9:10], v[33:34]
	;; [unrolled: 1-line block ×4, first 2 shown]
	v_add_f64_e32 v[2:3], 0, v[2:3]
	v_add_f64_e32 v[27:28], 0, v[37:38]
	v_fma_f64 v[9:10], v[9:10], v[31:32], -v[39:40]
	v_fma_f64 v[11:12], v[11:12], v[31:32], v[33:34]
	v_fma_f64 v[15:16], v[15:16], v[23:24], -v[29:30]
	v_fma_f64 v[17:18], v[17:18], v[23:24], v[25:26]
	v_add_f64_e32 v[2:3], v[2:3], v[19:20]
	v_add_f64_e32 v[19:20], v[27:28], v[21:22]
	s_delay_alu instid0(VALU_DEP_2) | instskip(NEXT) | instid1(VALU_DEP_2)
	v_add_f64_e32 v[2:3], v[2:3], v[9:10]
	v_add_f64_e32 v[11:12], v[19:20], v[11:12]
	s_delay_alu instid0(VALU_DEP_2) | instskip(NEXT) | instid1(VALU_DEP_2)
	v_add_f64_e32 v[9:10], v[2:3], v[15:16]
	v_add_f64_e32 v[11:12], v[11:12], v[17:18]
	ds_store_b128 v199, v[9:12]
	s_wait_loadcnt_dscnt 0x0
	s_barrier_signal -1
	s_barrier_wait -1
	global_inv scope:SCOPE_SE
	s_and_saveexec_b32 s22, s20
	s_cbranch_execz .LBB50_88
; %bb.87:                               ;   in Loop: Header=BB50_4 Depth=1
	ds_load_b128 v[2:5], v196
	ds_load_b128 v[6:9], v196 offset:16
	s_wait_dscnt 0x0
	v_add_f64_e32 v[10:11], v[6:7], v[2:3]
	v_add_f64_e32 v[15:16], v[8:9], v[4:5]
	ds_load_b128 v[2:5], v196 offset:32
	ds_load_b128 v[6:9], v196 offset:48
	s_wait_dscnt 0x1
	v_add_f64_e32 v[2:3], v[10:11], v[2:3]
	v_add_f64_e32 v[4:5], v[15:16], v[4:5]
	s_wait_dscnt 0x0
	s_delay_alu instid0(VALU_DEP_2) | instskip(NEXT) | instid1(VALU_DEP_2)
	v_add_f64_e32 v[10:11], v[2:3], v[6:7]
	v_add_f64_e32 v[15:16], v[4:5], v[8:9]
	ds_load_b128 v[2:5], v196 offset:64
	ds_load_b128 v[6:9], v196 offset:80
	s_wait_dscnt 0x1
	v_add_f64_e32 v[2:3], v[10:11], v[2:3]
	v_add_f64_e32 v[4:5], v[15:16], v[4:5]
	s_wait_dscnt 0x0
	s_delay_alu instid0(VALU_DEP_2) | instskip(NEXT) | instid1(VALU_DEP_2)
	;; [unrolled: 9-line block ×3, first 2 shown]
	v_add_f64_e32 v[5:6], v[2:3], v[6:7]
	v_add_f64_e32 v[7:8], v[10:11], v[8:9]
.LBB50_88:                              ;   in Loop: Header=BB50_4 Depth=1
	s_wait_alu 0xfffe
	s_or_b32 exec_lo, exec_lo, s22
	v_add_co_u32 v9, vcc_lo, 0xfffffe00, v13
	s_wait_alu 0xfffd
	v_add_co_ci_u32_e64 v10, null, -1, v14, vcc_lo
	s_and_b32 vcc_lo, exec_lo, s77
	s_mov_b32 s22, -1
	s_wait_loadcnt 0x0
	s_barrier_signal -1
	s_barrier_wait -1
	global_inv scope:SCOPE_SE
                                        ; implicit-def: $vgpr2_vgpr3
	s_wait_alu 0xfffe
	s_cbranch_vccz .LBB50_100
; %bb.89:                               ;   in Loop: Header=BB50_4 Depth=1
	s_and_saveexec_b32 s22, s16
	s_wait_alu 0xfffe
	s_xor_b32 s22, exec_lo, s22
; %bb.90:                               ;   in Loop: Header=BB50_4 Depth=1
	v_dual_mov_b32 v2, v1 :: v_dual_mov_b32 v3, v1
	v_mov_b32_e32 v4, v1
	ds_store_b128 v186, v[1:4]
; %bb.91:                               ;   in Loop: Header=BB50_4 Depth=1
	s_wait_alu 0xfffe
	s_or_saveexec_b32 s22, s22
	v_add_co_u32 v2, vcc_lo, v13, v174
	s_wait_alu 0xfffd
	v_add_co_ci_u32_e64 v3, null, v14, v175, vcc_lo
	s_lshl_b64 s[72:73], s[46:47], 4
	s_wait_alu 0xfffe
	v_add_co_u32 v2, vcc_lo, v2, s72
	s_wait_alu 0xfffd
	v_add_co_ci_u32_e64 v3, null, s73, v3, vcc_lo
	s_delay_alu instid0(VALU_DEP_2) | instskip(SKIP_1) | instid1(VALU_DEP_2)
	v_add_co_u32 v2, vcc_lo, 0xfffffdf0, v2
	s_wait_alu 0xfffd
	v_add_co_ci_u32_e64 v3, null, -1, v3, vcc_lo
	s_delay_alu instid0(VALU_DEP_2) | instskip(NEXT) | instid1(VALU_DEP_2)
	v_cndmask_b32_e64 v11, v2, v9, s1
	v_cndmask_b32_e64 v12, v3, v10, s1
	s_xor_b32 exec_lo, exec_lo, s22
	s_cbranch_execnz .LBB50_182
; %bb.92:                               ;   in Loop: Header=BB50_4 Depth=1
	s_or_b32 exec_lo, exec_lo, s22
	s_and_saveexec_b32 s22, s17
	s_wait_alu 0xfffe
	s_xor_b32 s22, exec_lo, s22
	s_cbranch_execnz .LBB50_183
.LBB50_93:                              ;   in Loop: Header=BB50_4 Depth=1
	s_wait_alu 0xfffe
	s_and_not1_saveexec_b32 s22, s22
	s_cbranch_execnz .LBB50_184
.LBB50_94:                              ;   in Loop: Header=BB50_4 Depth=1
	s_wait_alu 0xfffe
	s_or_b32 exec_lo, exec_lo, s22
	s_and_saveexec_b32 s22, s18
	s_wait_alu 0xfffe
	s_xor_b32 s22, exec_lo, s22
	s_cbranch_execnz .LBB50_185
.LBB50_95:                              ;   in Loop: Header=BB50_4 Depth=1
	s_wait_alu 0xfffe
	s_and_not1_saveexec_b32 s22, s22
	s_cbranch_execnz .LBB50_186
.LBB50_96:                              ;   in Loop: Header=BB50_4 Depth=1
	s_wait_alu 0xfffe
	s_or_b32 exec_lo, exec_lo, s22
	s_and_saveexec_b32 s22, s19
	s_wait_alu 0xfffe
	s_xor_b32 s22, exec_lo, s22
	s_cbranch_execnz .LBB50_187
.LBB50_97:                              ;   in Loop: Header=BB50_4 Depth=1
	s_wait_alu 0xfffe
	s_and_not1_saveexec_b32 s22, s22
	s_cbranch_execz .LBB50_99
.LBB50_98:                              ;   in Loop: Header=BB50_4 Depth=1
	s_lshl_b64 s[72:73], s[54:55], 4
	s_wait_alu 0xfffe
	v_add_co_u32 v2, vcc_lo, v11, s72
	s_wait_alu 0xfffd
	v_add_co_ci_u32_e64 v3, null, s73, v12, vcc_lo
	flat_load_b128 v[15:18], v[2:3]
	v_add_nc_u32_e32 v2, 0x3180, v186
	s_wait_loadcnt_dscnt 0x0
	ds_store_2addr_b64 v2, v[15:16], v[17:18] offset1:1
.LBB50_99:                              ;   in Loop: Header=BB50_4 Depth=1
	s_wait_alu 0xfffe
	s_or_b32 exec_lo, exec_lo, s22
	scratch_load_b32 v2, off, off           ; 4-byte Folded Reload
	s_lshl_b64 s[22:23], s[56:57], 4
	s_wait_loadcnt 0x0
	v_add_co_u32 v2, vcc_lo, v11, v2
	s_wait_alu 0xfffd
	v_add_co_ci_u32_e64 v3, null, 0, v12, vcc_lo
	s_wait_alu 0xfffe
	s_delay_alu instid0(VALU_DEP_2) | instskip(SKIP_1) | instid1(VALU_DEP_2)
	v_add_co_u32 v2, vcc_lo, v2, s22
	s_wait_alu 0xfffd
	v_add_co_ci_u32_e64 v3, null, s23, v3, vcc_lo
	s_mov_b32 s22, 0
	v_add_co_u32 v2, vcc_lo, v2, 16
	s_wait_alu 0xfffd
	v_add_co_ci_u32_e64 v3, null, 0, v3, vcc_lo
	s_delay_alu instid0(VALU_DEP_2) | instskip(NEXT) | instid1(VALU_DEP_2)
	v_cndmask_b32_e64 v2, v2, v9, s1
	v_cndmask_b32_e64 v3, v3, v10, s1
.LBB50_100:                             ;   in Loop: Header=BB50_4 Depth=1
	s_wait_alu 0xfffe
	s_and_b32 vcc_lo, exec_lo, s22
	s_wait_alu 0xfffe
	s_cbranch_vccz .LBB50_102
; %bb.101:                              ;   in Loop: Header=BB50_4 Depth=1
	flat_load_b128 v[15:18], v[9:10]
	s_lshl_b64 s[22:23], s[52:53], 4
	v_add_nc_u32_e32 v4, 0x1080, v186
	s_wait_alu 0xfffe
	v_add_co_u32 v2, vcc_lo, v13, s22
	s_wait_alu 0xfffd
	v_add_co_ci_u32_e64 v3, null, s23, v14, vcc_lo
	s_wait_loadcnt_dscnt 0x0
	ds_store_2addr_b64 v186, v[15:16], v[17:18] offset1:1
	flat_load_b128 v[11:14], v[2:3] offset:-512
	v_add_co_u32 v2, vcc_lo, v2, s58
	s_wait_alu 0xfffd
	v_add_co_ci_u32_e64 v3, null, s59, v3, vcc_lo
	s_wait_loadcnt_dscnt 0x0
	ds_store_2addr_b64 v4, v[11:12], v[13:14] offset1:1
	flat_load_b128 v[11:14], v[2:3] offset:-512
	v_add_co_u32 v2, vcc_lo, v2, s58
	v_add_nc_u32_e32 v4, 0x2100, v186
	s_wait_alu 0xfffd
	v_add_co_ci_u32_e64 v3, null, s59, v3, vcc_lo
	s_wait_loadcnt_dscnt 0x0
	ds_store_2addr_b64 v4, v[11:12], v[13:14] offset1:1
	flat_load_b128 v[11:14], v[2:3] offset:-512
	v_dual_mov_b32 v2, v9 :: v_dual_mov_b32 v3, v10
	v_add_nc_u32_e32 v4, 0x3180, v186
	s_wait_loadcnt_dscnt 0x0
	ds_store_2addr_b64 v4, v[11:12], v[13:14] offset1:1
.LBB50_102:                             ;   in Loop: Header=BB50_4 Depth=1
	s_wait_loadcnt_dscnt 0x0
	scratch_load_b32 v9, off, off offset:4  ; 4-byte Folded Reload
	s_barrier_signal -1
	s_barrier_wait -1
	s_wait_loadcnt 0x0
	global_inv scope:SCOPE_SE
	v_add_nc_u32_e32 v4, v193, v9
	v_add_nc_u32_e32 v13, v198, v9
	ds_load_b128 v[9:12], v4
	ds_load_b128 v[13:16], v13
	scratch_load_b32 v4, off, off offset:12 ; 4-byte Folded Reload
	s_wait_loadcnt 0x0
	ds_load_b128 v[17:20], v4 offset:128
	ds_load_b128 v[21:24], v199 offset:128
	;; [unrolled: 1-line block ×4, first 2 shown]
	s_wait_dscnt 0x4
	v_mul_f64_e32 v[33:34], v[11:12], v[15:16]
	v_mul_f64_e32 v[11:12], v[11:12], v[13:14]
	s_wait_dscnt 0x2
	v_mul_f64_e32 v[35:36], v[23:24], v[19:20]
	v_mul_f64_e32 v[23:24], v[23:24], v[17:18]
	s_delay_alu instid0(VALU_DEP_4) | instskip(NEXT) | instid1(VALU_DEP_4)
	v_fma_f64 v[33:34], v[9:10], v[13:14], v[33:34]
	v_fma_f64 v[37:38], v[9:10], v[15:16], -v[11:12]
	ds_load_b128 v[9:12], v4 offset:256
	ds_load_b128 v[13:16], v4 offset:384
	v_fma_f64 v[17:18], v[21:22], v[17:18], v[35:36]
	v_fma_f64 v[19:20], v[21:22], v[19:20], -v[23:24]
	s_wait_dscnt 0x1
	v_mul_f64_e32 v[39:40], v[27:28], v[11:12]
	v_mul_f64_e32 v[27:28], v[27:28], v[9:10]
	v_add_f64_e32 v[21:22], 0, v[33:34]
	v_add_f64_e32 v[23:24], 0, v[37:38]
	s_wait_dscnt 0x0
	v_mul_f64_e32 v[33:34], v[31:32], v[15:16]
	v_mul_f64_e32 v[31:32], v[31:32], v[13:14]
	v_fma_f64 v[9:10], v[25:26], v[9:10], v[39:40]
	v_fma_f64 v[11:12], v[25:26], v[11:12], -v[27:28]
	v_add_f64_e32 v[17:18], v[21:22], v[17:18]
	v_add_f64_e32 v[19:20], v[23:24], v[19:20]
	v_fma_f64 v[13:14], v[29:30], v[13:14], v[33:34]
	v_fma_f64 v[15:16], v[29:30], v[15:16], -v[31:32]
	s_delay_alu instid0(VALU_DEP_4) | instskip(NEXT) | instid1(VALU_DEP_4)
	v_add_f64_e32 v[9:10], v[17:18], v[9:10]
	v_add_f64_e32 v[11:12], v[19:20], v[11:12]
	s_delay_alu instid0(VALU_DEP_2) | instskip(NEXT) | instid1(VALU_DEP_2)
	v_add_f64_e32 v[43:44], v[9:10], v[13:14]
	v_add_f64_e32 v[45:46], v[11:12], v[15:16]
	ds_load_b128 v[33:36], v198 offset:512
	ds_load_b128 v[25:28], v198 offset:528
	;; [unrolled: 1-line block ×4, first 2 shown]
	ds_load_b128 v[29:32], v194
	ds_load_b128 v[21:24], v194 offset:528
	ds_load_b128 v[37:40], v197
	ds_load_b128 v[17:20], v194 offset:1056
	s_wait_dscnt 0x0
	s_barrier_signal -1
	s_barrier_wait -1
	global_inv scope:SCOPE_SE
	ds_store_b128 v199, v[43:46]
	s_wait_loadcnt_dscnt 0x0
	s_barrier_signal -1
	s_barrier_wait -1
	global_inv scope:SCOPE_SE
	s_and_saveexec_b32 s22, s20
	s_cbranch_execz .LBB50_104
; %bb.103:                              ;   in Loop: Header=BB50_4 Depth=1
	ds_load_b128 v[43:46], v196
	ds_load_b128 v[47:50], v196 offset:16
	s_wait_dscnt 0x1
	v_add_f64_e32 v[4:5], v[5:6], v[43:44]
	v_add_f64_e32 v[6:7], v[7:8], v[45:46]
	s_wait_dscnt 0x0
	s_delay_alu instid0(VALU_DEP_2) | instskip(NEXT) | instid1(VALU_DEP_2)
	v_add_f64_e32 v[47:48], v[4:5], v[47:48]
	v_add_f64_e32 v[49:50], v[6:7], v[49:50]
	ds_load_b128 v[4:7], v196 offset:32
	ds_load_b128 v[43:46], v196 offset:48
	s_wait_dscnt 0x1
	v_add_f64_e32 v[4:5], v[47:48], v[4:5]
	v_add_f64_e32 v[6:7], v[49:50], v[6:7]
	s_wait_dscnt 0x0
	s_delay_alu instid0(VALU_DEP_2) | instskip(NEXT) | instid1(VALU_DEP_2)
	v_add_f64_e32 v[47:48], v[4:5], v[43:44]
	v_add_f64_e32 v[49:50], v[6:7], v[45:46]
	ds_load_b128 v[4:7], v196 offset:64
	;; [unrolled: 9-line block ×3, first 2 shown]
	ds_load_b128 v[43:46], v196 offset:112
	s_wait_dscnt 0x1
	v_add_f64_e32 v[4:5], v[47:48], v[4:5]
	v_add_f64_e32 v[7:8], v[49:50], v[6:7]
	s_wait_dscnt 0x0
	s_delay_alu instid0(VALU_DEP_2) | instskip(NEXT) | instid1(VALU_DEP_2)
	v_add_f64_e32 v[5:6], v[4:5], v[43:44]
	v_add_f64_e32 v[7:8], v[7:8], v[45:46]
.LBB50_104:                             ;   in Loop: Header=BB50_4 Depth=1
	s_wait_alu 0xfffe
	s_or_b32 exec_lo, exec_lo, s22
	v_mul_f64_e32 v[43:44], v[35:36], v[39:40]
	v_mul_f64_e32 v[39:40], v[33:34], v[39:40]
	;; [unrolled: 1-line block ×4, first 2 shown]
	s_wait_loadcnt 0x0
	s_barrier_signal -1
	s_barrier_wait -1
	global_inv scope:SCOPE_SE
	v_fma_f64 v[33:34], v[33:34], v[37:38], -v[43:44]
	v_fma_f64 v[35:36], v[35:36], v[37:38], v[39:40]
	v_mul_f64_e32 v[37:38], v[15:16], v[23:24]
	v_mul_f64_e32 v[23:24], v[13:14], v[23:24]
	v_fma_f64 v[25:26], v[25:26], v[29:30], -v[45:46]
	v_fma_f64 v[27:28], v[27:28], v[29:30], v[31:32]
	v_add_f64_e32 v[29:30], 0, v[33:34]
	v_add_f64_e32 v[31:32], 0, v[35:36]
	v_mul_f64_e32 v[33:34], v[11:12], v[19:20]
	v_mul_f64_e32 v[19:20], v[9:10], v[19:20]
	v_fma_f64 v[13:14], v[13:14], v[21:22], -v[37:38]
	v_fma_f64 v[15:16], v[15:16], v[21:22], v[23:24]
	v_add_f64_e32 v[21:22], v[29:30], v[25:26]
	v_add_f64_e32 v[23:24], v[31:32], v[27:28]
	v_fma_f64 v[9:10], v[9:10], v[17:18], -v[33:34]
	v_fma_f64 v[11:12], v[11:12], v[17:18], v[19:20]
	s_delay_alu instid0(VALU_DEP_4) | instskip(NEXT) | instid1(VALU_DEP_4)
	v_add_f64_e32 v[13:14], v[21:22], v[13:14]
	v_add_f64_e32 v[15:16], v[23:24], v[15:16]
	s_delay_alu instid0(VALU_DEP_2) | instskip(NEXT) | instid1(VALU_DEP_2)
	v_add_f64_e32 v[9:10], v[13:14], v[9:10]
	v_add_f64_e32 v[11:12], v[15:16], v[11:12]
	ds_store_b128 v199, v[9:12]
	s_wait_loadcnt_dscnt 0x0
	s_barrier_signal -1
	s_barrier_wait -1
	global_inv scope:SCOPE_SE
	s_and_saveexec_b32 s22, s14
	s_cbranch_execz .LBB50_106
; %bb.105:                              ;   in Loop: Header=BB50_4 Depth=1
	ds_load_b128 v[9:12], v196
	ds_load_b128 v[13:16], v196 offset:16
	s_wait_dscnt 0x1
	v_add_f64_e32 v[4:5], v[5:6], v[9:10]
	v_add_f64_e32 v[6:7], v[7:8], v[11:12]
	s_wait_dscnt 0x0
	s_delay_alu instid0(VALU_DEP_2) | instskip(NEXT) | instid1(VALU_DEP_2)
	v_add_f64_e32 v[12:13], v[4:5], v[13:14]
	v_add_f64_e32 v[14:15], v[6:7], v[15:16]
	ds_load_b128 v[4:7], v196 offset:32
	ds_load_b128 v[8:11], v196 offset:48
	s_wait_dscnt 0x1
	v_add_f64_e32 v[4:5], v[12:13], v[4:5]
	v_add_f64_e32 v[6:7], v[14:15], v[6:7]
	s_wait_dscnt 0x0
	s_delay_alu instid0(VALU_DEP_2) | instskip(NEXT) | instid1(VALU_DEP_2)
	v_add_f64_e32 v[12:13], v[4:5], v[8:9]
	v_add_f64_e32 v[14:15], v[6:7], v[10:11]
	ds_load_b128 v[4:7], v196 offset:64
	;; [unrolled: 9-line block ×3, first 2 shown]
	ds_load_b128 v[8:11], v196 offset:112
	s_wait_dscnt 0x1
	v_add_f64_e32 v[4:5], v[12:13], v[4:5]
	v_add_f64_e32 v[12:13], v[14:15], v[6:7]
	s_wait_dscnt 0x0
	s_delay_alu instid0(VALU_DEP_2) | instskip(NEXT) | instid1(VALU_DEP_2)
	v_add_f64_e32 v[5:6], v[4:5], v[8:9]
	v_add_f64_e32 v[7:8], v[12:13], v[10:11]
.LBB50_106:                             ;   in Loop: Header=BB50_4 Depth=1
	s_wait_alu 0xfffe
	s_or_b32 exec_lo, exec_lo, s22
	s_mul_u64 s[22:23], s[48:49], s[34:35]
	s_and_not1_b32 vcc_lo, exec_lo, s45
	s_wait_alu 0xfffe
	s_lshl_b64 s[22:23], s[22:23], 4
	s_wait_loadcnt 0x0
	s_wait_alu 0xfffe
	s_add_nc_u64 s[72:73], s[50:51], s[22:23]
	s_barrier_signal -1
	s_barrier_wait -1
	global_inv scope:SCOPE_SE
	s_cbranch_vccnz .LBB50_164
; %bb.107:                              ;   in Loop: Header=BB50_4 Depth=1
	scratch_load_b32 v4, off, off offset:48 ; 4-byte Folded Reload
	v_add_co_u32 v201, vcc_lo, v41, s70
	s_wait_alu 0xfffd
	v_add_co_ci_u32_e64 v255, null, s71, v42, vcc_lo
	s_mov_b32 s23, ttmp9
	s_mov_b32 s74, s82
	s_clause 0x1
	scratch_load_b64 v[9:10], off, off offset:36
	scratch_load_b32 v184, off, off offset:32
	s_wait_loadcnt 0x2
	v_add_co_u32 v209, vcc_lo, v2, v4
	scratch_load_b32 v4, off, off offset:44 ; 4-byte Folded Reload
	s_wait_loadcnt 0x0
	s_wait_alu 0xfffd
	v_add_co_ci_u32_e64 v212, null, v3, v4, vcc_lo
	scratch_load_b32 v4, off, off offset:56 ; 4-byte Folded Reload
	s_wait_loadcnt 0x0
	v_add_co_u32 v213, vcc_lo, v2, v4
	scratch_load_b32 v4, off, off offset:52 ; 4-byte Folded Reload
	s_wait_loadcnt 0x0
	s_wait_alu 0xfffd
	v_add_co_ci_u32_e64 v214, null, v3, v4, vcc_lo
	scratch_load_b32 v4, off, off offset:60 ; 4-byte Folded Reload
	;; [unrolled: 7-line block ×5, first 2 shown]
	v_add_co_u32 v221, vcc_lo, v2, v9
	s_wait_alu 0xfffd
	v_add_co_ci_u32_e64 v222, null, v3, v10, vcc_lo
	s_wait_loadcnt 0x0
	v_add_co_u32 v223, vcc_lo, v2, v4
	scratch_load_b32 v4, off, off offset:88 ; 4-byte Folded Reload
	s_wait_loadcnt 0x0
	s_wait_alu 0xfffd
	v_add_co_ci_u32_e64 v224, null, v3, v4, vcc_lo
	scratch_load_b32 v4, off, off offset:92 ; 4-byte Folded Reload
	s_wait_loadcnt 0x0
	v_add_co_u32 v225, vcc_lo, v2, v4
	scratch_load_b32 v4, off, off offset:96 ; 4-byte Folded Reload
	s_wait_loadcnt 0x0
	s_wait_alu 0xfffd
	v_add_co_ci_u32_e64 v226, null, v3, v4, vcc_lo
	scratch_load_b32 v4, off, off offset:100 ; 4-byte Folded Reload
	;; [unrolled: 7-line block ×13, first 2 shown]
	s_wait_loadcnt 0x0
	v_add_co_u32 v249, vcc_lo, v2, v4
	scratch_load_b32 v2, off, off offset:188 ; 4-byte Folded Reload
	s_wait_loadcnt 0x0
	s_wait_alu 0xfffd
	v_add_co_ci_u32_e64 v195, null, v3, v2, vcc_lo
	s_wait_alu 0xfffe
	s_cmp_eq_u32 s79, s23
	s_cselect_b32 s83, s76, 0
	s_and_saveexec_b32 s22, s0
	s_cbranch_execz .LBB50_112
.LBB50_108:                             ;   in Loop: Header=BB50_4 Depth=1
	s_wait_alu 0xfffe
	v_cmp_le_i32_e32 vcc_lo, s83, v173
	s_cmp_lg_u32 s83, 0
	s_cselect_b32 s75, -1, 0
	s_wait_alu 0xfffe
	s_and_b32 s75, s75, vcc_lo
	s_wait_alu 0xfffe
	s_and_saveexec_b32 s84, s75
	s_wait_alu 0xfffe
	s_xor_b32 s75, exec_lo, s84
; %bb.109:                              ;   in Loop: Header=BB50_4 Depth=1
	v_dual_mov_b32 v2, v1 :: v_dual_mov_b32 v3, v1
	v_mov_b32_e32 v4, v1
	ds_store_b128 v202, v[1:4]
; %bb.110:                              ;   in Loop: Header=BB50_4 Depth=1
	s_wait_alu 0xfffe
	s_and_not1_saveexec_b32 s75, s75
	s_cbranch_execz .LBB50_112
; %bb.111:                              ;   in Loop: Header=BB50_4 Depth=1
	s_ashr_i32 s75, s74, 31
	s_wait_alu 0xfffe
	s_lshl_b64 s[84:85], s[74:75], 4
	s_wait_alu 0xfffe
	v_add_co_u32 v2, vcc_lo, v201, s84
	s_wait_alu 0xfffd
	v_add_co_ci_u32_e64 v3, null, s85, v255, vcc_lo
	flat_load_b128 v[9:12], v[2:3]
	s_wait_loadcnt_dscnt 0x0
	ds_store_2addr_b64 v202, v[9:10], v[11:12] offset1:1
.LBB50_112:                             ;   Parent Loop BB50_4 Depth=1
                                        ; =>  This Inner Loop Header: Depth=2
	s_wait_alu 0xfffe
	s_or_b32 exec_lo, exec_lo, s22
	s_cmp_eq_u32 s83, 0
	v_add_co_u32 v2, vcc_lo, v219, v210
	s_cselect_b32 s75, -1, 0
	s_cmp_lg_u32 s83, 0
	s_wait_alu 0xfffd
	v_add_co_ci_u32_e64 v3, null, v220, v211, vcc_lo
	s_cselect_b32 s22, -1, 0
	s_wait_dscnt 0x0
	s_wait_alu 0xfffe
	s_and_b32 vcc_lo, exec_lo, s22
	s_barrier_signal -1
	s_barrier_wait -1
	global_inv scope:SCOPE_SE
	s_wait_alu 0xfffe
	s_cbranch_vccz .LBB50_120
; %bb.113:                              ;   in Loop: Header=BB50_112 Depth=2
	v_mov_b32_e32 v9, 0
	v_dual_mov_b32 v10, 0 :: v_dual_mov_b32 v13, 0
	v_dual_mov_b32 v15, 0 :: v_dual_mov_b32 v14, 0
	v_mov_b32_e32 v16, 0
	s_mov_b32 s84, exec_lo
	v_cmpx_gt_i32_e64 s83, v200
	s_cbranch_execz .LBB50_115
; %bb.114:                              ;   in Loop: Header=BB50_112 Depth=2
	flat_load_b128 v[13:16], v[2:3]
.LBB50_115:                             ;   in Loop: Header=BB50_112 Depth=2
	s_wait_alu 0xfffe
	s_or_b32 exec_lo, exec_lo, s84
	v_mov_b32_e32 v11, 0
	v_or_b32_e32 v4, 1, v200
	v_mov_b32_e32 v12, 0
	s_mov_b32 s84, exec_lo
	s_delay_alu instid0(VALU_DEP_2)
	v_cmpx_gt_i32_e64 s83, v4
	s_cbranch_execz .LBB50_117
; %bb.116:                              ;   in Loop: Header=BB50_112 Depth=2
	v_add_co_u32 v9, vcc_lo, v215, v210
	s_wait_alu 0xfffd
	v_add_co_ci_u32_e64 v10, null, v216, v211, vcc_lo
	flat_load_b128 v[9:12], v[9:10]
.LBB50_117:                             ;   in Loop: Header=BB50_112 Depth=2
	s_wait_alu 0xfffe
	s_or_b32 exec_lo, exec_lo, s84
	v_mov_b32_e32 v17, 0
	v_dual_mov_b32 v18, 0 :: v_dual_mov_b32 v19, 0
	v_or_b32_e32 v4, 2, v200
	v_mov_b32_e32 v20, 0
	s_mov_b32 s84, exec_lo
	s_delay_alu instid0(VALU_DEP_2)
	v_cmpx_gt_i32_e64 s83, v4
	s_cbranch_execz .LBB50_119
; %bb.118:                              ;   in Loop: Header=BB50_112 Depth=2
	v_add_co_u32 v17, vcc_lo, v223, v210
	s_wait_alu 0xfffd
	v_add_co_ci_u32_e64 v18, null, v224, v211, vcc_lo
	flat_load_b128 v[17:20], v[17:18]
.LBB50_119:                             ;   in Loop: Header=BB50_112 Depth=2
	s_wait_alu 0xfffe
	s_or_b32 exec_lo, exec_lo, s84
	v_or_b32_e32 v4, 3, v200
	s_delay_alu instid0(VALU_DEP_1)
	v_cmp_gt_i32_e64 s84, s83, v4
	s_branch .LBB50_122
.LBB50_120:                             ;   in Loop: Header=BB50_112 Depth=2
	s_mov_b32 s84, 0
                                        ; implicit-def: $vgpr19_vgpr20
                                        ; implicit-def: $vgpr11_vgpr12
                                        ; implicit-def: $vgpr15_vgpr16
	s_cbranch_execz .LBB50_122
; %bb.121:                              ;   in Loop: Header=BB50_112 Depth=2
	s_wait_loadcnt_dscnt 0x0
	v_add_co_u32 v9, vcc_lo, v215, v210
	s_wait_alu 0xfffd
	v_add_co_ci_u32_e64 v10, null, v216, v211, vcc_lo
	v_add_co_u32 v17, vcc_lo, v209, v210
	s_wait_alu 0xfffd
	v_add_co_ci_u32_e64 v18, null, v212, v211, vcc_lo
	flat_load_b128 v[13:16], v[2:3]
	flat_load_b128 v[9:12], v[9:10]
	flat_load_b128 v[17:20], v[17:18] offset:-8
	s_wait_alu 0xfffe
	s_or_b32 s84, s84, exec_lo
.LBB50_122:                             ;   in Loop: Header=BB50_112 Depth=2
	v_mov_b32_e32 v21, 0
	v_dual_mov_b32 v22, 0 :: v_dual_mov_b32 v23, 0
	v_mov_b32_e32 v24, 0
	s_wait_alu 0xfffe
	s_and_saveexec_b32 s85, s84
	s_cbranch_execz .LBB50_124
; %bb.123:                              ;   in Loop: Header=BB50_112 Depth=2
	v_add_co_u32 v2, vcc_lo, v227, v210
	s_wait_alu 0xfffd
	v_add_co_ci_u32_e64 v3, null, v228, v211, vcc_lo
	flat_load_b128 v[21:24], v[2:3]
.LBB50_124:                             ;   in Loop: Header=BB50_112 Depth=2
	s_wait_alu 0xfffe
	s_or_b32 exec_lo, exec_lo, s85
	ds_load_b128 v[29:32], v187
	ds_load_b128 v[25:28], v0
	v_cndmask_b32_e64 v4, 0, 1, s22
	s_wait_loadcnt_dscnt 0x1
	v_mul_f64_e32 v[2:3], v[15:16], v[31:32]
	v_mul_f64_e32 v[33:34], v[15:16], v[29:30]
	;; [unrolled: 1-line block ×8, first 2 shown]
	v_fma_f64 v[41:42], v[13:14], v[29:30], v[2:3]
	v_fma_f64 v[43:44], v[13:14], v[31:32], -v[33:34]
	v_fma_f64 v[45:46], v[9:10], v[29:30], v[35:36]
	v_fma_f64 v[47:48], v[9:10], v[31:32], -v[37:38]
	;; [unrolled: 2-line block ×4, first 2 shown]
	ds_load_b128 v[37:40], v0 offset:16
	ds_load_b128 v[33:36], v0 offset:32
	;; [unrolled: 1-line block ×3, first 2 shown]
	v_add_co_u32 v2, vcc_lo, v239, v210
	s_wait_alu 0xfffd
	v_add_co_ci_u32_e64 v3, null, v240, v211, vcc_lo
	s_and_not1_b32 vcc_lo, exec_lo, s22
	ds_store_b128 v203, v[41:44]
	ds_store_b128 v203, v[45:48] offset:1072
	ds_store_b128 v203, v[49:52] offset:2144
	;; [unrolled: 1-line block ×3, first 2 shown]
	s_wait_dscnt 0x0
	s_barrier_signal -1
	s_barrier_wait -1
	global_inv scope:SCOPE_SE
	ds_load_b128 v[97:100], v204
	ds_load_b128 v[93:96], v204 offset:16
	ds_load_b128 v[89:92], v204 offset:32
	;; [unrolled: 1-line block ×3, first 2 shown]
	s_wait_loadcnt_dscnt 0x0
	s_barrier_signal -1
	s_barrier_wait -1
	global_inv scope:SCOPE_SE
	s_wait_alu 0xfffe
	s_cbranch_vccnz .LBB50_132
; %bb.125:                              ;   in Loop: Header=BB50_112 Depth=2
	v_mov_b32_e32 v41, 0
	v_mov_b32_e32 v45, 0
	;; [unrolled: 1-line block ×3, first 2 shown]
	v_dual_mov_b32 v42, 0 :: v_dual_add_nc_u32 v43, 16, v200
	v_mov_b32_e32 v46, 0
	v_mov_b32_e32 v48, 0
	s_mov_b32 s22, exec_lo
	s_delay_alu instid0(VALU_DEP_3)
	v_cmpx_gt_i32_e64 s83, v43
	s_cbranch_execz .LBB50_127
; %bb.126:                              ;   in Loop: Header=BB50_112 Depth=2
	flat_load_b128 v[45:48], v[2:3]
.LBB50_127:                             ;   in Loop: Header=BB50_112 Depth=2
	s_wait_alu 0xfffe
	s_or_b32 exec_lo, exec_lo, s22
	v_mov_b32_e32 v43, 0
	v_dual_mov_b32 v44, 0 :: v_dual_add_nc_u32 v49, 17, v200
	s_mov_b32 s22, exec_lo
	s_delay_alu instid0(VALU_DEP_1)
	v_cmpx_gt_i32_e64 s83, v49
	s_cbranch_execz .LBB50_129
; %bb.128:                              ;   in Loop: Header=BB50_112 Depth=2
	v_add_co_u32 v41, vcc_lo, v235, v210
	s_wait_alu 0xfffd
	v_add_co_ci_u32_e64 v42, null, v236, v211, vcc_lo
	flat_load_b128 v[41:44], v[41:42]
.LBB50_129:                             ;   in Loop: Header=BB50_112 Depth=2
	s_wait_alu 0xfffe
	s_or_b32 exec_lo, exec_lo, s22
	v_mov_b32_e32 v49, 0
	v_mov_b32_e32 v51, 0
	v_dual_mov_b32 v50, 0 :: v_dual_add_nc_u32 v53, 18, v200
	v_mov_b32_e32 v52, 0
	s_mov_b32 s22, exec_lo
	s_delay_alu instid0(VALU_DEP_2)
	v_cmpx_gt_i32_e64 s83, v53
	s_cbranch_execz .LBB50_131
; %bb.130:                              ;   in Loop: Header=BB50_112 Depth=2
	v_add_co_u32 v49, vcc_lo, v243, v210
	s_wait_alu 0xfffd
	v_add_co_ci_u32_e64 v50, null, v244, v211, vcc_lo
	flat_load_b128 v[49:52], v[49:50]
.LBB50_131:                             ;   in Loop: Header=BB50_112 Depth=2
	s_wait_alu 0xfffe
	s_or_b32 exec_lo, exec_lo, s22
	v_add_nc_u32_e32 v53, 19, v200
	s_delay_alu instid0(VALU_DEP_1)
	v_cmp_gt_i32_e64 s22, s83, v53
	s_branch .LBB50_134
.LBB50_132:                             ;   in Loop: Header=BB50_112 Depth=2
	s_mov_b32 s22, 0
                                        ; implicit-def: $vgpr51_vgpr52
                                        ; implicit-def: $vgpr43_vgpr44
                                        ; implicit-def: $vgpr47_vgpr48
	s_cbranch_execz .LBB50_134
; %bb.133:                              ;   in Loop: Header=BB50_112 Depth=2
	s_wait_loadcnt_dscnt 0x0
	v_add_co_u32 v41, vcc_lo, v235, v210
	s_wait_alu 0xfffd
	v_add_co_ci_u32_e64 v42, null, v236, v211, vcc_lo
	v_add_co_u32 v49, vcc_lo, v231, v210
	s_wait_alu 0xfffd
	v_add_co_ci_u32_e64 v50, null, v232, v211, vcc_lo
	flat_load_b128 v[45:48], v[2:3]
	flat_load_b128 v[41:44], v[41:42]
	flat_load_b128 v[49:52], v[49:50] offset:-8
	s_wait_alu 0xfffe
	s_or_b32 s22, s22, exec_lo
.LBB50_134:                             ;   in Loop: Header=BB50_112 Depth=2
	v_mov_b32_e32 v53, 0
	v_dual_mov_b32 v54, 0 :: v_dual_mov_b32 v55, 0
	v_mov_b32_e32 v56, 0
	s_wait_alu 0xfffe
	s_and_saveexec_b32 s84, s22
	s_cbranch_execz .LBB50_136
; %bb.135:                              ;   in Loop: Header=BB50_112 Depth=2
	v_add_co_u32 v2, vcc_lo, v247, v210
	s_wait_alu 0xfffd
	v_add_co_ci_u32_e64 v3, null, v248, v211, vcc_lo
	flat_load_b128 v[53:56], v[2:3]
.LBB50_136:                             ;   in Loop: Header=BB50_112 Depth=2
	s_wait_alu 0xfffe
	s_or_b32 exec_lo, exec_lo, s84
	ds_load_b128 v[61:64], v187
	ds_load_b128 v[57:60], v0 offset:256
	v_cmp_ne_u32_e32 vcc_lo, 1, v4
	s_and_b32 vcc_lo, exec_lo, vcc_lo
	s_wait_loadcnt_dscnt 0x1
	v_mul_f64_e32 v[2:3], v[47:48], v[63:64]
	v_mul_f64_e32 v[65:66], v[47:48], v[61:62]
	;; [unrolled: 1-line block ×8, first 2 shown]
	v_fma_f64 v[73:74], v[45:46], v[61:62], v[2:3]
	v_fma_f64 v[75:76], v[45:46], v[63:64], -v[65:66]
	v_fma_f64 v[77:78], v[41:42], v[61:62], v[67:68]
	v_fma_f64 v[79:80], v[41:42], v[63:64], -v[69:70]
	;; [unrolled: 2-line block ×4, first 2 shown]
	ds_load_b128 v[69:72], v0 offset:272
	ds_load_b128 v[65:68], v0 offset:288
	;; [unrolled: 1-line block ×3, first 2 shown]
	v_add_co_u32 v2, s22, v241, v210
	s_wait_alu 0xf1ff
	v_add_co_ci_u32_e64 v3, null, v242, v211, s22
	ds_store_b128 v203, v[73:76]
	ds_store_b128 v203, v[77:80] offset:1072
	ds_store_b128 v203, v[81:84] offset:2144
	;; [unrolled: 1-line block ×3, first 2 shown]
	s_wait_dscnt 0x0
	s_barrier_signal -1
	s_barrier_wait -1
	global_inv scope:SCOPE_SE
	ds_load_b128 v[145:148], v204
	ds_load_b128 v[141:144], v204 offset:16
	ds_load_b128 v[137:140], v204 offset:32
	;; [unrolled: 1-line block ×3, first 2 shown]
	s_wait_loadcnt_dscnt 0x0
	s_barrier_signal -1
	s_barrier_wait -1
	global_inv scope:SCOPE_SE
	s_wait_alu 0xfffe
	s_cbranch_vccnz .LBB50_144
; %bb.137:                              ;   in Loop: Header=BB50_112 Depth=2
	v_mov_b32_e32 v73, 0
	v_mov_b32_e32 v77, 0
	;; [unrolled: 1-line block ×3, first 2 shown]
	v_dual_mov_b32 v74, 0 :: v_dual_add_nc_u32 v75, 32, v200
	v_mov_b32_e32 v78, 0
	v_mov_b32_e32 v80, 0
	s_mov_b32 s22, exec_lo
	s_delay_alu instid0(VALU_DEP_3)
	v_cmpx_gt_i32_e64 s83, v75
	s_cbranch_execz .LBB50_139
; %bb.138:                              ;   in Loop: Header=BB50_112 Depth=2
	flat_load_b128 v[77:80], v[2:3] offset:-8
.LBB50_139:                             ;   in Loop: Header=BB50_112 Depth=2
	s_wait_alu 0xfffe
	s_or_b32 exec_lo, exec_lo, s22
	v_mov_b32_e32 v75, 0
	v_dual_mov_b32 v76, 0 :: v_dual_add_nc_u32 v81, 33, v200
	s_mov_b32 s22, exec_lo
	s_delay_alu instid0(VALU_DEP_1)
	v_cmpx_gt_i32_e64 s83, v81
	s_cbranch_execz .LBB50_141
; %bb.140:                              ;   in Loop: Header=BB50_112 Depth=2
	v_add_co_u32 v73, vcc_lo, v245, v210
	s_wait_alu 0xfffd
	v_add_co_ci_u32_e64 v74, null, v246, v211, vcc_lo
	flat_load_b128 v[73:76], v[73:74] offset:-8
.LBB50_141:                             ;   in Loop: Header=BB50_112 Depth=2
	s_wait_alu 0xfffe
	s_or_b32 exec_lo, exec_lo, s22
	v_mov_b32_e32 v81, 0
	v_mov_b32_e32 v83, 0
	v_dual_mov_b32 v82, 0 :: v_dual_add_nc_u32 v101, 34, v200
	v_mov_b32_e32 v84, 0
	s_mov_b32 s22, exec_lo
	s_delay_alu instid0(VALU_DEP_2)
	v_cmpx_gt_i32_e64 s83, v101
	s_cbranch_execz .LBB50_143
; %bb.142:                              ;   in Loop: Header=BB50_112 Depth=2
	v_add_co_u32 v81, vcc_lo, v237, v210
	s_wait_alu 0xfffd
	v_add_co_ci_u32_e64 v82, null, v238, v211, vcc_lo
	flat_load_b128 v[81:84], v[81:82] offset:-8
.LBB50_143:                             ;   in Loop: Header=BB50_112 Depth=2
	s_wait_alu 0xfffe
	s_or_b32 exec_lo, exec_lo, s22
	v_add_nc_u32_e32 v101, 35, v200
	s_delay_alu instid0(VALU_DEP_1)
	v_cmp_gt_i32_e64 s22, s83, v101
	s_branch .LBB50_146
.LBB50_144:                             ;   in Loop: Header=BB50_112 Depth=2
	s_mov_b32 s22, 0
                                        ; implicit-def: $vgpr83_vgpr84
                                        ; implicit-def: $vgpr75_vgpr76
                                        ; implicit-def: $vgpr79_vgpr80
	s_cbranch_execz .LBB50_146
; %bb.145:                              ;   in Loop: Header=BB50_112 Depth=2
	s_wait_loadcnt_dscnt 0x0
	v_add_co_u32 v73, vcc_lo, v245, v210
	s_wait_alu 0xfffd
	v_add_co_ci_u32_e64 v74, null, v246, v211, vcc_lo
	v_add_co_u32 v81, vcc_lo, v249, v210
	s_wait_alu 0xfffd
	v_add_co_ci_u32_e64 v82, null, v195, v211, vcc_lo
	flat_load_b128 v[77:80], v[2:3] offset:-8
	flat_load_b128 v[73:76], v[73:74] offset:-8
	;; [unrolled: 1-line block ×3, first 2 shown]
	s_wait_alu 0xfffe
	s_or_b32 s22, s22, exec_lo
.LBB50_146:                             ;   in Loop: Header=BB50_112 Depth=2
	v_mov_b32_e32 v101, 0
	v_dual_mov_b32 v102, 0 :: v_dual_mov_b32 v103, 0
	v_mov_b32_e32 v104, 0
	s_wait_alu 0xfffe
	s_and_saveexec_b32 s84, s22
	s_cbranch_execz .LBB50_148
; %bb.147:                              ;   in Loop: Header=BB50_112 Depth=2
	v_add_co_u32 v2, vcc_lo, v233, v210
	s_wait_alu 0xfffd
	v_add_co_ci_u32_e64 v3, null, v234, v211, vcc_lo
	flat_load_b128 v[101:104], v[2:3] offset:-8
.LBB50_148:                             ;   in Loop: Header=BB50_112 Depth=2
	s_wait_alu 0xfffe
	s_or_b32 exec_lo, exec_lo, s84
	ds_load_b128 v[109:112], v187
	ds_load_b128 v[105:108], v0 offset:512
	v_cmp_ne_u32_e32 vcc_lo, 1, v4
	s_and_b32 vcc_lo, exec_lo, vcc_lo
	s_wait_loadcnt_dscnt 0x1
	v_mul_f64_e32 v[2:3], v[79:80], v[111:112]
	v_mul_f64_e32 v[121:122], v[83:84], v[109:110]
	;; [unrolled: 1-line block ×5, first 2 shown]
	v_fma_f64 v[113:114], v[77:78], v[109:110], v[2:3]
	v_mul_f64_e32 v[2:3], v[83:84], v[111:112]
	v_fma_f64 v[127:128], v[81:82], v[111:112], -v[121:122]
	v_mul_f64_e32 v[121:122], v[103:104], v[109:110]
	v_fma_f64 v[115:116], v[77:78], v[111:112], -v[115:116]
	v_fma_f64 v[117:118], v[73:74], v[109:110], v[117:118]
	v_fma_f64 v[119:120], v[73:74], v[111:112], -v[119:120]
	ds_store_b128 v203, v[113:116]
	ds_store_b128 v203, v[117:120] offset:1072
	v_fma_f64 v[125:126], v[81:82], v[109:110], v[2:3]
	v_mul_f64_e32 v[2:3], v[103:104], v[111:112]
	v_fma_f64 v[131:132], v[101:102], v[111:112], -v[121:122]
	ds_load_b128 v[121:124], v0 offset:528
	ds_load_b128 v[113:116], v0 offset:544
	v_fma_f64 v[129:130], v[101:102], v[109:110], v[2:3]
	ds_store_b128 v203, v[125:128] offset:2144
	ds_load_b128 v[109:112], v0 offset:560
	v_add_co_u32 v2, s22, v221, v210
	s_wait_alu 0xf1ff
	v_add_co_ci_u32_e64 v3, null, v222, v211, s22
	ds_store_b128 v203, v[129:132] offset:3216
	s_wait_dscnt 0x0
	s_barrier_signal -1
	s_barrier_wait -1
	global_inv scope:SCOPE_SE
	ds_load_b128 v[169:172], v204
	ds_load_b128 v[165:168], v204 offset:16
	ds_load_b128 v[161:164], v204 offset:32
	;; [unrolled: 1-line block ×3, first 2 shown]
	s_wait_loadcnt_dscnt 0x0
	s_barrier_signal -1
	s_barrier_wait -1
	global_inv scope:SCOPE_SE
	s_wait_alu 0xfffe
	s_cbranch_vccnz .LBB50_156
; %bb.149:                              ;   in Loop: Header=BB50_112 Depth=2
	v_dual_mov_b32 v117, 0 :: v_dual_add_nc_u32 v4, 48, v200
	v_dual_mov_b32 v118, 0 :: v_dual_mov_b32 v125, 0
	v_dual_mov_b32 v126, 0 :: v_dual_mov_b32 v127, 0
	v_mov_b32_e32 v128, 0
	s_mov_b32 s22, exec_lo
	v_cmpx_gt_i32_e64 s83, v4
	s_cbranch_execz .LBB50_151
; %bb.150:                              ;   in Loop: Header=BB50_112 Depth=2
	flat_load_b128 v[125:128], v[2:3] offset:-8
.LBB50_151:                             ;   in Loop: Header=BB50_112 Depth=2
	s_wait_alu 0xfffe
	s_or_b32 exec_lo, exec_lo, s22
	v_dual_mov_b32 v119, 0 :: v_dual_add_nc_u32 v4, 49, v200
	v_mov_b32_e32 v120, 0
	s_mov_b32 s22, exec_lo
	s_delay_alu instid0(VALU_DEP_2)
	v_cmpx_gt_i32_e64 s83, v4
	s_cbranch_execz .LBB50_153
; %bb.152:                              ;   in Loop: Header=BB50_112 Depth=2
	v_add_co_u32 v117, vcc_lo, v225, v210
	s_wait_alu 0xfffd
	v_add_co_ci_u32_e64 v118, null, v226, v211, vcc_lo
	flat_load_b128 v[117:120], v[117:118] offset:-8
.LBB50_153:                             ;   in Loop: Header=BB50_112 Depth=2
	s_wait_alu 0xfffe
	s_or_b32 exec_lo, exec_lo, s22
	v_dual_mov_b32 v129, 0 :: v_dual_add_nc_u32 v4, 50, v200
	v_dual_mov_b32 v130, 0 :: v_dual_mov_b32 v131, 0
	v_mov_b32_e32 v132, 0
	s_mov_b32 s22, exec_lo
	s_delay_alu instid0(VALU_DEP_3)
	v_cmpx_gt_i32_e64 s83, v4
	s_cbranch_execz .LBB50_155
; %bb.154:                              ;   in Loop: Header=BB50_112 Depth=2
	v_add_co_u32 v129, vcc_lo, v217, v210
	s_wait_alu 0xfffd
	v_add_co_ci_u32_e64 v130, null, v218, v211, vcc_lo
	flat_load_b128 v[129:132], v[129:130] offset:-8
.LBB50_155:                             ;   in Loop: Header=BB50_112 Depth=2
	s_wait_alu 0xfffe
	s_or_b32 exec_lo, exec_lo, s22
	v_add_nc_u32_e32 v4, 51, v200
	s_delay_alu instid0(VALU_DEP_1)
	v_cmp_gt_i32_e64 s22, s83, v4
	s_branch .LBB50_158
.LBB50_156:                             ;   in Loop: Header=BB50_112 Depth=2
	s_mov_b32 s22, 0
                                        ; implicit-def: $vgpr131_vgpr132
                                        ; implicit-def: $vgpr119_vgpr120
                                        ; implicit-def: $vgpr127_vgpr128
	s_cbranch_execz .LBB50_158
; %bb.157:                              ;   in Loop: Header=BB50_112 Depth=2
	s_wait_loadcnt_dscnt 0x0
	v_add_co_u32 v117, vcc_lo, v225, v210
	s_wait_alu 0xfffd
	v_add_co_ci_u32_e64 v118, null, v226, v211, vcc_lo
	v_add_co_u32 v129, vcc_lo, v229, v210
	s_wait_alu 0xfffd
	v_add_co_ci_u32_e64 v130, null, v230, v211, vcc_lo
	flat_load_b128 v[125:128], v[2:3] offset:-8
	flat_load_b128 v[117:120], v[117:118] offset:-8
	flat_load_b128 v[129:132], v[129:130]
	s_wait_alu 0xfffe
	s_or_b32 s22, s22, exec_lo
.LBB50_158:                             ;   in Loop: Header=BB50_112 Depth=2
	v_mov_b32_e32 v149, 0
	v_dual_mov_b32 v150, 0 :: v_dual_mov_b32 v151, 0
	v_mov_b32_e32 v152, 0
	s_wait_alu 0xfffe
	s_and_saveexec_b32 s84, s22
	s_cbranch_execz .LBB50_160
; %bb.159:                              ;   in Loop: Header=BB50_112 Depth=2
	v_add_co_u32 v2, vcc_lo, v213, v210
	s_wait_alu 0xfffd
	v_add_co_ci_u32_e64 v3, null, v214, v211, vcc_lo
	flat_load_b128 v[149:152], v[2:3] offset:-8
.LBB50_160:                             ;   in Loop: Header=BB50_112 Depth=2
	s_wait_alu 0xfffe
	s_or_b32 exec_lo, exec_lo, s84
	ds_load_b128 v[176:179], v187
	ds_load_b128 v[153:156], v0 offset:768
	v_cmp_gt_i32_e32 vcc_lo, s83, v173
	s_or_b32 s22, s75, vcc_lo
	s_wait_alu 0xfffe
	s_and_b32 s75, s21, s22
	s_wait_loadcnt_dscnt 0x1
	v_mul_f64_e32 v[2:3], v[127:128], v[178:179]
	v_mul_f64_e32 v[180:181], v[127:128], v[176:177]
	;; [unrolled: 1-line block ×5, first 2 shown]
	v_fma_f64 v[188:189], v[125:126], v[176:177], v[2:3]
	v_mul_f64_e32 v[2:3], v[119:120], v[178:179]
	v_fma_f64 v[190:191], v[125:126], v[178:179], -v[180:181]
	v_fma_f64 v[182:183], v[117:118], v[178:179], -v[182:183]
	;; [unrolled: 1-line block ×3, first 2 shown]
	s_delay_alu instid0(VALU_DEP_4) | instskip(SKIP_1) | instid1(VALU_DEP_1)
	v_fma_f64 v[180:181], v[117:118], v[176:177], v[2:3]
	v_mul_f64_e32 v[2:3], v[131:132], v[178:179]
	v_fma_f64 v[251:252], v[129:130], v[176:177], v[2:3]
	v_mul_f64_e32 v[2:3], v[151:152], v[178:179]
	v_fma_f64 v[178:179], v[149:150], v[178:179], -v[207:208]
	s_delay_alu instid0(VALU_DEP_2)
	v_fma_f64 v[176:177], v[149:150], v[176:177], v[2:3]
	v_add_f64_e32 v[2:3], 0, v[169:170]
	v_add_f64_e32 v[169:170], 0, v[171:172]
	ds_store_b128 v203, v[188:191]
	ds_store_b128 v203, v[180:183] offset:1072
	ds_store_b128 v203, v[251:254] offset:2144
	;; [unrolled: 1-line block ×3, first 2 shown]
	v_add_f64_e32 v[2:3], v[2:3], v[165:166]
	v_add_f64_e32 v[165:166], v[169:170], v[167:168]
	s_delay_alu instid0(VALU_DEP_2) | instskip(NEXT) | instid1(VALU_DEP_2)
	v_add_f64_e32 v[2:3], v[2:3], v[161:162]
	v_add_f64_e32 v[161:162], v[165:166], v[163:164]
	s_delay_alu instid0(VALU_DEP_2) | instskip(SKIP_2) | instid1(VALU_DEP_4)
	v_add_f64_e32 v[157:158], v[2:3], v[157:158]
	v_add_f64_e32 v[2:3], 0, v[97:98]
	v_add_f64_e32 v[97:98], 0, v[99:100]
	v_add_f64_e32 v[159:160], v[161:162], v[159:160]
	s_delay_alu instid0(VALU_DEP_3) | instskip(NEXT) | instid1(VALU_DEP_3)
	v_add_f64_e32 v[2:3], v[2:3], v[93:94]
	v_add_f64_e32 v[93:94], v[97:98], v[95:96]
	s_delay_alu instid0(VALU_DEP_2) | instskip(NEXT) | instid1(VALU_DEP_2)
	v_add_f64_e32 v[2:3], v[2:3], v[89:90]
	v_add_f64_e32 v[89:90], v[93:94], v[91:92]
	s_delay_alu instid0(VALU_DEP_2) | instskip(SKIP_2) | instid1(VALU_DEP_4)
	v_add_f64_e32 v[97:98], v[2:3], v[85:86]
	v_add_f64_e32 v[85:86], 0, v[147:148]
	;; [unrolled: 1-line block ×4, first 2 shown]
	s_delay_alu instid0(VALU_DEP_3) | instskip(NEXT) | instid1(VALU_DEP_3)
	v_add_f64_e32 v[85:86], v[85:86], v[143:144]
	v_add_f64_e32 v[2:3], v[2:3], v[141:142]
	s_delay_alu instid0(VALU_DEP_2) | instskip(NEXT) | instid1(VALU_DEP_2)
	v_add_f64_e32 v[85:86], v[85:86], v[139:140]
	v_add_f64_e32 v[2:3], v[2:3], v[137:138]
	s_delay_alu instid0(VALU_DEP_2)
	v_add_f64_e32 v[135:136], v[85:86], v[135:136]
	ds_load_b128 v[93:96], v0 offset:784
	ds_load_b128 v[89:92], v0 offset:800
	;; [unrolled: 1-line block ×3, first 2 shown]
	s_wait_dscnt 0x0
	s_barrier_signal -1
	s_barrier_wait -1
	global_inv scope:SCOPE_SE
	ds_load_b128 v[137:140], v204
	ds_load_b128 v[141:144], v204 offset:16
	v_add_f64_e32 v[133:134], v[2:3], v[133:134]
	s_wait_dscnt 0x1
	v_add_f64_e32 v[2:3], 0, v[137:138]
	v_add_f64_e32 v[137:138], 0, v[139:140]
	s_wait_dscnt 0x0
	s_delay_alu instid0(VALU_DEP_2) | instskip(NEXT) | instid1(VALU_DEP_2)
	v_add_f64_e32 v[2:3], v[2:3], v[141:142]
	v_add_f64_e32 v[145:146], v[137:138], v[143:144]
	ds_load_b128 v[137:140], v204 offset:32
	ds_load_b128 v[141:144], v204 offset:48
	s_wait_loadcnt_dscnt 0x0
	s_barrier_signal -1
	s_barrier_wait -1
	global_inv scope:SCOPE_SE
	ds_store_b128 v250, v[97:100]
	ds_store_b128 v250, v[133:136] offset:256
	ds_store_b128 v250, v[157:160] offset:512
	v_add_f64_e32 v[2:3], v[2:3], v[137:138]
	v_add_f64_e32 v[139:140], v[145:146], v[139:140]
	s_delay_alu instid0(VALU_DEP_2) | instskip(NEXT) | instid1(VALU_DEP_2)
	v_add_f64_e32 v[137:138], v[2:3], v[141:142]
	v_add_f64_e32 v[139:140], v[139:140], v[143:144]
	ds_store_b128 v250, v[137:140] offset:768
	s_wait_loadcnt_dscnt 0x0
	s_barrier_signal -1
	s_barrier_wait -1
	global_inv scope:SCOPE_SE
	s_wait_alu 0xfffe
	s_and_saveexec_b32 s22, s75
	s_cbranch_execz .LBB50_162
; %bb.161:                              ;   in Loop: Header=BB50_112 Depth=2
	ds_load_b128 v[97:100], v205
	ds_load_b128 v[133:136], v205 offset:16
	v_ashrrev_i32_e32 v185, 31, v184
	s_wait_dscnt 0x0
	v_add_f64_e32 v[2:3], v[133:134], v[97:98]
	v_add_f64_e32 v[137:138], v[135:136], v[99:100]
	ds_load_b128 v[97:100], v205 offset:32
	ds_load_b128 v[133:136], v205 offset:48
	s_wait_dscnt 0x1
	v_add_f64_e32 v[2:3], v[2:3], v[97:98]
	v_add_f64_e32 v[97:98], v[137:138], v[99:100]
	s_wait_dscnt 0x0
	s_delay_alu instid0(VALU_DEP_2) | instskip(NEXT) | instid1(VALU_DEP_2)
	v_add_f64_e32 v[2:3], v[2:3], v[133:134]
	v_add_f64_e32 v[137:138], v[97:98], v[135:136]
	ds_load_b128 v[97:100], v205 offset:64
	ds_load_b128 v[133:136], v205 offset:80
	s_wait_dscnt 0x1
	v_add_f64_e32 v[2:3], v[2:3], v[97:98]
	v_add_f64_e32 v[97:98], v[137:138], v[99:100]
	s_wait_dscnt 0x0
	s_delay_alu instid0(VALU_DEP_2) | instskip(NEXT) | instid1(VALU_DEP_2)
	;; [unrolled: 9-line block ×6, first 2 shown]
	v_add_f64_e32 v[2:3], v[2:3], v[133:134]
	v_add_f64_e32 v[137:138], v[97:98], v[135:136]
	ds_load_b128 v[97:100], v205 offset:224
	ds_load_b128 v[133:136], v206
	s_wait_dscnt 0x1
	v_add_f64_e32 v[2:3], v[2:3], v[97:98]
	v_add_f64_e32 v[99:100], v[137:138], v[99:100]
	s_wait_dscnt 0x0
	s_delay_alu instid0(VALU_DEP_2) | instskip(NEXT) | instid1(VALU_DEP_2)
	v_add_f64_e32 v[97:98], v[2:3], v[133:134]
	v_add_f64_e32 v[99:100], v[99:100], v[135:136]
	v_lshlrev_b64_e32 v[2:3], 4, v[184:185]
	s_delay_alu instid0(VALU_DEP_1) | instskip(SKIP_1) | instid1(VALU_DEP_2)
	v_add_co_u32 v2, vcc_lo, s72, v2
	s_wait_alu 0xfffd
	v_add_co_ci_u32_e64 v3, null, s73, v3, vcc_lo
	global_store_b128 v[2:3], v[97:100], off
.LBB50_162:                             ;   in Loop: Header=BB50_112 Depth=2
	s_wait_alu 0xfffe
	s_or_b32 exec_lo, exec_lo, s22
	v_mul_f64_e32 v[2:3], v[15:16], v[27:28]
	v_add_co_u32 v209, vcc_lo, v209, s62
	s_wait_alu 0xfffd
	v_add_co_ci_u32_e64 v212, null, s63, v212, vcc_lo
	v_add_co_u32 v213, vcc_lo, v213, s62
	s_wait_alu 0xfffd
	v_add_co_ci_u32_e64 v214, null, s63, v214, vcc_lo
	;; [unrolled: 3-line block ×9, first 2 shown]
	v_add_co_u32 v229, vcc_lo, v229, s62
	v_fma_f64 v[2:3], v[13:14], v[25:26], -v[2:3]
	v_mul_f64_e32 v[13:14], v[13:14], v[27:28]
	v_mul_f64_e32 v[27:28], v[43:44], v[71:72]
	s_wait_alu 0xfffd
	v_add_co_ci_u32_e64 v230, null, s63, v230, vcc_lo
	v_add_co_u32 v231, vcc_lo, v231, s62
	s_wait_alu 0xfffd
	v_add_co_ci_u32_e64 v232, null, s63, v232, vcc_lo
	v_add_co_u32 v233, vcc_lo, v233, s62
	;; [unrolled: 3-line block ×9, first 2 shown]
	v_fma_f64 v[13:14], v[15:16], v[25:26], v[13:14]
	v_mul_f64_e32 v[15:16], v[11:12], v[39:40]
	v_add_f64_e32 v[2:3], v[5:6], v[2:3]
	v_mul_f64_e32 v[25:26], v[45:46], v[59:60]
	v_fma_f64 v[27:28], v[41:42], v[69:70], -v[27:28]
	s_wait_alu 0xfffd
	v_add_co_ci_u32_e64 v248, null, s63, v248, vcc_lo
	v_add_co_u32 v249, vcc_lo, v249, s62
	v_add_nc_u32_e32 v184, 64, v184
	s_wait_alu 0xfffd
	v_add_co_ci_u32_e64 v195, null, s63, v195, vcc_lo
	s_add_co_i32 s22, s23, 1
	s_add_co_i32 s23, s23, 2
	;; [unrolled: 1-line block ×3, first 2 shown]
	s_wait_alu 0xfffe
	s_cmp_ge_u32 s23, s44
	s_wait_loadcnt 0x0
	s_wait_storecnt 0x0
	s_barrier_signal -1
	s_barrier_wait -1
	global_inv scope:SCOPE_SE
	v_add_f64_e32 v[4:5], v[7:8], v[13:14]
	v_fma_f64 v[15:16], v[9:10], v[37:38], -v[15:16]
	v_mul_f64_e32 v[9:10], v[9:10], v[39:40]
	v_fma_f64 v[25:26], v[47:48], v[57:58], v[25:26]
	v_mul_f64_e32 v[39:40], v[79:80], v[107:108]
	s_delay_alu instid0(VALU_DEP_4) | instskip(NEXT) | instid1(VALU_DEP_4)
	v_add_f64_e32 v[2:3], v[2:3], v[15:16]
	v_fma_f64 v[9:10], v[11:12], v[37:38], v[9:10]
	v_mul_f64_e32 v[11:12], v[19:20], v[35:36]
	v_mul_f64_e32 v[37:38], v[53:54], v[63:64]
	v_fma_f64 v[39:40], v[77:78], v[105:106], -v[39:40]
	s_delay_alu instid0(VALU_DEP_4) | instskip(NEXT) | instid1(VALU_DEP_4)
	v_add_f64_e32 v[4:5], v[4:5], v[9:10]
	v_fma_f64 v[11:12], v[17:18], v[33:34], -v[11:12]
	v_mul_f64_e32 v[17:18], v[17:18], v[35:36]
	v_mul_f64_e32 v[35:36], v[55:56], v[63:64]
	v_fma_f64 v[37:38], v[55:56], v[61:62], v[37:38]
	v_mul_f64_e32 v[55:56], v[127:128], v[155:156]
	v_mul_f64_e32 v[63:64], v[131:132], v[91:92]
	v_add_f64_e32 v[2:3], v[2:3], v[11:12]
	v_fma_f64 v[17:18], v[19:20], v[33:34], v[17:18]
	v_mul_f64_e32 v[19:20], v[23:24], v[31:32]
	v_mul_f64_e32 v[33:34], v[49:50], v[67:68]
	v_fma_f64 v[35:36], v[53:54], v[61:62], -v[35:36]
	v_mul_f64_e32 v[53:54], v[101:102], v[111:112]
	v_fma_f64 v[55:56], v[125:126], v[153:154], -v[55:56]
	;; [unrolled: 2-line block ×3, first 2 shown]
	v_add_f64_e32 v[4:5], v[4:5], v[17:18]
	v_fma_f64 v[19:20], v[21:22], v[29:30], -v[19:20]
	v_mul_f64_e32 v[21:22], v[21:22], v[31:32]
	v_mul_f64_e32 v[31:32], v[51:52], v[67:68]
	v_fma_f64 v[33:34], v[51:52], v[65:66], v[33:34]
	v_mul_f64_e32 v[51:52], v[103:104], v[111:112]
	v_fma_f64 v[53:54], v[103:104], v[109:110], v[53:54]
	v_fma_f64 v[61:62], v[119:120], v[93:94], v[61:62]
	v_mul_f64_e32 v[67:68], v[151:152], v[87:88]
	v_add_f64_e32 v[2:3], v[2:3], v[19:20]
	v_fma_f64 v[21:22], v[23:24], v[29:30], v[21:22]
	v_mul_f64_e32 v[23:24], v[47:48], v[59:60]
	v_mul_f64_e32 v[29:30], v[41:42], v[71:72]
	v_fma_f64 v[31:32], v[49:50], v[65:66], -v[31:32]
	v_mul_f64_e32 v[41:42], v[77:78], v[107:108]
	v_mul_f64_e32 v[47:48], v[83:84], v[115:116]
	;; [unrolled: 1-line block ×3, first 2 shown]
	v_fma_f64 v[51:52], v[101:102], v[109:110], -v[51:52]
	v_mul_f64_e32 v[59:60], v[119:120], v[95:96]
	v_mul_f64_e32 v[65:66], v[129:130], v[91:92]
	v_fma_f64 v[67:68], v[149:150], v[85:86], -v[67:68]
	v_add_f64_e32 v[4:5], v[4:5], v[21:22]
	v_fma_f64 v[23:24], v[45:46], v[57:58], -v[23:24]
	v_fma_f64 v[29:30], v[43:44], v[69:70], v[29:30]
	v_mul_f64_e32 v[43:44], v[75:76], v[123:124]
	v_fma_f64 v[41:42], v[79:80], v[105:106], v[41:42]
	v_mul_f64_e32 v[45:46], v[73:74], v[123:124]
	v_fma_f64 v[47:48], v[81:82], v[113:114], -v[47:48]
	v_fma_f64 v[49:50], v[83:84], v[113:114], v[49:50]
	v_mul_f64_e32 v[57:58], v[125:126], v[155:156]
	v_fma_f64 v[59:60], v[117:118], v[93:94], -v[59:60]
	v_fma_f64 v[65:66], v[131:132], v[89:90], v[65:66]
	v_mul_f64_e32 v[69:70], v[149:150], v[87:88]
	v_add_f64_e32 v[4:5], v[4:5], v[25:26]
	v_add_f64_e32 v[2:3], v[2:3], v[23:24]
	v_fma_f64 v[43:44], v[73:74], v[121:122], -v[43:44]
	v_fma_f64 v[45:46], v[75:76], v[121:122], v[45:46]
	v_fma_f64 v[57:58], v[127:128], v[153:154], v[57:58]
	;; [unrolled: 1-line block ×3, first 2 shown]
	v_add_f64_e32 v[4:5], v[4:5], v[29:30]
	v_add_f64_e32 v[2:3], v[2:3], v[27:28]
	s_delay_alu instid0(VALU_DEP_2) | instskip(NEXT) | instid1(VALU_DEP_2)
	v_add_f64_e32 v[4:5], v[4:5], v[33:34]
	v_add_f64_e32 v[2:3], v[2:3], v[31:32]
	s_delay_alu instid0(VALU_DEP_2) | instskip(NEXT) | instid1(VALU_DEP_2)
	;; [unrolled: 3-line block ×10, first 2 shown]
	v_add_f64_e32 v[7:8], v[7:8], v[69:70]
	v_add_f64_e32 v[5:6], v[2:3], v[67:68]
	s_cbranch_scc1 .LBB50_164
; %bb.163:                              ;   in Loop: Header=BB50_112 Depth=2
	s_mov_b32 s23, s22
	s_wait_alu 0xfffe
	s_cmp_eq_u32 s79, s23
	s_cselect_b32 s83, s76, 0
	s_and_saveexec_b32 s22, s0
	s_cbranch_execnz .LBB50_108
	s_branch .LBB50_112
.LBB50_164:                             ;   in Loop: Header=BB50_4 Depth=1
	scratch_load_b32 v2, off, off offset:8  ; 4-byte Folded Reload
	s_wait_loadcnt 0x0
	ds_store_b128 v2, v[5:8]
	s_wait_dscnt 0x0
	s_barrier_signal -1
	s_barrier_wait -1
	global_inv scope:SCOPE_SE
	s_and_saveexec_b32 s22, s81
	s_cbranch_execz .LBB50_2
; %bb.165:                              ;   in Loop: Header=BB50_4 Depth=1
	v_lshlrev_b32_e32 v14, 4, v173
	ds_load_b128 v[2:5], v14 offset:1072
	ds_load_b128 v[6:9], v14
	s_wait_dscnt 0x0
	v_add_f64_e32 v[10:11], v[2:3], v[6:7]
	v_add_f64_e32 v[12:13], v[4:5], v[8:9]
	ds_load_b128 v[2:5], v14 offset:2144
	ds_load_b128 v[6:9], v14 offset:3216
	s_wait_dscnt 0x1
	v_add_f64_e32 v[2:3], v[10:11], v[2:3]
	v_add_f64_e32 v[4:5], v[12:13], v[4:5]
	s_wait_dscnt 0x0
	s_delay_alu instid0(VALU_DEP_2)
	v_add_f64_e32 v[2:3], v[2:3], v[6:7]
	scratch_load_b64 v[6:7], off, off offset:196 ; 8-byte Folded Reload
	v_add_f64_e32 v[4:5], v[4:5], v[8:9]
	s_wait_loadcnt 0x0
	s_wait_alu 0xfffe
	v_add_co_u32 v6, vcc_lo, s72, v6
	s_wait_alu 0xfffd
	v_add_co_ci_u32_e64 v7, null, s73, v7, vcc_lo
	global_store_b128 v[6:7], v[2:5], off
	s_branch .LBB50_2
.LBB50_166:                             ;   in Loop: Header=BB50_4 Depth=1
	ds_load_b128 v[2:5], v194
	v_add_nc_u32_e32 v6, 16, v193
	s_mov_b32 s22, exec_lo
	s_wait_dscnt 0x0
	v_xor_b32_e32 v5, 0x80000000, v5
	ds_store_b64 v6, v[2:3]
	s_wait_alu 0xfffe
	s_or_saveexec_b32 s23, s23
	v_add_nc_u32_e32 v2, 16, v193
	s_wait_alu 0xfffe
	s_xor_b32 exec_lo, exec_lo, s23
	s_cbranch_execz .LBB50_34
.LBB50_167:                             ;   in Loop: Header=BB50_4 Depth=1
	v_mov_b32_e32 v4, 0
	v_dual_mov_b32 v5, 0 :: v_dual_mov_b32 v2, v192
	s_and_not1_b32 s22, s22, exec_lo
	s_and_b32 s72, s9, exec_lo
	s_wait_alu 0xfffe
	s_or_b32 s22, s22, s72
	s_or_b32 exec_lo, exec_lo, s23
	s_wait_alu 0xfffe
	s_and_saveexec_b32 s23, s22
	s_cbranch_execnz .LBB50_35
	s_branch .LBB50_36
.LBB50_168:                             ;   in Loop: Header=BB50_4 Depth=1
	ds_load_b128 v[9:12], v194
	v_add_nc_u32_e32 v2, 16, v193
	s_mov_b32 s22, exec_lo
	s_wait_dscnt 0x0
	v_xor_b32_e32 v12, 0x80000000, v12
	ds_store_b64 v2, v[9:10]
	s_wait_alu 0xfffe
	s_or_saveexec_b32 s23, s23
	v_add_nc_u32_e32 v2, 16, v193
	s_wait_alu 0xfffe
	s_xor_b32 exec_lo, exec_lo, s23
	s_cbranch_execz .LBB50_72
.LBB50_169:                             ;   in Loop: Header=BB50_4 Depth=1
	v_dual_mov_b32 v11, 0 :: v_dual_mov_b32 v2, v192
	v_mov_b32_e32 v12, 0
	s_and_not1_b32 s22, s22, exec_lo
	s_and_b32 s72, s9, exec_lo
	s_wait_alu 0xfffe
	s_or_b32 s22, s22, s72
	s_or_b32 exec_lo, exec_lo, s23
	s_wait_alu 0xfffe
	s_and_saveexec_b32 s23, s22
	s_cbranch_execnz .LBB50_73
	s_branch .LBB50_74
.LBB50_170:                             ;   in Loop: Header=BB50_4 Depth=1
	flat_load_b128 v[9:12], v[7:8]
	s_wait_loadcnt_dscnt 0x0
	ds_store_2addr_b64 v186, v[9:10], v[11:12] offset1:1
	s_or_b32 exec_lo, exec_lo, s22
	s_and_saveexec_b32 s22, s3
	s_wait_alu 0xfffe
	s_xor_b32 s22, exec_lo, s22
	s_cbranch_execz .LBB50_17
.LBB50_171:                             ;   in Loop: Header=BB50_4 Depth=1
	v_dual_mov_b32 v2, v1 :: v_dual_mov_b32 v3, v1
	v_dual_mov_b32 v4, v1 :: v_dual_add_nc_u32 v9, 0x1080, v186
	ds_store_b128 v9, v[1:4]
	s_wait_alu 0xfffe
	s_and_not1_saveexec_b32 s22, s22
	s_cbranch_execz .LBB50_18
.LBB50_172:                             ;   in Loop: Header=BB50_4 Depth=1
	s_lshl_b64 s[72:73], s[52:53], 4
	s_wait_alu 0xfffe
	v_add_co_u32 v2, vcc_lo, v7, s72
	s_wait_alu 0xfffd
	v_add_co_ci_u32_e64 v3, null, s73, v8, vcc_lo
	flat_load_b128 v[9:12], v[2:3]
	v_add_nc_u32_e32 v2, 0x1080, v186
	s_wait_loadcnt_dscnt 0x0
	ds_store_2addr_b64 v2, v[9:10], v[11:12] offset1:1
	s_or_b32 exec_lo, exec_lo, s22
	s_and_saveexec_b32 s22, s4
	s_wait_alu 0xfffe
	s_xor_b32 s22, exec_lo, s22
	s_cbranch_execz .LBB50_19
.LBB50_173:                             ;   in Loop: Header=BB50_4 Depth=1
	v_dual_mov_b32 v2, v1 :: v_dual_mov_b32 v3, v1
	v_dual_mov_b32 v4, v1 :: v_dual_add_nc_u32 v9, 0x2100, v186
	ds_store_b128 v9, v[1:4]
	s_wait_alu 0xfffe
	s_and_not1_saveexec_b32 s22, s22
	s_cbranch_execz .LBB50_20
.LBB50_174:                             ;   in Loop: Header=BB50_4 Depth=1
	v_add_co_u32 v2, vcc_lo, v7, s64
	s_wait_alu 0xfffd
	v_add_co_ci_u32_e64 v3, null, s65, v8, vcc_lo
	flat_load_b128 v[9:12], v[2:3]
	v_add_nc_u32_e32 v2, 0x2100, v186
	s_wait_loadcnt_dscnt 0x0
	ds_store_2addr_b64 v2, v[9:10], v[11:12] offset1:1
	s_wait_alu 0xfffe
	s_or_b32 exec_lo, exec_lo, s22
	s_and_saveexec_b32 s22, s5
	s_wait_alu 0xfffe
	s_xor_b32 s22, exec_lo, s22
	s_cbranch_execz .LBB50_21
.LBB50_175:                             ;   in Loop: Header=BB50_4 Depth=1
	v_dual_mov_b32 v2, v1 :: v_dual_mov_b32 v3, v1
	v_dual_mov_b32 v4, v1 :: v_dual_add_nc_u32 v9, 0x3180, v186
	ds_store_b128 v9, v[1:4]
	s_wait_alu 0xfffe
	s_and_not1_saveexec_b32 s22, s22
	s_cbranch_execnz .LBB50_22
	s_branch .LBB50_23
.LBB50_176:                             ;   in Loop: Header=BB50_4 Depth=1
	flat_load_b128 v[17:20], v[11:12]
	s_wait_loadcnt_dscnt 0x0
	ds_store_2addr_b64 v186, v[17:18], v[19:20] offset1:1
	s_or_b32 exec_lo, exec_lo, s22
	s_and_saveexec_b32 s22, s17
	s_wait_alu 0xfffe
	s_xor_b32 s22, exec_lo, s22
	s_cbranch_execz .LBB50_55
.LBB50_177:                             ;   in Loop: Header=BB50_4 Depth=1
	v_dual_mov_b32 v2, v1 :: v_dual_mov_b32 v3, v1
	v_dual_mov_b32 v4, v1 :: v_dual_add_nc_u32 v13, 0x1080, v186
	ds_store_b128 v13, v[1:4]
	s_wait_alu 0xfffe
	s_and_not1_saveexec_b32 s22, s22
	s_cbranch_execz .LBB50_56
.LBB50_178:                             ;   in Loop: Header=BB50_4 Depth=1
	s_lshl_b64 s[72:73], s[52:53], 4
	s_wait_alu 0xfffe
	v_add_co_u32 v2, vcc_lo, v11, s72
	s_wait_alu 0xfffd
	v_add_co_ci_u32_e64 v3, null, s73, v12, vcc_lo
	flat_load_b128 v[17:20], v[2:3]
	v_add_nc_u32_e32 v2, 0x1080, v186
	s_wait_loadcnt_dscnt 0x0
	ds_store_2addr_b64 v2, v[17:18], v[19:20] offset1:1
	s_or_b32 exec_lo, exec_lo, s22
	s_and_saveexec_b32 s22, s18
	s_wait_alu 0xfffe
	s_xor_b32 s22, exec_lo, s22
	s_cbranch_execz .LBB50_57
.LBB50_179:                             ;   in Loop: Header=BB50_4 Depth=1
	v_dual_mov_b32 v2, v1 :: v_dual_mov_b32 v3, v1
	v_dual_mov_b32 v4, v1 :: v_dual_add_nc_u32 v13, 0x2100, v186
	ds_store_b128 v13, v[1:4]
	s_wait_alu 0xfffe
	s_and_not1_saveexec_b32 s22, s22
	s_cbranch_execz .LBB50_58
.LBB50_180:                             ;   in Loop: Header=BB50_4 Depth=1
	v_add_co_u32 v2, vcc_lo, v11, s64
	s_wait_alu 0xfffd
	v_add_co_ci_u32_e64 v3, null, s65, v12, vcc_lo
	flat_load_b128 v[17:20], v[2:3]
	v_add_nc_u32_e32 v2, 0x2100, v186
	s_wait_loadcnt_dscnt 0x0
	ds_store_2addr_b64 v2, v[17:18], v[19:20] offset1:1
	s_wait_alu 0xfffe
	s_or_b32 exec_lo, exec_lo, s22
	s_and_saveexec_b32 s22, s19
	s_wait_alu 0xfffe
	s_xor_b32 s22, exec_lo, s22
	s_cbranch_execz .LBB50_59
.LBB50_181:                             ;   in Loop: Header=BB50_4 Depth=1
	v_dual_mov_b32 v2, v1 :: v_dual_mov_b32 v3, v1
	v_dual_mov_b32 v4, v1 :: v_dual_add_nc_u32 v13, 0x3180, v186
	ds_store_b128 v13, v[1:4]
	s_wait_alu 0xfffe
	s_and_not1_saveexec_b32 s22, s22
	s_cbranch_execnz .LBB50_60
	s_branch .LBB50_61
.LBB50_182:                             ;   in Loop: Header=BB50_4 Depth=1
	flat_load_b128 v[15:18], v[11:12]
	s_wait_loadcnt_dscnt 0x0
	ds_store_2addr_b64 v186, v[15:16], v[17:18] offset1:1
	s_or_b32 exec_lo, exec_lo, s22
	s_and_saveexec_b32 s22, s17
	s_wait_alu 0xfffe
	s_xor_b32 s22, exec_lo, s22
	s_cbranch_execz .LBB50_93
.LBB50_183:                             ;   in Loop: Header=BB50_4 Depth=1
	v_dual_mov_b32 v2, v1 :: v_dual_mov_b32 v3, v1
	v_dual_mov_b32 v4, v1 :: v_dual_add_nc_u32 v15, 0x1080, v186
	ds_store_b128 v15, v[1:4]
	s_wait_alu 0xfffe
	s_and_not1_saveexec_b32 s22, s22
	s_cbranch_execz .LBB50_94
.LBB50_184:                             ;   in Loop: Header=BB50_4 Depth=1
	s_lshl_b64 s[72:73], s[52:53], 4
	s_wait_alu 0xfffe
	v_add_co_u32 v2, vcc_lo, v11, s72
	s_wait_alu 0xfffd
	v_add_co_ci_u32_e64 v3, null, s73, v12, vcc_lo
	flat_load_b128 v[15:18], v[2:3]
	v_add_nc_u32_e32 v2, 0x1080, v186
	s_wait_loadcnt_dscnt 0x0
	ds_store_2addr_b64 v2, v[15:16], v[17:18] offset1:1
	s_or_b32 exec_lo, exec_lo, s22
	s_and_saveexec_b32 s22, s18
	s_wait_alu 0xfffe
	s_xor_b32 s22, exec_lo, s22
	s_cbranch_execz .LBB50_95
.LBB50_185:                             ;   in Loop: Header=BB50_4 Depth=1
	v_dual_mov_b32 v2, v1 :: v_dual_mov_b32 v3, v1
	v_dual_mov_b32 v4, v1 :: v_dual_add_nc_u32 v15, 0x2100, v186
	ds_store_b128 v15, v[1:4]
	s_wait_alu 0xfffe
	s_and_not1_saveexec_b32 s22, s22
	s_cbranch_execz .LBB50_96
.LBB50_186:                             ;   in Loop: Header=BB50_4 Depth=1
	v_add_co_u32 v2, vcc_lo, v11, s64
	s_wait_alu 0xfffd
	v_add_co_ci_u32_e64 v3, null, s65, v12, vcc_lo
	flat_load_b128 v[15:18], v[2:3]
	v_add_nc_u32_e32 v2, 0x2100, v186
	s_wait_loadcnt_dscnt 0x0
	ds_store_2addr_b64 v2, v[15:16], v[17:18] offset1:1
	s_wait_alu 0xfffe
	s_or_b32 exec_lo, exec_lo, s22
	s_and_saveexec_b32 s22, s19
	s_wait_alu 0xfffe
	s_xor_b32 s22, exec_lo, s22
	s_cbranch_execz .LBB50_97
.LBB50_187:                             ;   in Loop: Header=BB50_4 Depth=1
	v_dual_mov_b32 v2, v1 :: v_dual_mov_b32 v3, v1
	v_dual_mov_b32 v4, v1 :: v_dual_add_nc_u32 v15, 0x3180, v186
	ds_store_b128 v15, v[1:4]
	s_wait_alu 0xfffe
	s_and_not1_saveexec_b32 s22, s22
	s_cbranch_execnz .LBB50_98
	s_branch .LBB50_99
.LBB50_188:
	s_nop 0
	s_sendmsg sendmsg(MSG_DEALLOC_VGPRS)
	s_endpgm
	.section	.rodata,"a",@progbits
	.p2align	6, 0x0
	.amdhsa_kernel _ZL26rocblas_hemvn_kernel_upperILb1ELi64ELi4ELi33ELi32ELi16EiPK19rocblas_complex_numIdEPKS3_PS1_EviT6_lT7_lT5_lS8_lS9_lS7_lT8_i
		.amdhsa_group_segment_fixed_size 19200
		.amdhsa_private_segment_fixed_size 208
		.amdhsa_kernarg_size 376
		.amdhsa_user_sgpr_count 2
		.amdhsa_user_sgpr_dispatch_ptr 0
		.amdhsa_user_sgpr_queue_ptr 0
		.amdhsa_user_sgpr_kernarg_segment_ptr 1
		.amdhsa_user_sgpr_dispatch_id 0
		.amdhsa_user_sgpr_private_segment_size 0
		.amdhsa_wavefront_size32 1
		.amdhsa_uses_dynamic_stack 0
		.amdhsa_enable_private_segment 1
		.amdhsa_system_sgpr_workgroup_id_x 1
		.amdhsa_system_sgpr_workgroup_id_y 0
		.amdhsa_system_sgpr_workgroup_id_z 1
		.amdhsa_system_sgpr_workgroup_info 0
		.amdhsa_system_vgpr_workitem_id 1
		.amdhsa_next_free_vgpr 256
		.amdhsa_next_free_sgpr 96
		.amdhsa_reserve_vcc 1
		.amdhsa_float_round_mode_32 0
		.amdhsa_float_round_mode_16_64 0
		.amdhsa_float_denorm_mode_32 3
		.amdhsa_float_denorm_mode_16_64 3
		.amdhsa_fp16_overflow 0
		.amdhsa_workgroup_processor_mode 1
		.amdhsa_memory_ordered 1
		.amdhsa_forward_progress 1
		.amdhsa_inst_pref_size 116
		.amdhsa_round_robin_scheduling 0
		.amdhsa_exception_fp_ieee_invalid_op 0
		.amdhsa_exception_fp_denorm_src 0
		.amdhsa_exception_fp_ieee_div_zero 0
		.amdhsa_exception_fp_ieee_overflow 0
		.amdhsa_exception_fp_ieee_underflow 0
		.amdhsa_exception_fp_ieee_inexact 0
		.amdhsa_exception_int_div_zero 0
	.end_amdhsa_kernel
	.section	.text._ZL26rocblas_hemvn_kernel_upperILb1ELi64ELi4ELi33ELi32ELi16EiPK19rocblas_complex_numIdEPKS3_PS1_EviT6_lT7_lT5_lS8_lS9_lS7_lT8_i,"axG",@progbits,_ZL26rocblas_hemvn_kernel_upperILb1ELi64ELi4ELi33ELi32ELi16EiPK19rocblas_complex_numIdEPKS3_PS1_EviT6_lT7_lT5_lS8_lS9_lS7_lT8_i,comdat
.Lfunc_end50:
	.size	_ZL26rocblas_hemvn_kernel_upperILb1ELi64ELi4ELi33ELi32ELi16EiPK19rocblas_complex_numIdEPKS3_PS1_EviT6_lT7_lT5_lS8_lS9_lS7_lT8_i, .Lfunc_end50-_ZL26rocblas_hemvn_kernel_upperILb1ELi64ELi4ELi33ELi32ELi16EiPK19rocblas_complex_numIdEPKS3_PS1_EviT6_lT7_lT5_lS8_lS9_lS7_lT8_i
                                        ; -- End function
	.set _ZL26rocblas_hemvn_kernel_upperILb1ELi64ELi4ELi33ELi32ELi16EiPK19rocblas_complex_numIdEPKS3_PS1_EviT6_lT7_lT5_lS8_lS9_lS7_lT8_i.num_vgpr, 256
	.set _ZL26rocblas_hemvn_kernel_upperILb1ELi64ELi4ELi33ELi32ELi16EiPK19rocblas_complex_numIdEPKS3_PS1_EviT6_lT7_lT5_lS8_lS9_lS7_lT8_i.num_agpr, 0
	.set _ZL26rocblas_hemvn_kernel_upperILb1ELi64ELi4ELi33ELi32ELi16EiPK19rocblas_complex_numIdEPKS3_PS1_EviT6_lT7_lT5_lS8_lS9_lS7_lT8_i.numbered_sgpr, 96
	.set _ZL26rocblas_hemvn_kernel_upperILb1ELi64ELi4ELi33ELi32ELi16EiPK19rocblas_complex_numIdEPKS3_PS1_EviT6_lT7_lT5_lS8_lS9_lS7_lT8_i.num_named_barrier, 0
	.set _ZL26rocblas_hemvn_kernel_upperILb1ELi64ELi4ELi33ELi32ELi16EiPK19rocblas_complex_numIdEPKS3_PS1_EviT6_lT7_lT5_lS8_lS9_lS7_lT8_i.private_seg_size, 208
	.set _ZL26rocblas_hemvn_kernel_upperILb1ELi64ELi4ELi33ELi32ELi16EiPK19rocblas_complex_numIdEPKS3_PS1_EviT6_lT7_lT5_lS8_lS9_lS7_lT8_i.uses_vcc, 1
	.set _ZL26rocblas_hemvn_kernel_upperILb1ELi64ELi4ELi33ELi32ELi16EiPK19rocblas_complex_numIdEPKS3_PS1_EviT6_lT7_lT5_lS8_lS9_lS7_lT8_i.uses_flat_scratch, 1
	.set _ZL26rocblas_hemvn_kernel_upperILb1ELi64ELi4ELi33ELi32ELi16EiPK19rocblas_complex_numIdEPKS3_PS1_EviT6_lT7_lT5_lS8_lS9_lS7_lT8_i.has_dyn_sized_stack, 0
	.set _ZL26rocblas_hemvn_kernel_upperILb1ELi64ELi4ELi33ELi32ELi16EiPK19rocblas_complex_numIdEPKS3_PS1_EviT6_lT7_lT5_lS8_lS9_lS7_lT8_i.has_recursion, 0
	.set _ZL26rocblas_hemvn_kernel_upperILb1ELi64ELi4ELi33ELi32ELi16EiPK19rocblas_complex_numIdEPKS3_PS1_EviT6_lT7_lT5_lS8_lS9_lS7_lT8_i.has_indirect_call, 0
	.section	.AMDGPU.csdata,"",@progbits
; Kernel info:
; codeLenInByte = 14784
; TotalNumSgprs: 98
; NumVgprs: 256
; ScratchSize: 208
; MemoryBound: 1
; FloatMode: 240
; IeeeMode: 1
; LDSByteSize: 19200 bytes/workgroup (compile time only)
; SGPRBlocks: 0
; VGPRBlocks: 31
; NumSGPRsForWavesPerEU: 98
; NumVGPRsForWavesPerEU: 256
; Occupancy: 5
; WaveLimiterHint : 0
; COMPUTE_PGM_RSRC2:SCRATCH_EN: 1
; COMPUTE_PGM_RSRC2:USER_SGPR: 2
; COMPUTE_PGM_RSRC2:TRAP_HANDLER: 0
; COMPUTE_PGM_RSRC2:TGID_X_EN: 1
; COMPUTE_PGM_RSRC2:TGID_Y_EN: 0
; COMPUTE_PGM_RSRC2:TGID_Z_EN: 1
; COMPUTE_PGM_RSRC2:TIDIG_COMP_CNT: 1
	.section	.text._ZL36rocblas_hemvn_kernel_upper_block_sumILi64EiPK19rocblas_complex_numIdEPKPS1_S1_EviT1_lS7_lT2_lT0_lPT3_i,"axG",@progbits,_ZL36rocblas_hemvn_kernel_upper_block_sumILi64EiPK19rocblas_complex_numIdEPKPS1_S1_EviT1_lS7_lT2_lT0_lPT3_i,comdat
	.globl	_ZL36rocblas_hemvn_kernel_upper_block_sumILi64EiPK19rocblas_complex_numIdEPKPS1_S1_EviT1_lS7_lT2_lT0_lPT3_i ; -- Begin function _ZL36rocblas_hemvn_kernel_upper_block_sumILi64EiPK19rocblas_complex_numIdEPKPS1_S1_EviT1_lS7_lT2_lT0_lPT3_i
	.p2align	8
	.type	_ZL36rocblas_hemvn_kernel_upper_block_sumILi64EiPK19rocblas_complex_numIdEPKPS1_S1_EviT1_lS7_lT2_lT0_lPT3_i,@function
_ZL36rocblas_hemvn_kernel_upper_block_sumILi64EiPK19rocblas_complex_numIdEPKPS1_S1_EviT1_lS7_lT2_lT0_lPT3_i: ; @_ZL36rocblas_hemvn_kernel_upper_block_sumILi64EiPK19rocblas_complex_numIdEPKPS1_S1_EviT1_lS7_lT2_lT0_lPT3_i
; %bb.0:
	s_load_b32 s22, s[0:1], 0x50
	s_lshr_b32 s2, ttmp7, 16
	s_wait_kmcnt 0x0
	s_cmp_ge_u32 s2, s22
	s_cbranch_scc1 .LBB51_26
; %bb.1:
	s_clause 0x2
	s_load_b32 s18, s[0:1], 0x0
	s_load_b32 s3, s[0:1], 0x38
	s_load_b64 s[20:21], s[0:1], 0x48
	v_lshl_or_b32 v0, ttmp9, 6, v0
	s_clause 0x1
	s_load_b128 s[12:15], s[0:1], 0x28
	s_load_b256 s[4:11], s[0:1], 0x8
	s_add_nc_u64 s[16:17], s[0:1], 0x58
	v_mov_b32_e32 v18, 0
	v_ashrrev_i32_e32 v1, 31, v0
	s_delay_alu instid0(VALU_DEP_1) | instskip(SKIP_3) | instid1(VALU_DEP_3)
	v_lshlrev_b64_e32 v[1:2], 4, v[0:1]
	s_wait_kmcnt 0x0
	v_cmp_gt_i32_e64 s0, s18, v0
	v_mul_lo_u32 v0, s3, v0
	v_add_co_u32 v3, vcc_lo, s20, v1
	s_delay_alu instid0(VALU_DEP_1)
	v_add_co_ci_u32_e64 v2, null, s21, v2, vcc_lo
	s_ashr_i32 s19, s18, 31
	v_add_co_u32 v12, vcc_lo, v3, 8
	v_ashrrev_i32_e32 v1, 31, v0
	s_wait_alu 0xfffd
	v_add_co_ci_u32_e64 v13, null, 0, v2, vcc_lo
	s_cmp_gt_i32 ttmp9, -1
	s_mov_b32 s3, 0
	v_lshlrev_b64_e32 v[14:15], 4, v[0:1]
	s_cselect_b32 s23, -1, 0
	s_add_co_i32 s24, ttmp9, 1
	s_wait_alu 0xfffe
	s_lshl_b64 s[18:19], s[18:19], 4
	s_lshl_b64 s[14:15], s[14:15], 4
	s_branch .LBB51_4
.LBB51_2:                               ;   in Loop: Header=BB51_4 Depth=1
	s_wait_alu 0xfffe
	s_or_b32 exec_lo, exec_lo, s1
.LBB51_3:                               ;   in Loop: Header=BB51_4 Depth=1
	s_add_co_i32 s2, s2, 0x10000
	s_wait_alu 0xfffe
	s_cmp_lt_u32 s2, s22
	s_cbranch_scc0 .LBB51_26
.LBB51_4:                               ; =>This Loop Header: Depth=1
                                        ;     Child Loop BB51_17 Depth 2
	s_mul_u64 s[20:21], s[6:7], s[2:3]
	s_wait_alu 0xfffe
	s_lshl_b64 s[20:21], s[20:21], 4
	s_wait_alu 0xfffe
	s_add_nc_u64 s[20:21], s[4:5], s[20:21]
	global_load_b128 v[4:7], v18, s[20:21]
	s_mul_u64 s[20:21], s[10:11], s[2:3]
	s_wait_alu 0xfffe
	s_lshl_b64 s[20:21], s[20:21], 4
	s_wait_alu 0xfffe
	s_add_nc_u64 s[20:21], s[8:9], s[20:21]
	s_wait_loadcnt 0x1
	global_load_b128 v[0:3], v18, s[20:21]
	s_wait_loadcnt 0x1
	v_cmp_neq_f64_e32 vcc_lo, 0, v[4:5]
	v_cmp_neq_f64_e64 s1, 0, v[6:7]
	s_or_b32 s20, vcc_lo, s1
	s_mov_b32 s1, -1
	s_wait_alu 0xfffe
	s_and_b32 vcc_lo, exec_lo, s20
	s_wait_alu 0xfffe
	s_cbranch_vccz .LBB51_6
; %bb.5:                                ;   in Loop: Header=BB51_4 Depth=1
	s_and_not1_b32 vcc_lo, exec_lo, s1
	s_wait_alu 0xfffe
	s_cbranch_vccnz .LBB51_3
	s_branch .LBB51_7
.LBB51_6:                               ;   in Loop: Header=BB51_4 Depth=1
	s_wait_loadcnt 0x0
	v_cmp_neq_f64_e32 vcc_lo, 1.0, v[0:1]
	v_cmp_neq_f64_e64 s1, 0, v[2:3]
	s_or_b32 s1, vcc_lo, s1
	s_wait_alu 0xfffe
	s_and_not1_b32 vcc_lo, exec_lo, s1
	s_wait_alu 0xfffe
	s_cbranch_vccnz .LBB51_3
.LBB51_7:                               ;   in Loop: Header=BB51_4 Depth=1
	s_lshl_b64 s[26:27], s[2:3], 3
	s_xor_b32 s1, s20, -1
	s_add_nc_u64 s[26:27], s[12:13], s[26:27]
	s_wait_alu 0xfffe
	s_and_not1_b32 vcc_lo, exec_lo, s1
	s_load_b64 s[26:27], s[26:27], 0x0
	s_wait_kmcnt 0x0
	s_add_nc_u64 s[20:21], s[26:27], s[14:15]
	s_cbranch_vccnz .LBB51_12
; %bb.8:                                ;   in Loop: Header=BB51_4 Depth=1
	s_mov_b32 s26, 0
	s_mov_b32 s25, 0
                                        ; implicit-def: $vgpr10_vgpr11
	s_and_saveexec_b32 s27, s0
	s_cbranch_execz .LBB51_13
; %bb.9:                                ;   in Loop: Header=BB51_4 Depth=1
	s_wait_loadcnt 0x0
	v_cmp_neq_f64_e32 vcc_lo, 0, v[0:1]
	v_cmp_neq_f64_e64 s1, 0, v[2:3]
	v_mov_b32_e32 v10, 0
	v_dual_mov_b32 v11, 0 :: v_dual_mov_b32 v8, 0
	v_mov_b32_e32 v9, 0
	s_or_b32 s1, vcc_lo, s1
	s_wait_alu 0xfffe
	s_and_not1_b32 vcc_lo, exec_lo, s1
	s_wait_alu 0xfffe
	s_cbranch_vccnz .LBB51_11
; %bb.10:                               ;   in Loop: Header=BB51_4 Depth=1
	v_add_co_u32 v8, vcc_lo, s20, v14
	s_wait_alu 0xfffd
	v_add_co_ci_u32_e64 v9, null, s21, v15, vcc_lo
	flat_load_b128 v[19:22], v[8:9]
	s_wait_loadcnt_dscnt 0x0
	v_mul_f64_e32 v[8:9], v[2:3], v[21:22]
	v_mul_f64_e32 v[10:11], v[0:1], v[21:22]
	s_delay_alu instid0(VALU_DEP_2) | instskip(NEXT) | instid1(VALU_DEP_2)
	v_fma_f64 v[8:9], v[0:1], v[19:20], -v[8:9]
	v_fma_f64 v[10:11], v[2:3], v[19:20], v[10:11]
.LBB51_11:                              ;   in Loop: Header=BB51_4 Depth=1
	s_mov_b32 s25, exec_lo
	s_or_b32 exec_lo, exec_lo, s27
	s_delay_alu instid0(SALU_CYCLE_1)
	s_and_b32 vcc_lo, exec_lo, s26
	s_wait_alu 0xfffe
	s_cbranch_vccnz .LBB51_14
	s_branch .LBB51_24
.LBB51_12:                              ;   in Loop: Header=BB51_4 Depth=1
	s_mov_b32 s25, 0
                                        ; implicit-def: $vgpr10_vgpr11
	s_cbranch_execnz .LBB51_14
	s_branch .LBB51_24
.LBB51_13:                              ;   in Loop: Header=BB51_4 Depth=1
	s_or_b32 exec_lo, exec_lo, s27
	s_delay_alu instid0(SALU_CYCLE_1)
	s_and_b32 vcc_lo, exec_lo, s26
	s_wait_alu 0xfffe
	s_cbranch_vccz .LBB51_24
.LBB51_14:                              ;   in Loop: Header=BB51_4 Depth=1
                                        ; implicit-def: $vgpr10_vgpr11
	s_and_saveexec_b32 s26, s0
	s_cbranch_execz .LBB51_23
; %bb.15:                               ;   in Loop: Header=BB51_4 Depth=1
	v_mov_b32_e32 v8, 0
	v_dual_mov_b32 v9, 0 :: v_dual_mov_b32 v10, 0
	v_mov_b32_e32 v11, 0
	s_and_not1_b32 vcc_lo, exec_lo, s23
	s_wait_alu 0xfffe
	s_cbranch_vccnz .LBB51_18
; %bb.16:                               ;   in Loop: Header=BB51_4 Depth=1
	s_load_b32 s28, s[16:17], 0x0
	s_mov_b32 s29, s3
	v_mov_b32_e32 v10, 0
	s_mov_b32 s1, s24
	v_mov_b32_e32 v11, 0
	s_wait_kmcnt 0x0
	s_wait_alu 0xfffe
	s_mul_u64 s[28:29], s[18:19], s[28:29]
	s_wait_alu 0xfffe
	v_mad_co_u64_u32 v[16:17], null, s28, s2, v[12:13]
	s_delay_alu instid0(VALU_DEP_1) | instskip(NEXT) | instid1(VALU_DEP_1)
	v_mov_b32_e32 v8, v17
	v_mad_co_u64_u32 v[19:20], null, s29, s2, v[8:9]
	v_mov_b32_e32 v8, 0
	v_mov_b32_e32 v9, 0
	s_delay_alu instid0(VALU_DEP_3)
	v_mov_b32_e32 v17, v19
.LBB51_17:                              ;   Parent Loop BB51_4 Depth=1
                                        ; =>  This Inner Loop Header: Depth=2
	global_load_b128 v[19:22], v[16:17], off offset:-8
	v_add_co_u32 v16, vcc_lo, v16, s18
	s_wait_alu 0xfffd
	v_add_co_ci_u32_e64 v17, null, s19, v17, vcc_lo
	s_wait_alu 0xfffe
	s_add_co_i32 s1, s1, -1
	s_wait_alu 0xfffe
	s_cmp_eq_u32 s1, 0
	s_wait_loadcnt 0x0
	v_add_f64_e32 v[10:11], v[10:11], v[19:20]
	v_add_f64_e32 v[8:9], v[8:9], v[21:22]
	s_cbranch_scc0 .LBB51_17
.LBB51_18:                              ;   in Loop: Header=BB51_4 Depth=1
	s_delay_alu instid0(VALU_DEP_1) | instskip(SKIP_4) | instid1(VALU_DEP_4)
	v_mul_f64_e32 v[16:17], v[6:7], v[8:9]
	v_mul_f64_e32 v[19:20], v[4:5], v[8:9]
	s_wait_loadcnt 0x0
	v_cmp_neq_f64_e32 vcc_lo, 0, v[0:1]
	v_cmp_neq_f64_e64 s1, 0, v[2:3]
	v_fma_f64 v[8:9], v[4:5], v[10:11], -v[16:17]
	s_delay_alu instid0(VALU_DEP_4)
	v_fma_f64 v[10:11], v[6:7], v[10:11], v[19:20]
	s_or_b32 s1, vcc_lo, s1
	s_wait_alu 0xfffe
	s_and_not1_b32 vcc_lo, exec_lo, s1
	s_mov_b32 s1, -1
	s_wait_alu 0xfffe
	s_cbranch_vccz .LBB51_20
; %bb.19:                               ;   in Loop: Header=BB51_4 Depth=1
	s_mov_b32 s1, 0
.LBB51_20:                              ;   in Loop: Header=BB51_4 Depth=1
	s_wait_alu 0xfffe
	s_and_not1_b32 vcc_lo, exec_lo, s1
	s_wait_alu 0xfffe
	s_cbranch_vccnz .LBB51_22
; %bb.21:                               ;   in Loop: Header=BB51_4 Depth=1
	v_add_co_u32 v4, vcc_lo, s20, v14
	s_wait_alu 0xfffd
	v_add_co_ci_u32_e64 v5, null, s21, v15, vcc_lo
	flat_load_b128 v[4:7], v[4:5]
	s_wait_loadcnt_dscnt 0x0
	v_mul_f64_e32 v[16:17], v[2:3], v[6:7]
	v_mul_f64_e32 v[6:7], v[0:1], v[6:7]
	s_delay_alu instid0(VALU_DEP_2) | instskip(NEXT) | instid1(VALU_DEP_2)
	v_fma_f64 v[0:1], v[0:1], v[4:5], -v[16:17]
	v_fma_f64 v[2:3], v[2:3], v[4:5], v[6:7]
	s_delay_alu instid0(VALU_DEP_2) | instskip(NEXT) | instid1(VALU_DEP_2)
	v_add_f64_e32 v[8:9], v[8:9], v[0:1]
	v_add_f64_e32 v[10:11], v[10:11], v[2:3]
.LBB51_22:                              ;   in Loop: Header=BB51_4 Depth=1
	s_or_b32 s25, s25, exec_lo
.LBB51_23:                              ;   in Loop: Header=BB51_4 Depth=1
	s_or_b32 exec_lo, exec_lo, s26
.LBB51_24:                              ;   in Loop: Header=BB51_4 Depth=1
	s_and_saveexec_b32 s1, s25
	s_cbranch_execz .LBB51_2
; %bb.25:                               ;   in Loop: Header=BB51_4 Depth=1
	s_wait_loadcnt 0x0
	s_wait_alu 0xfffe
	v_add_co_u32 v0, vcc_lo, s20, v14
	s_wait_alu 0xfffd
	v_add_co_ci_u32_e64 v1, null, s21, v15, vcc_lo
	flat_store_b128 v[0:1], v[8:11]
	s_branch .LBB51_2
.LBB51_26:
	s_endpgm
	.section	.rodata,"a",@progbits
	.p2align	6, 0x0
	.amdhsa_kernel _ZL36rocblas_hemvn_kernel_upper_block_sumILi64EiPK19rocblas_complex_numIdEPKPS1_S1_EviT1_lS7_lT2_lT0_lPT3_i
		.amdhsa_group_segment_fixed_size 0
		.amdhsa_private_segment_fixed_size 0
		.amdhsa_kernarg_size 344
		.amdhsa_user_sgpr_count 2
		.amdhsa_user_sgpr_dispatch_ptr 0
		.amdhsa_user_sgpr_queue_ptr 0
		.amdhsa_user_sgpr_kernarg_segment_ptr 1
		.amdhsa_user_sgpr_dispatch_id 0
		.amdhsa_user_sgpr_private_segment_size 0
		.amdhsa_wavefront_size32 1
		.amdhsa_uses_dynamic_stack 0
		.amdhsa_enable_private_segment 0
		.amdhsa_system_sgpr_workgroup_id_x 1
		.amdhsa_system_sgpr_workgroup_id_y 0
		.amdhsa_system_sgpr_workgroup_id_z 1
		.amdhsa_system_sgpr_workgroup_info 0
		.amdhsa_system_vgpr_workitem_id 0
		.amdhsa_next_free_vgpr 23
		.amdhsa_next_free_sgpr 30
		.amdhsa_reserve_vcc 1
		.amdhsa_float_round_mode_32 0
		.amdhsa_float_round_mode_16_64 0
		.amdhsa_float_denorm_mode_32 3
		.amdhsa_float_denorm_mode_16_64 3
		.amdhsa_fp16_overflow 0
		.amdhsa_workgroup_processor_mode 1
		.amdhsa_memory_ordered 1
		.amdhsa_forward_progress 1
		.amdhsa_inst_pref_size 9
		.amdhsa_round_robin_scheduling 0
		.amdhsa_exception_fp_ieee_invalid_op 0
		.amdhsa_exception_fp_denorm_src 0
		.amdhsa_exception_fp_ieee_div_zero 0
		.amdhsa_exception_fp_ieee_overflow 0
		.amdhsa_exception_fp_ieee_underflow 0
		.amdhsa_exception_fp_ieee_inexact 0
		.amdhsa_exception_int_div_zero 0
	.end_amdhsa_kernel
	.section	.text._ZL36rocblas_hemvn_kernel_upper_block_sumILi64EiPK19rocblas_complex_numIdEPKPS1_S1_EviT1_lS7_lT2_lT0_lPT3_i,"axG",@progbits,_ZL36rocblas_hemvn_kernel_upper_block_sumILi64EiPK19rocblas_complex_numIdEPKPS1_S1_EviT1_lS7_lT2_lT0_lPT3_i,comdat
.Lfunc_end51:
	.size	_ZL36rocblas_hemvn_kernel_upper_block_sumILi64EiPK19rocblas_complex_numIdEPKPS1_S1_EviT1_lS7_lT2_lT0_lPT3_i, .Lfunc_end51-_ZL36rocblas_hemvn_kernel_upper_block_sumILi64EiPK19rocblas_complex_numIdEPKPS1_S1_EviT1_lS7_lT2_lT0_lPT3_i
                                        ; -- End function
	.set _ZL36rocblas_hemvn_kernel_upper_block_sumILi64EiPK19rocblas_complex_numIdEPKPS1_S1_EviT1_lS7_lT2_lT0_lPT3_i.num_vgpr, 23
	.set _ZL36rocblas_hemvn_kernel_upper_block_sumILi64EiPK19rocblas_complex_numIdEPKPS1_S1_EviT1_lS7_lT2_lT0_lPT3_i.num_agpr, 0
	.set _ZL36rocblas_hemvn_kernel_upper_block_sumILi64EiPK19rocblas_complex_numIdEPKPS1_S1_EviT1_lS7_lT2_lT0_lPT3_i.numbered_sgpr, 30
	.set _ZL36rocblas_hemvn_kernel_upper_block_sumILi64EiPK19rocblas_complex_numIdEPKPS1_S1_EviT1_lS7_lT2_lT0_lPT3_i.num_named_barrier, 0
	.set _ZL36rocblas_hemvn_kernel_upper_block_sumILi64EiPK19rocblas_complex_numIdEPKPS1_S1_EviT1_lS7_lT2_lT0_lPT3_i.private_seg_size, 0
	.set _ZL36rocblas_hemvn_kernel_upper_block_sumILi64EiPK19rocblas_complex_numIdEPKPS1_S1_EviT1_lS7_lT2_lT0_lPT3_i.uses_vcc, 1
	.set _ZL36rocblas_hemvn_kernel_upper_block_sumILi64EiPK19rocblas_complex_numIdEPKPS1_S1_EviT1_lS7_lT2_lT0_lPT3_i.uses_flat_scratch, 0
	.set _ZL36rocblas_hemvn_kernel_upper_block_sumILi64EiPK19rocblas_complex_numIdEPKPS1_S1_EviT1_lS7_lT2_lT0_lPT3_i.has_dyn_sized_stack, 0
	.set _ZL36rocblas_hemvn_kernel_upper_block_sumILi64EiPK19rocblas_complex_numIdEPKPS1_S1_EviT1_lS7_lT2_lT0_lPT3_i.has_recursion, 0
	.set _ZL36rocblas_hemvn_kernel_upper_block_sumILi64EiPK19rocblas_complex_numIdEPKPS1_S1_EviT1_lS7_lT2_lT0_lPT3_i.has_indirect_call, 0
	.section	.AMDGPU.csdata,"",@progbits
; Kernel info:
; codeLenInByte = 1040
; TotalNumSgprs: 32
; NumVgprs: 23
; ScratchSize: 0
; MemoryBound: 0
; FloatMode: 240
; IeeeMode: 1
; LDSByteSize: 0 bytes/workgroup (compile time only)
; SGPRBlocks: 0
; VGPRBlocks: 2
; NumSGPRsForWavesPerEU: 32
; NumVGPRsForWavesPerEU: 23
; Occupancy: 16
; WaveLimiterHint : 1
; COMPUTE_PGM_RSRC2:SCRATCH_EN: 0
; COMPUTE_PGM_RSRC2:USER_SGPR: 2
; COMPUTE_PGM_RSRC2:TRAP_HANDLER: 0
; COMPUTE_PGM_RSRC2:TGID_X_EN: 1
; COMPUTE_PGM_RSRC2:TGID_Y_EN: 0
; COMPUTE_PGM_RSRC2:TGID_Z_EN: 1
; COMPUTE_PGM_RSRC2:TIDIG_COMP_CNT: 0
	.section	.text._ZL26rocblas_hemvn_kernel_upperILb1ELi64ELi4ELi33ELi32ELi16El19rocblas_complex_numIdEPKPKS1_PS1_EviT6_lT7_lT5_lS8_lS9_lS7_lT8_i,"axG",@progbits,_ZL26rocblas_hemvn_kernel_upperILb1ELi64ELi4ELi33ELi32ELi16El19rocblas_complex_numIdEPKPKS1_PS1_EviT6_lT7_lT5_lS8_lS9_lS7_lT8_i,comdat
	.globl	_ZL26rocblas_hemvn_kernel_upperILb1ELi64ELi4ELi33ELi32ELi16El19rocblas_complex_numIdEPKPKS1_PS1_EviT6_lT7_lT5_lS8_lS9_lS7_lT8_i ; -- Begin function _ZL26rocblas_hemvn_kernel_upperILb1ELi64ELi4ELi33ELi32ELi16El19rocblas_complex_numIdEPKPKS1_PS1_EviT6_lT7_lT5_lS8_lS9_lS7_lT8_i
	.p2align	8
	.type	_ZL26rocblas_hemvn_kernel_upperILb1ELi64ELi4ELi33ELi32ELi16El19rocblas_complex_numIdEPKPKS1_PS1_EviT6_lT7_lT5_lS8_lS9_lS7_lT8_i,@function
_ZL26rocblas_hemvn_kernel_upperILb1ELi64ELi4ELi33ELi32ELi16El19rocblas_complex_numIdEPKPKS1_PS1_EviT6_lT7_lT5_lS8_lS9_lS7_lT8_i: ; @_ZL26rocblas_hemvn_kernel_upperILb1ELi64ELi4ELi33ELi32ELi16El19rocblas_complex_numIdEPKPKS1_PS1_EviT6_lT7_lT5_lS8_lS9_lS7_lT8_i
; %bb.0:
	s_clause 0x1
	s_load_b64 s[2:3], s[0:1], 0x94
	s_load_b32 s23, s[0:1], 0x80
	s_lshr_b32 s34, ttmp7, 16
	s_wait_kmcnt 0x0
	s_lshr_b32 s4, s2, 16
	s_and_b32 s2, s2, 0xffff
	s_and_b32 s3, s3, 0xffff
	s_mul_i32 s2, s4, s2
	s_delay_alu instid0(SALU_CYCLE_1) | instskip(NEXT) | instid1(SALU_CYCLE_1)
	s_mul_i32 s2, s2, s3
	s_cmp_lg_u32 s2, 0x100
	s_cselect_b32 s2, -1, 0
	s_cmp_ge_u32 s34, s23
	s_cselect_b32 s3, -1, 0
	s_delay_alu instid0(SALU_CYCLE_1) | instskip(NEXT) | instid1(SALU_CYCLE_1)
	s_or_b32 s2, s2, s3
	s_and_b32 vcc_lo, exec_lo, s2
	s_cbranch_vccnz .LBB52_188
; %bb.1:
	s_clause 0x3
	s_load_b128 s[4:7], s[0:1], 0x8
	s_load_b128 s[16:19], s[0:1], 0x60
	s_load_b32 s12, s[0:1], 0x0
	s_load_b64 s[10:11], s[0:1], 0x78
	v_bfe_u32 v14, v0, 10, 10
	s_add_nc_u64 s[2:3], s[0:1], 0x88
	s_clause 0x3
	s_load_b128 s[24:27], s[0:1], 0x20
	s_load_b64 s[56:57], s[0:1], 0x30
	s_load_b64 s[36:37], s[0:1], 0x50
	s_load_b128 s[28:31], s[0:1], 0x40
	v_and_b32_e32 v181, 0x3ff, v0
	v_dual_mov_b32 v1, 0 :: v_dual_and_b32 v2, 31, v0
	v_lshlrev_b32_e32 v19, 6, v14
	s_lshl_b32 s58, ttmp9, 6
	s_load_b32 s38, s[2:3], 0x0
	s_delay_alu instid0(VALU_DEP_2) | instskip(NEXT) | instid1(VALU_DEP_2)
	v_dual_mov_b32 v3, v1 :: v_dual_add_nc_u32 v4, s58, v181
	v_add_nc_u32_e32 v15, v19, v181
	v_sub_co_u32 v6, s2, 0, v2
	s_delay_alu instid0(VALU_DEP_3)
	v_ashrrev_i32_e32 v5, 31, v4
	v_sub_co_ci_u32_e64 v7, null, 0, 0, s2
	s_wait_kmcnt 0x0
	v_cmp_eq_f64_e64 s1, s[4:5], 0
	v_cmp_eq_f64_e64 s4, s[6:7], 0
	v_cmp_neq_f64_e64 s5, s[16:17], 1.0
	v_cmp_neq_f64_e64 s6, s[18:19], 0
	v_lshrrev_b32_e32 v16, 5, v15
	s_ashr_i32 s13, s12, 31
	s_mov_b32 s35, 0
	s_lshr_b32 s2, s13, 26
	s_mov_b32 s39, s35
	v_mad_co_u64_u32 v[8:9], null, s56, v16, v[2:3]
	v_lshlrev_b32_e32 v182, 4, v181
	s_wait_alu 0xfffe
	s_add_co_i32 s2, s12, s2
	v_mul_lo_u32 v17, s36, v5
	v_mul_lo_u32 v18, s37, v4
	v_mad_co_u64_u32 v[10:11], null, s36, v4, 0
	v_mov_b32_e32 v3, v9
	s_wait_alu 0xfffe
	s_and_not1_b32 s2, s2, 63
	s_add_co_i32 s3, s38, -1
	s_mul_u64 s[40:41], s[38:39], s[12:13]
	s_wait_alu 0xfffe
	s_sub_co_i32 s33, s12, s2
	v_mad_co_u64_u32 v[12:13], null, s57, v16, v[3:4]
	v_lshlrev_b32_e32 v20, 4, v2
	v_add3_u32 v11, v11, v17, v18
	v_lshlrev_b32_e32 v17, 6, v16
	s_mov_b32 s8, ttmp9
	v_add_nc_u32_e32 v21, 8, v16
	v_add_nc_u32_e32 v3, 24, v16
	v_dual_mov_b32 v9, v12 :: v_dual_lshlrev_b32 v12, 2, v16
	v_lshl_or_b32 v13, v2, 9, v20
	v_mad_u32_u24 v184, 0x210, v16, v20
	v_mul_u32_u24_e32 v23, 0x840, v16
	v_lshlrev_b32_e32 v25, 4, v16
	v_or_b32_e32 v18, 1, v12
	v_cmp_eq_u32_e64 s7, v12, v2
	v_add_nc_u32_e32 v189, v13, v17
	s_and_b32 s39, s1, s4
	v_or_b32_e32 v13, 2, v12
	s_or_b32 s68, s5, s6
	s_cmp_eq_u32 ttmp9, s3
	v_cmp_le_u32_e64 s6, v12, v2
	s_cselect_b32 s42, s33, 0
	v_mul_u32_u24_e32 v24, 0x210, v18
	s_cmp_lg_u32 s42, 0
	v_cmp_gt_i32_e32 vcc_lo, s42, v181
	s_cselect_b32 s69, -1, 0
	s_cmp_eq_u32 s42, 0
	v_cmp_le_i32_e64 s2, s42, v16
	s_cselect_b32 s3, -1, 0
	s_ashr_i32 s9, ttmp9, 31
	s_sub_co_i32 s19, s42, 32
	s_mul_u64 s[4:5], s[12:13], s[8:9]
	v_cmp_ge_u32_e64 s8, v12, v2
	v_cmp_eq_u32_e64 s9, v18, v2
	v_or_b32_e32 v12, 3, v12
	v_mul_u32_u24_e32 v18, 33, v2
	s_wait_alu 0xfffe
	s_lshl_b64 s[4:5], s[4:5], 4
	v_cmp_le_i32_e64 s16, s19, v16
	s_wait_alu 0xfffe
	s_add_nc_u64 s[44:45], s[10:11], s[4:5]
	v_cmp_le_u32_e64 s12, v12, v2
	v_lshlrev_b32_e32 v192, 4, v18
	v_cmp_eq_u32_e64 s13, v12, v2
	v_or_b32_e32 v12, 32, v2
	v_add_nc_u32_e32 v18, 0x220, v19
	v_cmp_le_u32_e64 s10, v13, v2
	v_cmp_eq_u32_e64 s11, v13, v2
	v_cmp_le_i32_e64 s5, s42, v3
	v_cmp_gt_i32_e64 s15, s42, v12
	v_mad_co_u64_u32 v[12:13], null, s56, v18, 0
	v_add_nc_u32_e32 v22, 16, v16
	v_cmp_le_i32_e64 s17, s19, v21
	s_or_b32 s22, s3, vcc_lo
	v_cmp_le_i32_e64 s3, s42, v21
	v_cmp_eq_u32_e64 s20, 1, v16
	v_cmp_le_i32_e64 s18, s19, v22
	v_cmp_le_i32_e64 s19, s19, v3
	v_lshrrev_b32_e32 v3, 4, v15
	v_mul_i32_i24_e32 v196, 0xffffffd0, v16
	v_and_b32_e32 v16, 15, v0
	s_add_co_i32 s21, ttmp9, 1
	s_ashr_i32 s59, s58, 31
	v_lshlrev_b32_e32 v21, 6, v3
	s_ashr_i32 s43, s42, 31
	s_xor_b32 s70, s22, -1
	s_lshl_b64 s[46:47], s[56:57], 7
	s_lshl_b64 s[48:49], s[56:57], 8
	;; [unrolled: 1-line block ×3, first 2 shown]
	v_cmp_gt_u32_e64 s14, 32, v15
	s_cmp_lt_u32 s21, s38
	v_mad_u32_u24 v200, 0x430, v16, v21
	v_mul_i32_i24_e32 v21, 0xffffffd0, v3
	v_cmp_gt_u32_e64 s21, 64, v15
	v_mov_b32_e32 v3, v13
	v_mad_u32_u24 v13, 0x430, v14, v182
	v_add_nc_u32_e32 v15, 0x530, v19
	v_cmp_eq_u32_e64 s0, 0, v14
	v_lshlrev_b32_e32 v197, 2, v14
	v_mad_u32_u24 v199, 0x10c0, v14, v182
	scratch_store_b32 off, v13, off         ; 4-byte Folded Spill
	v_mad_co_u64_u32 v[13:14], null, s57, v18, v[3:4]
	v_lshlrev_b64_e32 v[173:174], 4, v[8:9]
	v_mad_co_u64_u32 v[8:9], null, s56, v15, 0
	v_add_nc_u32_e32 v236, 0x1080, v184
	v_cmp_le_i32_e64 s4, s42, v22
	v_add_nc_u32_e32 v194, 0x4700, v17
	v_sub_co_u32 v12, vcc_lo, v12, v173
	s_delay_alu instid0(VALU_DEP_1) | instskip(SKIP_4) | instid1(VALU_DEP_3)
	v_sub_co_ci_u32_e64 v3, null, v13, v174, vcc_lo
	v_sub_co_u32 v8, vcc_lo, v8, v173
	v_and_b32_e32 v17, 48, v0
	v_or_b32_e32 v22, 0xf0, v182
	s_cselect_b32 s71, -1, 0
	v_or_b32_e32 v8, 8, v8
	scratch_store_b32 off, v3, off offset:4 ; 4-byte Folded Spill
	v_mov_b32_e32 v3, v9
	v_or_b32_e32 v9, 8, v12
	v_lshlrev_b32_e32 v17, 4, v17
	v_mad_u32_u24 v202, 0x430, v16, v22
	v_add_nc_u32_e32 v22, 0x500, v19
	v_mad_co_u64_u32 v[12:13], null, s57, v15, v[3:4]
	s_delay_alu instid0(VALU_DEP_4)
	v_mad_u32_u24 v201, 0x430, v16, v17
	scratch_store_b32 off, v8, off offset:16 ; 4-byte Folded Spill
	v_mad_co_u64_u32 v[15:16], null, s56, v22, 0
	s_and_b32 s73, s0, s22
	s_wait_alu 0xfffe
	s_mul_u64 s[52:53], s[36:37], s[58:59]
	s_wait_alu 0xfffd
	v_sub_co_ci_u32_e64 v3, null, v12, v174, vcc_lo
	scratch_store_b32 off, v9, off offset:8 ; 4-byte Folded Spill
	v_dual_mov_b32 v8, v16 :: v_dual_add_nc_u32 v9, 0x210, v19
	scratch_store_b32 off, v3, off offset:12 ; 4-byte Folded Spill
	v_lshlrev_b64_e32 v[185:186], 4, v[10:11]
	v_lshlrev_b64_e32 v[179:180], 4, v[6:7]
	v_mad_co_u64_u32 v[13:14], null, s56, v9, 0
	v_cmp_gt_i32_e64 s1, s42, v2
	v_add_nc_u32_e32 v203, 0x2100, v184
	v_add_nc_u32_e32 v187, 0x3180, v184
	v_mad_u32_u24 v188, 0x210, v2, v20
	v_add_nc_u32_e32 v193, 16, v189
	v_add_nc_u32_e32 v237, v200, v21
	v_dual_mov_b32 v3, v14 :: v_dual_add_nc_u32 v14, 0x200, v19
	v_lshlrev_b32_e32 v238, 4, v2
	v_add_nc_u32_e32 v239, v20, v23
	v_add_nc_u32_e32 v240, v20, v24
	s_delay_alu instid0(VALU_DEP_4)
	v_mad_co_u64_u32 v[16:17], null, s57, v9, v[3:4]
	v_sub_co_u32 v3, vcc_lo, v13, v173
	v_mad_co_u64_u32 v[17:18], null, s56, v14, 0
	v_mad_co_u64_u32 v[8:9], null, s57, v22, v[8:9]
	scratch_store_b32 off, v3, off offset:20 ; 4-byte Folded Spill
	s_wait_alu 0xfffd
	v_sub_co_ci_u32_e64 v3, null, v16, v174, vcc_lo
	v_sub_co_u32 v15, vcc_lo, v15, v173
	v_add_nc_u32_e32 v22, 0x510, v19
	s_wait_alu 0xfffd
	v_sub_co_ci_u32_e64 v8, null, v8, v174, vcc_lo
	scratch_store_b32 off, v3, off offset:24 ; 4-byte Folded Spill
	v_mov_b32_e32 v3, v18
	v_mad_co_u64_u32 v[12:13], null, s56, v22, 0
	scratch_store_b32 off, v8, off offset:28 ; 4-byte Folded Spill
	v_add_nc_u32_e32 v16, 0x230, v19
	v_mad_co_u64_u32 v[8:9], null, s57, v14, v[3:4]
	v_or_b32_e32 v3, 8, v15
	v_sub_co_u32 v9, vcc_lo, v17, v173
	v_add_nc_u32_e32 v195, v192, v25
	s_mul_u64 s[60:61], s[56:57], s[58:59]
	scratch_store_b32 off, v3, off offset:32 ; 4-byte Folded Spill
	v_mov_b32_e32 v3, v13
	v_mad_co_u64_u32 v[13:14], null, s56, v16, 0
	s_wait_alu 0xfffd
	v_sub_co_ci_u32_e64 v8, null, v8, v174, vcc_lo
	scratch_store_b32 off, v9, off offset:36 ; 4-byte Folded Spill
	v_sub_co_u32 v12, vcc_lo, v12, v173
	scratch_store_b32 off, v8, off offset:40 ; 4-byte Folded Spill
	v_mad_co_u64_u32 v[8:9], null, s57, v22, v[3:4]
	v_mov_b32_e32 v3, v14
	v_add_nc_u32_e32 v9, 0x520, v19
	v_add_nc_u32_e32 v22, 0x320, v19
	s_sub_nc_u64 s[64:65], 0, s[52:53]
	s_mul_u64 s[50:51], s[56:57], 0x180
	v_mad_co_u64_u32 v[16:17], null, s57, v16, v[3:4]
	s_wait_alu 0xfffd
	v_sub_co_ci_u32_e64 v3, null, v8, v174, vcc_lo
	v_mad_co_u64_u32 v[14:15], null, s56, v9, 0
	v_sub_co_u32 v8, vcc_lo, v13, v173
	scratch_store_b32 off, v3, off offset:44 ; 4-byte Folded Spill
	v_or_b32_e32 v3, 8, v12
	v_mad_co_u64_u32 v[17:18], null, s56, v22, 0
	v_add_nc_u32_e32 v0, 0x4300, v182
	scratch_store_b32 off, v8, off offset:52 ; 4-byte Folded Spill
	s_wait_alu 0xfffd
	v_sub_co_ci_u32_e64 v8, null, v16, v174, vcc_lo
	scratch_store_b32 off, v3, off offset:48 ; 4-byte Folded Spill
	v_mov_b32_e32 v3, v15
	s_add_co_i32 s72, s38, -2
	s_sub_nc_u64 s[52:53], 0, s[42:43]
	s_add_co_i32 s74, s58, 64
	s_lshl_b64 s[54:55], s[56:57], 10
	v_mad_co_u64_u32 v[12:13], null, s57, v9, v[3:4]
	v_sub_co_u32 v3, vcc_lo, v14, v173
	scratch_store_b32 off, v8, off offset:56 ; 4-byte Folded Spill
	v_mov_b32_e32 v8, v18
	v_add_nc_u32_e32 v18, 0x430, v19
	scratch_store_b32 off, v3, off offset:60 ; 4-byte Folded Spill
	s_wait_alu 0xfffd
	v_sub_co_ci_u32_e64 v3, null, v12, v174, vcc_lo
	v_mad_co_u64_u32 v[8:9], null, s57, v22, v[8:9]
	v_mad_co_u64_u32 v[15:16], null, s56, v18, 0
	v_sub_co_u32 v17, vcc_lo, v17, v173
	scratch_store_b32 off, v3, off offset:64 ; 4-byte Folded Spill
	v_add_nc_u32_e32 v22, 0x310, v19
	s_wait_alu 0xfffd
	v_sub_co_ci_u32_e64 v3, null, v8, v174, vcc_lo
	v_sub_co_u32 v15, vcc_lo, v15, v173
	s_delay_alu instid0(VALU_DEP_3)
	v_mad_co_u64_u32 v[8:9], null, s56, v22, 0
	scratch_store_b32 off, v3, off offset:68 ; 4-byte Folded Spill
	v_dual_mov_b32 v3, v16 :: v_dual_add_nc_u32 v16, 0x400, v19
	v_add_nc_u32_e32 v198, 0x4300, v19
	s_lshl_b64 s[30:31], s[30:31], 4
	s_lshl_b64 s[26:27], s[26:27], 4
	s_delay_alu instid0(VALU_DEP_2)
	v_mad_co_u64_u32 v[12:13], null, s57, v18, v[3:4]
	v_or_b32_e32 v3, 8, v17
	v_mad_co_u64_u32 v[13:14], null, s56, v16, 0
	v_add_nc_u32_e32 v204, 0x4700, v25
	v_add_nc_u32_e32 v18, 0x300, v19
	scratch_store_b32 off, v3, off offset:72 ; 4-byte Folded Spill
	v_mov_b32_e32 v3, v9
	s_wait_alu 0xfffd
	v_sub_co_ci_u32_e64 v9, null, v12, v174, vcc_lo
	scratch_store_b32 off, v9, off offset:76 ; 4-byte Folded Spill
	v_or_b32_e32 v9, 8, v15
	scratch_store_b32 off, v9, off offset:80 ; 4-byte Folded Spill
	v_mov_b32_e32 v9, v14
	v_mad_co_u64_u32 v[14:15], null, s57, v22, v[3:4]
	v_sub_co_u32 v3, s22, v8, v173
	s_delay_alu instid0(VALU_DEP_3) | instskip(SKIP_3) | instid1(VALU_DEP_3)
	v_mad_co_u64_u32 v[15:16], null, s57, v16, v[9:10]
	v_add_nc_u32_e32 v9, 0x410, v19
	v_mad_co_u64_u32 v[16:17], null, s56, v18, 0
	v_sub_co_u32 v22, vcc_lo, v13, v173
	v_mad_co_u64_u32 v[12:13], null, s56, v9, 0
	s_wait_alu 0xfffd
	v_sub_co_ci_u32_e64 v8, null, v15, v174, vcc_lo
	scratch_store_b32 off, v3, off offset:84 ; 4-byte Folded Spill
	v_sub_co_ci_u32_e64 v3, null, v14, v174, s22
	scratch_store_b32 off, v8, off offset:92 ; 4-byte Folded Spill
	v_or_b32_e32 v8, 8, v22
	v_add_nc_u32_e32 v22, 0x330, v19
	scratch_store_b32 off, v3, off offset:88 ; 4-byte Folded Spill
	v_mov_b32_e32 v3, v17
	v_add_nc_u32_e32 v19, 0x420, v19
	scratch_store_b32 off, v8, off offset:96 ; 4-byte Folded Spill
	v_mov_b32_e32 v8, v13
	v_mad_co_u64_u32 v[13:14], null, s57, v18, v[3:4]
	v_sub_co_u32 v3, vcc_lo, v16, v173
	s_delay_alu instid0(VALU_DEP_3)
	v_mad_co_u64_u32 v[8:9], null, s57, v9, v[8:9]
	v_mad_co_u64_u32 v[14:15], null, s56, v22, 0
	scratch_store_b32 off, v3, off offset:100 ; 4-byte Folded Spill
	s_wait_alu 0xfffd
	v_sub_co_ci_u32_e64 v3, null, v13, v174, vcc_lo
	v_mad_co_u64_u32 v[17:18], null, s56, v19, 0
	v_sub_co_u32 v9, vcc_lo, v12, v173
	s_wait_alu 0xfffd
	v_sub_co_ci_u32_e64 v8, null, v8, v174, vcc_lo
	scratch_store_b32 off, v3, off offset:104 ; 4-byte Folded Spill
	v_mov_b32_e32 v3, v15
	v_add_nc_u32_e32 v183, 0x4700, v182
	v_or_b32_e32 v9, 8, v9
	scratch_store_b32 off, v8, off offset:108 ; 4-byte Folded Spill
	v_mov_b32_e32 v8, v18
	v_mad_co_u64_u32 v[12:13], null, s57, v22, v[3:4]
	v_sub_co_u32 v3, vcc_lo, v17, v173
	s_delay_alu instid0(VALU_DEP_1)
	v_or_b32_e32 v3, 8, v3
	scratch_store_b32 off, v9, off offset:112 ; 4-byte Folded Spill
	v_mad_co_u64_u32 v[8:9], null, s57, v19, v[8:9]
	v_sub_co_u32 v9, s22, v14, v173
	scratch_store_b32 off, v3, off offset:128 ; 4-byte Folded Spill
	v_lshlrev_b64_e32 v[3:4], 4, v[4:5]
	s_lshl_b64 s[56:57], s[58:59], 4
	s_lshl_b64 s[58:59], s[60:61], 4
	s_wait_alu 0xfffd
	v_sub_co_ci_u32_e64 v8, null, v8, v174, vcc_lo
	scratch_store_b32 off, v9, off offset:116 ; 4-byte Folded Spill
	v_sub_co_ci_u32_e64 v9, null, v12, v174, s22
	s_lshl_b64 s[60:61], s[62:63], 4
	s_lshl_b64 s[62:63], s[64:65], 4
	s_clause 0x2
	scratch_store_b32 off, v8, off offset:124
	scratch_store_b32 off, v9, off offset:120
	scratch_store_b64 off, v[3:4], off offset:132
	s_branch .LBB52_4
.LBB52_2:                               ;   in Loop: Header=BB52_4 Depth=1
	s_wait_alu 0xfffe
	s_or_b32 exec_lo, exec_lo, s22
.LBB52_3:                               ;   in Loop: Header=BB52_4 Depth=1
	s_add_co_i32 s34, s34, 0x10000
	s_delay_alu instid0(SALU_CYCLE_1)
	s_cmp_lt_u32 s34, s23
	s_cbranch_scc0 .LBB52_188
.LBB52_4:                               ; =>This Loop Header: Depth=1
                                        ;     Child Loop BB52_112 Depth 2
	s_and_not1_b32 vcc_lo, exec_lo, s39
	s_mov_b32 s22, -1
	s_wait_alu 0xfffe
	s_cbranch_vccz .LBB52_6
; %bb.5:                                ;   in Loop: Header=BB52_4 Depth=1
	s_and_not1_b32 vcc_lo, exec_lo, s22
	s_wait_alu 0xfffe
	s_cbranch_vccnz .LBB52_3
	s_branch .LBB52_7
.LBB52_6:                               ;   in Loop: Header=BB52_4 Depth=1
	s_and_b32 vcc_lo, exec_lo, s68
	s_cbranch_execnz .LBB52_3
.LBB52_7:                               ;   in Loop: Header=BB52_4 Depth=1
	s_lshl_b64 s[64:65], s[34:35], 3
	s_wait_alu 0xfffe
	s_add_nc_u64 s[66:67], s[28:29], s[64:65]
	s_add_nc_u64 s[64:65], s[24:25], s[64:65]
	s_clause 0x1
	global_load_b64 v[2:3], v1, s[66:67]
	global_load_b64 v[5:6], v1, s[64:65]
	s_wait_loadcnt 0x1
	v_add_co_u32 v2, vcc_lo, v2, s30
	s_wait_alu 0xfffd
	v_add_co_ci_u32_e64 v3, null, s31, v3, vcc_lo
	s_delay_alu instid0(VALU_DEP_2) | instskip(SKIP_1) | instid1(VALU_DEP_2)
	v_add_co_u32 v41, vcc_lo, v2, v185
	s_wait_alu 0xfffd
	v_add_co_ci_u32_e64 v42, null, v3, v186, vcc_lo
	s_and_saveexec_b32 s22, s0
	s_cbranch_execz .LBB52_12
; %bb.8:                                ;   in Loop: Header=BB52_4 Depth=1
	s_and_saveexec_b32 s64, s70
	s_wait_alu 0xfffe
	s_xor_b32 s64, exec_lo, s64
; %bb.9:                                ;   in Loop: Header=BB52_4 Depth=1
	v_dual_mov_b32 v2, v1 :: v_dual_mov_b32 v3, v1
	v_mov_b32_e32 v4, v1
	ds_store_b128 v183, v[1:4]
; %bb.10:                               ;   in Loop: Header=BB52_4 Depth=1
	s_wait_alu 0xfffe
	s_and_not1_saveexec_b32 s64, s64
	s_cbranch_execz .LBB52_12
; %bb.11:                               ;   in Loop: Header=BB52_4 Depth=1
	flat_load_b128 v[7:10], v[41:42]
	s_wait_loadcnt_dscnt 0x0
	ds_store_2addr_b64 v183, v[7:8], v[9:10] offset1:1
.LBB52_12:                              ;   in Loop: Header=BB52_4 Depth=1
	s_wait_alu 0xfffe
	s_or_b32 exec_lo, exec_lo, s22
	s_wait_loadcnt 0x0
	v_add_co_u32 v2, vcc_lo, v5, s26
	s_wait_alu 0xfffd
	v_add_co_ci_u32_e64 v3, null, s27, v6, vcc_lo
	s_mov_b32 s22, -1
	v_add_co_u32 v2, vcc_lo, v2, s56
	s_wait_alu 0xfffd
	v_add_co_ci_u32_e64 v3, null, s57, v3, vcc_lo
                                        ; implicit-def: $vgpr9_vgpr10
	s_delay_alu instid0(VALU_DEP_2) | instskip(SKIP_1) | instid1(VALU_DEP_2)
	v_add_co_u32 v2, vcc_lo, v2, v173
	s_wait_alu 0xfffd
	v_add_co_ci_u32_e64 v3, null, v3, v174, vcc_lo
	s_delay_alu instid0(VALU_DEP_2) | instskip(SKIP_1) | instid1(VALU_DEP_2)
	v_add_co_u32 v5, vcc_lo, v2, s58
	s_wait_alu 0xfffd
	v_add_co_ci_u32_e64 v6, null, s59, v3, vcc_lo
	s_and_b32 vcc_lo, exec_lo, s69
	s_wait_alu 0xfffe
	s_cbranch_vccz .LBB52_24
; %bb.13:                               ;   in Loop: Header=BB52_4 Depth=1
	s_and_saveexec_b32 s22, s2
	s_wait_alu 0xfffe
	s_xor_b32 s22, exec_lo, s22
; %bb.14:                               ;   in Loop: Header=BB52_4 Depth=1
	v_dual_mov_b32 v2, v1 :: v_dual_mov_b32 v3, v1
	v_mov_b32_e32 v4, v1
	ds_store_b128 v184, v[1:4]
; %bb.15:                               ;   in Loop: Header=BB52_4 Depth=1
	s_wait_alu 0xfffe
	s_or_saveexec_b32 s22, s22
	v_add_co_u32 v2, vcc_lo, v5, v179
	s_wait_alu 0xfffd
	v_add_co_ci_u32_e64 v3, null, v6, v180, vcc_lo
	s_lshl_b64 s[64:65], s[42:43], 4
	s_wait_alu 0xfffe
	v_add_co_u32 v2, vcc_lo, v2, s64
	s_wait_alu 0xfffd
	v_add_co_ci_u32_e64 v3, null, s65, v3, vcc_lo
	s_delay_alu instid0(VALU_DEP_2) | instskip(SKIP_1) | instid1(VALU_DEP_2)
	v_add_co_u32 v2, vcc_lo, v2, -16
	s_wait_alu 0xfffd
	v_add_co_ci_u32_e64 v3, null, -1, v3, vcc_lo
	s_delay_alu instid0(VALU_DEP_2) | instskip(NEXT) | instid1(VALU_DEP_2)
	v_cndmask_b32_e64 v7, v2, v5, s1
	v_cndmask_b32_e64 v8, v3, v6, s1
	s_xor_b32 exec_lo, exec_lo, s22
	s_cbranch_execnz .LBB52_170
; %bb.16:                               ;   in Loop: Header=BB52_4 Depth=1
	s_or_b32 exec_lo, exec_lo, s22
	s_and_saveexec_b32 s22, s3
	s_wait_alu 0xfffe
	s_xor_b32 s22, exec_lo, s22
	s_cbranch_execnz .LBB52_171
.LBB52_17:                              ;   in Loop: Header=BB52_4 Depth=1
	s_wait_alu 0xfffe
	s_and_not1_saveexec_b32 s22, s22
	s_cbranch_execnz .LBB52_172
.LBB52_18:                              ;   in Loop: Header=BB52_4 Depth=1
	s_wait_alu 0xfffe
	s_or_b32 exec_lo, exec_lo, s22
	s_and_saveexec_b32 s22, s4
	s_wait_alu 0xfffe
	s_xor_b32 s22, exec_lo, s22
	s_cbranch_execnz .LBB52_173
.LBB52_19:                              ;   in Loop: Header=BB52_4 Depth=1
	s_wait_alu 0xfffe
	s_and_not1_saveexec_b32 s22, s22
	s_cbranch_execnz .LBB52_174
.LBB52_20:                              ;   in Loop: Header=BB52_4 Depth=1
	s_wait_alu 0xfffe
	s_or_b32 exec_lo, exec_lo, s22
	s_and_saveexec_b32 s22, s5
	s_wait_alu 0xfffe
	s_xor_b32 s22, exec_lo, s22
	s_cbranch_execnz .LBB52_175
.LBB52_21:                              ;   in Loop: Header=BB52_4 Depth=1
	s_wait_alu 0xfffe
	s_and_not1_saveexec_b32 s22, s22
	s_cbranch_execz .LBB52_23
.LBB52_22:                              ;   in Loop: Header=BB52_4 Depth=1
	v_add_co_u32 v2, vcc_lo, v7, s50
	s_wait_alu 0xfffd
	v_add_co_ci_u32_e64 v3, null, s51, v8, vcc_lo
	flat_load_b128 v[9:12], v[2:3]
	s_wait_loadcnt_dscnt 0x0
	ds_store_2addr_b64 v187, v[9:10], v[11:12] offset1:1
.LBB52_23:                              ;   in Loop: Header=BB52_4 Depth=1
	s_wait_alu 0xfffe
	s_or_b32 exec_lo, exec_lo, s22
	v_add_co_u32 v2, vcc_lo, v7, v238
	s_wait_alu 0xfffd
	v_add_co_ci_u32_e64 v3, null, 0, v8, vcc_lo
	s_lshl_b64 s[64:65], s[52:53], 4
	s_mov_b32 s22, 0
	s_wait_alu 0xfffe
	v_add_co_u32 v2, vcc_lo, v2, s64
	s_wait_alu 0xfffd
	v_add_co_ci_u32_e64 v3, null, s65, v3, vcc_lo
	s_delay_alu instid0(VALU_DEP_2) | instskip(SKIP_1) | instid1(VALU_DEP_2)
	v_add_co_u32 v2, vcc_lo, v2, 16
	s_wait_alu 0xfffd
	v_add_co_ci_u32_e64 v3, null, 0, v3, vcc_lo
	s_delay_alu instid0(VALU_DEP_2) | instskip(NEXT) | instid1(VALU_DEP_2)
	v_cndmask_b32_e64 v9, v2, v5, s1
	v_cndmask_b32_e64 v10, v3, v6, s1
.LBB52_24:                              ;   in Loop: Header=BB52_4 Depth=1
	s_and_b32 vcc_lo, exec_lo, s22
	s_wait_alu 0xfffe
	s_cbranch_vccz .LBB52_26
; %bb.25:                               ;   in Loop: Header=BB52_4 Depth=1
	flat_load_b128 v[7:10], v[5:6]
	v_add_co_u32 v2, vcc_lo, v5, s46
	s_wait_alu 0xfffd
	v_add_co_ci_u32_e64 v3, null, s47, v6, vcc_lo
	s_wait_loadcnt_dscnt 0x0
	ds_store_2addr_b64 v184, v[7:8], v[9:10] offset1:1
	flat_load_b128 v[7:10], v[2:3]
	v_add_co_u32 v2, vcc_lo, v2, s46
	s_wait_alu 0xfffd
	v_add_co_ci_u32_e64 v3, null, s47, v3, vcc_lo
	s_wait_loadcnt_dscnt 0x0
	ds_store_2addr_b64 v236, v[7:8], v[9:10] offset1:1
	flat_load_b128 v[7:10], v[2:3]
	v_add_co_u32 v2, vcc_lo, v2, s46
	s_wait_alu 0xfffd
	v_add_co_ci_u32_e64 v3, null, s47, v3, vcc_lo
	s_wait_loadcnt_dscnt 0x0
	ds_store_2addr_b64 v203, v[7:8], v[9:10] offset1:1
	flat_load_b128 v[11:14], v[2:3]
	v_dual_mov_b32 v10, v6 :: v_dual_mov_b32 v9, v5
	s_wait_loadcnt_dscnt 0x0
	ds_store_2addr_b64 v187, v[11:12], v[13:14] offset1:1
.LBB52_26:                              ;   in Loop: Header=BB52_4 Depth=1
	s_mov_b32 s22, 0
	s_wait_storecnt_dscnt 0x0
	s_barrier_signal -1
	s_barrier_wait -1
	global_inv scope:SCOPE_SE
	s_and_saveexec_b32 s64, s6
	s_wait_alu 0xfffe
	s_xor_b32 s64, exec_lo, s64
; %bb.27:                               ;   in Loop: Header=BB52_4 Depth=1
	s_and_b32 s22, s7, exec_lo
; %bb.28:                               ;   in Loop: Header=BB52_4 Depth=1
	s_wait_alu 0xfffe
	s_or_saveexec_b32 s64, s64
	v_mov_b32_e32 v4, 0
	v_dual_mov_b32 v5, 0 :: v_dual_mov_b32 v6, v188
	s_wait_alu 0xfffe
	s_xor_b32 exec_lo, exec_lo, s64
	s_cbranch_execz .LBB52_30
; %bb.29:                               ;   in Loop: Header=BB52_4 Depth=1
	ds_load_b128 v[2:5], v239
	v_mov_b32_e32 v6, v189
	s_or_b32 s22, s22, exec_lo
	s_wait_dscnt 0x0
	v_xor_b32_e32 v5, 0x80000000, v5
	ds_store_b64 v189, v[2:3]
.LBB52_30:                              ;   in Loop: Header=BB52_4 Depth=1
	s_or_b32 exec_lo, exec_lo, s64
	s_wait_alu 0xfffe
	s_and_saveexec_b32 s64, s22
; %bb.31:                               ;   in Loop: Header=BB52_4 Depth=1
	ds_store_b64 v6, v[4:5] offset:8
; %bb.32:                               ;   in Loop: Header=BB52_4 Depth=1
	s_wait_alu 0xfffe
	s_or_b32 exec_lo, exec_lo, s64
	s_mov_b32 s22, 0
                                        ; implicit-def: $vgpr4_vgpr5
	s_and_saveexec_b32 s64, s8
	s_wait_alu 0xfffe
	s_xor_b32 s64, exec_lo, s64
	s_cbranch_execnz .LBB52_166
; %bb.33:                               ;   in Loop: Header=BB52_4 Depth=1
	s_wait_alu 0xfffe
	s_or_saveexec_b32 s64, s64
	v_mov_b32_e32 v2, v193
	s_wait_alu 0xfffe
	s_xor_b32 exec_lo, exec_lo, s64
	s_cbranch_execnz .LBB52_167
.LBB52_34:                              ;   in Loop: Header=BB52_4 Depth=1
	s_or_b32 exec_lo, exec_lo, s64
	s_and_saveexec_b32 s64, s22
.LBB52_35:                              ;   in Loop: Header=BB52_4 Depth=1
	ds_store_b64 v2, v[4:5] offset:8
.LBB52_36:                              ;   in Loop: Header=BB52_4 Depth=1
	s_wait_alu 0xfffe
	s_or_b32 exec_lo, exec_lo, s64
	s_mov_b32 s22, 0
	s_and_saveexec_b32 s64, s10
	s_wait_alu 0xfffe
	s_xor_b32 s64, exec_lo, s64
; %bb.37:                               ;   in Loop: Header=BB52_4 Depth=1
	s_and_b32 s22, s11, exec_lo
; %bb.38:                               ;   in Loop: Header=BB52_4 Depth=1
	s_wait_alu 0xfffe
	s_or_saveexec_b32 s64, s64
	v_mov_b32_e32 v4, 0
	v_dual_mov_b32 v5, 0 :: v_dual_mov_b32 v6, v188
	s_wait_alu 0xfffe
	s_xor_b32 exec_lo, exec_lo, s64
	s_cbranch_execz .LBB52_40
; %bb.39:                               ;   in Loop: Header=BB52_4 Depth=1
	ds_load_b128 v[2:5], v240 offset:528
	v_add_nc_u32_e32 v7, 32, v189
	s_or_b32 s22, s22, exec_lo
	s_delay_alu instid0(VALU_DEP_1)
	v_mov_b32_e32 v6, v7
	s_wait_dscnt 0x0
	v_xor_b32_e32 v5, 0x80000000, v5
	ds_store_b64 v7, v[2:3]
.LBB52_40:                              ;   in Loop: Header=BB52_4 Depth=1
	s_or_b32 exec_lo, exec_lo, s64
	s_wait_alu 0xfffe
	s_and_saveexec_b32 s64, s22
; %bb.41:                               ;   in Loop: Header=BB52_4 Depth=1
	ds_store_b64 v6, v[4:5] offset:8
; %bb.42:                               ;   in Loop: Header=BB52_4 Depth=1
	s_wait_alu 0xfffe
	s_or_b32 exec_lo, exec_lo, s64
	s_mov_b32 s22, 0
	s_and_saveexec_b32 s64, s12
	s_wait_alu 0xfffe
	s_xor_b32 s64, exec_lo, s64
; %bb.43:                               ;   in Loop: Header=BB52_4 Depth=1
	s_and_b32 s22, s13, exec_lo
; %bb.44:                               ;   in Loop: Header=BB52_4 Depth=1
	s_wait_alu 0xfffe
	s_or_saveexec_b32 s64, s64
	v_mov_b32_e32 v4, 0
	v_dual_mov_b32 v5, 0 :: v_dual_mov_b32 v6, v188
	s_wait_alu 0xfffe
	s_xor_b32 exec_lo, exec_lo, s64
	s_cbranch_execz .LBB52_46
; %bb.45:                               ;   in Loop: Header=BB52_4 Depth=1
	ds_load_b128 v[2:5], v240 offset:1056
	v_add_nc_u32_e32 v7, 48, v189
	s_or_b32 s22, s22, exec_lo
	s_delay_alu instid0(VALU_DEP_1)
	v_mov_b32_e32 v6, v7
	s_wait_dscnt 0x0
	v_xor_b32_e32 v5, 0x80000000, v5
	ds_store_b64 v7, v[2:3]
.LBB52_46:                              ;   in Loop: Header=BB52_4 Depth=1
	s_or_b32 exec_lo, exec_lo, s64
	s_wait_alu 0xfffe
	s_and_saveexec_b32 s64, s22
; %bb.47:                               ;   in Loop: Header=BB52_4 Depth=1
	ds_store_b64 v6, v[4:5] offset:8
; %bb.48:                               ;   in Loop: Header=BB52_4 Depth=1
	s_wait_alu 0xfffe
	s_or_b32 exec_lo, exec_lo, s64
	s_wait_loadcnt_dscnt 0x0
	s_barrier_signal -1
	s_barrier_wait -1
	global_inv scope:SCOPE_SE
	ds_load_b128 v[2:5], v239
	ds_load_b128 v[11:14], v194
	ds_load_b128 v[15:18], v194 offset:16
	ds_load_b128 v[19:22], v240 offset:1056
	s_wait_dscnt 0x2
	v_mul_f64_e32 v[27:28], v[13:14], v[4:5]
	v_mul_f64_e32 v[29:30], v[11:12], v[4:5]
	ds_load_b128 v[4:7], v240
	ds_load_b128 v[23:26], v240 offset:528
	s_wait_dscnt 0x1
	v_mul_f64_e32 v[31:32], v[17:18], v[6:7]
	v_mul_f64_e32 v[6:7], v[15:16], v[6:7]
	v_fma_f64 v[33:34], v[11:12], v[2:3], -v[27:28]
	v_fma_f64 v[2:3], v[13:14], v[2:3], v[29:30]
	ds_load_b128 v[11:14], v194 offset:32
	ds_load_b128 v[27:30], v194 offset:48
	s_wait_loadcnt_dscnt 0x0
	s_barrier_signal -1
	s_barrier_wait -1
	global_inv scope:SCOPE_SE
	v_mul_f64_e32 v[35:36], v[13:14], v[25:26]
	v_mul_f64_e32 v[25:26], v[11:12], v[25:26]
	v_fma_f64 v[15:16], v[15:16], v[4:5], -v[31:32]
	v_fma_f64 v[4:5], v[17:18], v[4:5], v[6:7]
	v_mul_f64_e32 v[17:18], v[29:30], v[21:22]
	v_mul_f64_e32 v[21:22], v[27:28], v[21:22]
	v_add_f64_e32 v[6:7], 0, v[33:34]
	v_add_f64_e32 v[2:3], 0, v[2:3]
	v_fma_f64 v[11:12], v[11:12], v[23:24], -v[35:36]
	v_fma_f64 v[13:14], v[13:14], v[23:24], v[25:26]
	s_delay_alu instid0(VALU_DEP_4) | instskip(NEXT) | instid1(VALU_DEP_4)
	v_add_f64_e32 v[6:7], v[6:7], v[15:16]
	v_add_f64_e32 v[2:3], v[2:3], v[4:5]
	v_fma_f64 v[4:5], v[27:28], v[19:20], -v[17:18]
	v_fma_f64 v[15:16], v[29:30], v[19:20], v[21:22]
	s_delay_alu instid0(VALU_DEP_4) | instskip(NEXT) | instid1(VALU_DEP_4)
	v_add_f64_e32 v[6:7], v[6:7], v[11:12]
	v_add_f64_e32 v[2:3], v[2:3], v[13:14]
	s_delay_alu instid0(VALU_DEP_2) | instskip(NEXT) | instid1(VALU_DEP_2)
	v_add_f64_e32 v[11:12], v[6:7], v[4:5]
	v_add_f64_e32 v[13:14], v[2:3], v[15:16]
	v_mov_b32_e32 v5, 0
	v_dual_mov_b32 v6, 0 :: v_dual_mov_b32 v7, 0
	v_mov_b32_e32 v8, 0
	ds_store_b128 v195, v[11:14]
	s_wait_loadcnt_dscnt 0x0
	s_barrier_signal -1
	s_barrier_wait -1
	global_inv scope:SCOPE_SE
	s_and_saveexec_b32 s22, s14
	s_cbranch_execz .LBB52_50
; %bb.49:                               ;   in Loop: Header=BB52_4 Depth=1
	ds_load_b128 v[2:5], v192
	ds_load_b128 v[11:14], v192 offset:16
	s_wait_dscnt 0x0
	v_add_f64_e32 v[6:7], v[11:12], v[2:3]
	v_add_f64_e32 v[15:16], v[13:14], v[4:5]
	ds_load_b128 v[2:5], v192 offset:32
	ds_load_b128 v[11:14], v192 offset:48
	s_wait_dscnt 0x1
	v_add_f64_e32 v[2:3], v[6:7], v[2:3]
	v_add_f64_e32 v[4:5], v[15:16], v[4:5]
	s_wait_dscnt 0x0
	s_delay_alu instid0(VALU_DEP_2) | instskip(NEXT) | instid1(VALU_DEP_2)
	v_add_f64_e32 v[6:7], v[2:3], v[11:12]
	v_add_f64_e32 v[15:16], v[4:5], v[13:14]
	ds_load_b128 v[2:5], v192 offset:64
	ds_load_b128 v[11:14], v192 offset:80
	s_wait_dscnt 0x1
	v_add_f64_e32 v[2:3], v[6:7], v[2:3]
	v_add_f64_e32 v[4:5], v[15:16], v[4:5]
	s_wait_dscnt 0x0
	s_delay_alu instid0(VALU_DEP_2) | instskip(NEXT) | instid1(VALU_DEP_2)
	;; [unrolled: 9-line block ×3, first 2 shown]
	v_add_f64_e32 v[5:6], v[2:3], v[11:12]
	v_add_f64_e32 v[7:8], v[7:8], v[13:14]
.LBB52_50:                              ;   in Loop: Header=BB52_4 Depth=1
	s_wait_alu 0xfffe
	s_or_b32 exec_lo, exec_lo, s22
	v_add_co_u32 v15, vcc_lo, v9, s60
	s_wait_alu 0xfffd
	v_add_co_ci_u32_e64 v16, null, s61, v10, vcc_lo
	s_mov_b32 s22, -1
	v_add_co_u32 v9, vcc_lo, 0x200, v15
	s_wait_alu 0xfffd
	v_add_co_ci_u32_e64 v10, null, 0, v16, vcc_lo
	s_and_b32 vcc_lo, exec_lo, s69
	s_wait_loadcnt 0x0
	s_barrier_signal -1
	s_barrier_wait -1
	global_inv scope:SCOPE_SE
                                        ; implicit-def: $vgpr13_vgpr14
	s_wait_alu 0xfffe
	s_cbranch_vccz .LBB52_62
; %bb.51:                               ;   in Loop: Header=BB52_4 Depth=1
	s_and_saveexec_b32 s22, s16
	s_wait_alu 0xfffe
	s_xor_b32 s22, exec_lo, s22
; %bb.52:                               ;   in Loop: Header=BB52_4 Depth=1
	v_dual_mov_b32 v2, v1 :: v_dual_mov_b32 v3, v1
	v_mov_b32_e32 v4, v1
	ds_store_b128 v184, v[1:4]
; %bb.53:                               ;   in Loop: Header=BB52_4 Depth=1
	s_wait_alu 0xfffe
	s_or_saveexec_b32 s22, s22
	v_add_co_u32 v2, vcc_lo, v15, v179
	s_wait_alu 0xfffd
	v_add_co_ci_u32_e64 v3, null, v16, v180, vcc_lo
	s_lshl_b64 s[64:65], s[42:43], 4
	s_wait_alu 0xfffe
	v_add_co_u32 v2, vcc_lo, v2, s64
	s_wait_alu 0xfffd
	v_add_co_ci_u32_e64 v3, null, s65, v3, vcc_lo
	s_delay_alu instid0(VALU_DEP_2) | instskip(SKIP_1) | instid1(VALU_DEP_2)
	v_add_co_u32 v2, vcc_lo, v2, -16
	s_wait_alu 0xfffd
	v_add_co_ci_u32_e64 v3, null, -1, v3, vcc_lo
	s_delay_alu instid0(VALU_DEP_2) | instskip(NEXT) | instid1(VALU_DEP_2)
	v_cndmask_b32_e64 v11, v2, v9, s15
	v_cndmask_b32_e64 v12, v3, v10, s15
	s_xor_b32 exec_lo, exec_lo, s22
	s_cbranch_execnz .LBB52_176
; %bb.54:                               ;   in Loop: Header=BB52_4 Depth=1
	s_or_b32 exec_lo, exec_lo, s22
	s_and_saveexec_b32 s22, s17
	s_wait_alu 0xfffe
	s_xor_b32 s22, exec_lo, s22
	s_cbranch_execnz .LBB52_177
.LBB52_55:                              ;   in Loop: Header=BB52_4 Depth=1
	s_wait_alu 0xfffe
	s_and_not1_saveexec_b32 s22, s22
	s_cbranch_execnz .LBB52_178
.LBB52_56:                              ;   in Loop: Header=BB52_4 Depth=1
	s_wait_alu 0xfffe
	s_or_b32 exec_lo, exec_lo, s22
	s_and_saveexec_b32 s22, s18
	s_wait_alu 0xfffe
	s_xor_b32 s22, exec_lo, s22
	s_cbranch_execnz .LBB52_179
.LBB52_57:                              ;   in Loop: Header=BB52_4 Depth=1
	s_wait_alu 0xfffe
	s_and_not1_saveexec_b32 s22, s22
	s_cbranch_execnz .LBB52_180
.LBB52_58:                              ;   in Loop: Header=BB52_4 Depth=1
	s_wait_alu 0xfffe
	s_or_b32 exec_lo, exec_lo, s22
	s_and_saveexec_b32 s22, s19
	s_wait_alu 0xfffe
	s_xor_b32 s22, exec_lo, s22
	s_cbranch_execnz .LBB52_181
.LBB52_59:                              ;   in Loop: Header=BB52_4 Depth=1
	s_wait_alu 0xfffe
	s_and_not1_saveexec_b32 s22, s22
	s_cbranch_execz .LBB52_61
.LBB52_60:                              ;   in Loop: Header=BB52_4 Depth=1
	v_add_co_u32 v2, vcc_lo, v11, s50
	s_wait_alu 0xfffd
	v_add_co_ci_u32_e64 v3, null, s51, v12, vcc_lo
	flat_load_b128 v[17:20], v[2:3]
	s_wait_loadcnt_dscnt 0x0
	ds_store_2addr_b64 v187, v[17:18], v[19:20] offset1:1
.LBB52_61:                              ;   in Loop: Header=BB52_4 Depth=1
	s_wait_alu 0xfffe
	s_or_b32 exec_lo, exec_lo, s22
	v_add_co_u32 v2, vcc_lo, v11, v238
	s_wait_alu 0xfffd
	v_add_co_ci_u32_e64 v3, null, 0, v12, vcc_lo
	s_lshl_b64 s[64:65], s[52:53], 4
	s_mov_b32 s22, 0
	s_wait_alu 0xfffe
	v_add_co_u32 v2, vcc_lo, v2, s64
	s_wait_alu 0xfffd
	v_add_co_ci_u32_e64 v3, null, s65, v3, vcc_lo
	s_delay_alu instid0(VALU_DEP_2) | instskip(SKIP_1) | instid1(VALU_DEP_2)
	v_add_co_u32 v2, vcc_lo, 0x210, v2
	s_wait_alu 0xfffd
	v_add_co_ci_u32_e64 v3, null, 0, v3, vcc_lo
	s_delay_alu instid0(VALU_DEP_2) | instskip(NEXT) | instid1(VALU_DEP_2)
	v_cndmask_b32_e64 v13, v2, v9, s15
	v_cndmask_b32_e64 v14, v3, v10, s15
.LBB52_62:                              ;   in Loop: Header=BB52_4 Depth=1
	s_and_b32 vcc_lo, exec_lo, s22
	s_wait_alu 0xfffe
	s_cbranch_vccz .LBB52_64
; %bb.63:                               ;   in Loop: Header=BB52_4 Depth=1
	flat_load_b128 v[11:14], v[9:10]
	v_add_co_u32 v2, vcc_lo, v15, s46
	s_wait_alu 0xfffd
	v_add_co_ci_u32_e64 v3, null, s47, v16, vcc_lo
	s_wait_loadcnt_dscnt 0x0
	ds_store_2addr_b64 v184, v[11:12], v[13:14] offset1:1
	flat_load_b128 v[11:14], v[2:3] offset:512
	v_add_co_u32 v2, vcc_lo, v2, s46
	s_wait_alu 0xfffd
	v_add_co_ci_u32_e64 v3, null, s47, v3, vcc_lo
	s_wait_loadcnt_dscnt 0x0
	ds_store_2addr_b64 v236, v[11:12], v[13:14] offset1:1
	flat_load_b128 v[11:14], v[2:3] offset:512
	;; [unrolled: 6-line block ×3, first 2 shown]
	v_dual_mov_b32 v14, v10 :: v_dual_mov_b32 v13, v9
	s_wait_loadcnt_dscnt 0x0
	ds_store_2addr_b64 v187, v[15:16], v[17:18] offset1:1
.LBB52_64:                              ;   in Loop: Header=BB52_4 Depth=1
	s_mov_b32 s22, 0
	s_wait_loadcnt_dscnt 0x0
	s_barrier_signal -1
	s_barrier_wait -1
	global_inv scope:SCOPE_SE
	s_and_saveexec_b32 s64, s6
	s_wait_alu 0xfffe
	s_xor_b32 s64, exec_lo, s64
; %bb.65:                               ;   in Loop: Header=BB52_4 Depth=1
	s_and_b32 s22, s7, exec_lo
; %bb.66:                               ;   in Loop: Header=BB52_4 Depth=1
	s_wait_alu 0xfffe
	s_or_saveexec_b32 s64, s64
	v_dual_mov_b32 v11, 0 :: v_dual_mov_b32 v2, v188
	v_mov_b32_e32 v12, 0
	s_wait_alu 0xfffe
	s_xor_b32 exec_lo, exec_lo, s64
	s_cbranch_execz .LBB52_68
; %bb.67:                               ;   in Loop: Header=BB52_4 Depth=1
	ds_load_b128 v[9:12], v239
	v_mov_b32_e32 v2, v189
	s_or_b32 s22, s22, exec_lo
	s_wait_dscnt 0x0
	v_xor_b32_e32 v12, 0x80000000, v12
	ds_store_b64 v189, v[9:10]
.LBB52_68:                              ;   in Loop: Header=BB52_4 Depth=1
	s_or_b32 exec_lo, exec_lo, s64
	s_wait_alu 0xfffe
	s_and_saveexec_b32 s64, s22
; %bb.69:                               ;   in Loop: Header=BB52_4 Depth=1
	ds_store_b64 v2, v[11:12] offset:8
; %bb.70:                               ;   in Loop: Header=BB52_4 Depth=1
	s_wait_alu 0xfffe
	s_or_b32 exec_lo, exec_lo, s64
	s_mov_b32 s22, 0
                                        ; implicit-def: $vgpr11_vgpr12
	s_and_saveexec_b32 s64, s8
	s_wait_alu 0xfffe
	s_xor_b32 s64, exec_lo, s64
	s_cbranch_execnz .LBB52_168
; %bb.71:                               ;   in Loop: Header=BB52_4 Depth=1
	s_wait_alu 0xfffe
	s_or_saveexec_b32 s64, s64
	v_mov_b32_e32 v2, v193
	s_wait_alu 0xfffe
	s_xor_b32 exec_lo, exec_lo, s64
	s_cbranch_execnz .LBB52_169
.LBB52_72:                              ;   in Loop: Header=BB52_4 Depth=1
	s_or_b32 exec_lo, exec_lo, s64
	s_and_saveexec_b32 s64, s22
.LBB52_73:                              ;   in Loop: Header=BB52_4 Depth=1
	ds_store_b64 v2, v[11:12] offset:8
.LBB52_74:                              ;   in Loop: Header=BB52_4 Depth=1
	s_wait_alu 0xfffe
	s_or_b32 exec_lo, exec_lo, s64
	s_mov_b32 s22, 0
	s_and_saveexec_b32 s64, s10
	s_wait_alu 0xfffe
	s_xor_b32 s64, exec_lo, s64
; %bb.75:                               ;   in Loop: Header=BB52_4 Depth=1
	s_and_b32 s22, s11, exec_lo
; %bb.76:                               ;   in Loop: Header=BB52_4 Depth=1
	s_wait_alu 0xfffe
	s_or_saveexec_b32 s64, s64
	v_dual_mov_b32 v11, 0 :: v_dual_mov_b32 v2, v188
	v_mov_b32_e32 v12, 0
	s_wait_alu 0xfffe
	s_xor_b32 exec_lo, exec_lo, s64
	s_cbranch_execz .LBB52_78
; %bb.77:                               ;   in Loop: Header=BB52_4 Depth=1
	ds_load_b128 v[9:12], v240 offset:528
	v_add_nc_u32_e32 v3, 32, v189
	s_or_b32 s22, s22, exec_lo
	s_delay_alu instid0(VALU_DEP_1)
	v_mov_b32_e32 v2, v3
	s_wait_dscnt 0x0
	v_xor_b32_e32 v12, 0x80000000, v12
	ds_store_b64 v3, v[9:10]
.LBB52_78:                              ;   in Loop: Header=BB52_4 Depth=1
	s_or_b32 exec_lo, exec_lo, s64
	s_wait_alu 0xfffe
	s_and_saveexec_b32 s64, s22
; %bb.79:                               ;   in Loop: Header=BB52_4 Depth=1
	ds_store_b64 v2, v[11:12] offset:8
; %bb.80:                               ;   in Loop: Header=BB52_4 Depth=1
	s_wait_alu 0xfffe
	s_or_b32 exec_lo, exec_lo, s64
	s_mov_b32 s22, 0
	s_and_saveexec_b32 s64, s12
	s_wait_alu 0xfffe
	s_xor_b32 s64, exec_lo, s64
; %bb.81:                               ;   in Loop: Header=BB52_4 Depth=1
	s_and_b32 s22, s13, exec_lo
; %bb.82:                               ;   in Loop: Header=BB52_4 Depth=1
	s_wait_alu 0xfffe
	s_or_saveexec_b32 s64, s64
	v_dual_mov_b32 v11, 0 :: v_dual_mov_b32 v2, v188
	v_mov_b32_e32 v12, 0
	s_wait_alu 0xfffe
	s_xor_b32 exec_lo, exec_lo, s64
	s_cbranch_execz .LBB52_84
; %bb.83:                               ;   in Loop: Header=BB52_4 Depth=1
	ds_load_b128 v[9:12], v240 offset:1056
	v_add_nc_u32_e32 v3, 48, v189
	s_or_b32 s22, s22, exec_lo
	s_delay_alu instid0(VALU_DEP_1)
	v_mov_b32_e32 v2, v3
	s_wait_dscnt 0x0
	v_xor_b32_e32 v12, 0x80000000, v12
	ds_store_b64 v3, v[9:10]
.LBB52_84:                              ;   in Loop: Header=BB52_4 Depth=1
	s_or_b32 exec_lo, exec_lo, s64
	s_wait_alu 0xfffe
	s_and_saveexec_b32 s64, s22
; %bb.85:                               ;   in Loop: Header=BB52_4 Depth=1
	ds_store_b64 v2, v[11:12] offset:8
; %bb.86:                               ;   in Loop: Header=BB52_4 Depth=1
	s_wait_alu 0xfffe
	s_or_b32 exec_lo, exec_lo, s64
	s_wait_loadcnt_dscnt 0x0
	s_barrier_signal -1
	s_barrier_wait -1
	global_inv scope:SCOPE_SE
	ds_load_b128 v[9:12], v239
	ds_load_b128 v[15:18], v194 offset:512
	ds_load_b128 v[19:22], v194 offset:528
	;; [unrolled: 1-line block ×3, first 2 shown]
	ds_load_b128 v[27:30], v240
	ds_load_b128 v[31:34], v240 offset:528
	s_wait_dscnt 0x4
	v_mul_f64_e32 v[2:3], v[17:18], v[11:12]
	v_mul_f64_e32 v[11:12], v[15:16], v[11:12]
	s_wait_dscnt 0x1
	v_mul_f64_e32 v[35:36], v[21:22], v[29:30]
	v_mul_f64_e32 v[29:30], v[19:20], v[29:30]
	s_delay_alu instid0(VALU_DEP_4) | instskip(NEXT) | instid1(VALU_DEP_4)
	v_fma_f64 v[2:3], v[15:16], v[9:10], -v[2:3]
	v_fma_f64 v[37:38], v[17:18], v[9:10], v[11:12]
	ds_load_b128 v[9:12], v194 offset:544
	ds_load_b128 v[15:18], v194 offset:560
	v_fma_f64 v[19:20], v[19:20], v[27:28], -v[35:36]
	v_fma_f64 v[21:22], v[21:22], v[27:28], v[29:30]
	s_wait_loadcnt_dscnt 0x0
	s_barrier_signal -1
	s_barrier_wait -1
	global_inv scope:SCOPE_SE
	v_mul_f64_e32 v[39:40], v[11:12], v[33:34]
	v_mul_f64_e32 v[33:34], v[9:10], v[33:34]
	;; [unrolled: 1-line block ×4, first 2 shown]
	v_add_f64_e32 v[2:3], 0, v[2:3]
	v_add_f64_e32 v[27:28], 0, v[37:38]
	v_fma_f64 v[9:10], v[9:10], v[31:32], -v[39:40]
	v_fma_f64 v[11:12], v[11:12], v[31:32], v[33:34]
	v_fma_f64 v[15:16], v[15:16], v[23:24], -v[29:30]
	v_fma_f64 v[17:18], v[17:18], v[23:24], v[25:26]
	v_add_f64_e32 v[2:3], v[2:3], v[19:20]
	v_add_f64_e32 v[19:20], v[27:28], v[21:22]
	s_delay_alu instid0(VALU_DEP_2) | instskip(NEXT) | instid1(VALU_DEP_2)
	v_add_f64_e32 v[2:3], v[2:3], v[9:10]
	v_add_f64_e32 v[11:12], v[19:20], v[11:12]
	s_delay_alu instid0(VALU_DEP_2) | instskip(NEXT) | instid1(VALU_DEP_2)
	v_add_f64_e32 v[9:10], v[2:3], v[15:16]
	v_add_f64_e32 v[11:12], v[11:12], v[17:18]
	ds_store_b128 v195, v[9:12]
	s_wait_loadcnt_dscnt 0x0
	s_barrier_signal -1
	s_barrier_wait -1
	global_inv scope:SCOPE_SE
	s_and_saveexec_b32 s22, s20
	s_cbranch_execz .LBB52_88
; %bb.87:                               ;   in Loop: Header=BB52_4 Depth=1
	ds_load_b128 v[2:5], v192
	ds_load_b128 v[6:9], v192 offset:16
	s_wait_dscnt 0x0
	v_add_f64_e32 v[10:11], v[6:7], v[2:3]
	v_add_f64_e32 v[15:16], v[8:9], v[4:5]
	ds_load_b128 v[2:5], v192 offset:32
	ds_load_b128 v[6:9], v192 offset:48
	s_wait_dscnt 0x1
	v_add_f64_e32 v[2:3], v[10:11], v[2:3]
	v_add_f64_e32 v[4:5], v[15:16], v[4:5]
	s_wait_dscnt 0x0
	s_delay_alu instid0(VALU_DEP_2) | instskip(NEXT) | instid1(VALU_DEP_2)
	v_add_f64_e32 v[10:11], v[2:3], v[6:7]
	v_add_f64_e32 v[15:16], v[4:5], v[8:9]
	ds_load_b128 v[2:5], v192 offset:64
	ds_load_b128 v[6:9], v192 offset:80
	s_wait_dscnt 0x1
	v_add_f64_e32 v[2:3], v[10:11], v[2:3]
	v_add_f64_e32 v[4:5], v[15:16], v[4:5]
	s_wait_dscnt 0x0
	s_delay_alu instid0(VALU_DEP_2) | instskip(NEXT) | instid1(VALU_DEP_2)
	;; [unrolled: 9-line block ×3, first 2 shown]
	v_add_f64_e32 v[5:6], v[2:3], v[6:7]
	v_add_f64_e32 v[7:8], v[10:11], v[8:9]
.LBB52_88:                              ;   in Loop: Header=BB52_4 Depth=1
	s_wait_alu 0xfffe
	s_or_b32 exec_lo, exec_lo, s22
	v_add_co_u32 v9, vcc_lo, 0xfffffe00, v13
	s_wait_alu 0xfffd
	v_add_co_ci_u32_e64 v10, null, -1, v14, vcc_lo
	s_and_b32 vcc_lo, exec_lo, s69
	s_mov_b32 s22, -1
	s_wait_loadcnt 0x0
	s_barrier_signal -1
	s_barrier_wait -1
	global_inv scope:SCOPE_SE
                                        ; implicit-def: $vgpr2_vgpr3
	s_wait_alu 0xfffe
	s_cbranch_vccz .LBB52_100
; %bb.89:                               ;   in Loop: Header=BB52_4 Depth=1
	s_and_saveexec_b32 s22, s16
	s_wait_alu 0xfffe
	s_xor_b32 s22, exec_lo, s22
; %bb.90:                               ;   in Loop: Header=BB52_4 Depth=1
	v_dual_mov_b32 v2, v1 :: v_dual_mov_b32 v3, v1
	v_mov_b32_e32 v4, v1
	ds_store_b128 v184, v[1:4]
; %bb.91:                               ;   in Loop: Header=BB52_4 Depth=1
	s_wait_alu 0xfffe
	s_or_saveexec_b32 s22, s22
	v_add_co_u32 v2, vcc_lo, v13, v179
	s_wait_alu 0xfffd
	v_add_co_ci_u32_e64 v3, null, v14, v180, vcc_lo
	s_lshl_b64 s[64:65], s[42:43], 4
	s_wait_alu 0xfffe
	v_add_co_u32 v2, vcc_lo, v2, s64
	s_wait_alu 0xfffd
	v_add_co_ci_u32_e64 v3, null, s65, v3, vcc_lo
	s_delay_alu instid0(VALU_DEP_2) | instskip(SKIP_1) | instid1(VALU_DEP_2)
	v_add_co_u32 v2, vcc_lo, 0xfffffdf0, v2
	s_wait_alu 0xfffd
	v_add_co_ci_u32_e64 v3, null, -1, v3, vcc_lo
	s_delay_alu instid0(VALU_DEP_2) | instskip(NEXT) | instid1(VALU_DEP_2)
	v_cndmask_b32_e64 v11, v2, v9, s1
	v_cndmask_b32_e64 v12, v3, v10, s1
	s_xor_b32 exec_lo, exec_lo, s22
	s_cbranch_execnz .LBB52_182
; %bb.92:                               ;   in Loop: Header=BB52_4 Depth=1
	s_or_b32 exec_lo, exec_lo, s22
	s_and_saveexec_b32 s22, s17
	s_wait_alu 0xfffe
	s_xor_b32 s22, exec_lo, s22
	s_cbranch_execnz .LBB52_183
.LBB52_93:                              ;   in Loop: Header=BB52_4 Depth=1
	s_wait_alu 0xfffe
	s_and_not1_saveexec_b32 s22, s22
	s_cbranch_execnz .LBB52_184
.LBB52_94:                              ;   in Loop: Header=BB52_4 Depth=1
	s_wait_alu 0xfffe
	s_or_b32 exec_lo, exec_lo, s22
	s_and_saveexec_b32 s22, s18
	s_wait_alu 0xfffe
	s_xor_b32 s22, exec_lo, s22
	s_cbranch_execnz .LBB52_185
.LBB52_95:                              ;   in Loop: Header=BB52_4 Depth=1
	s_wait_alu 0xfffe
	s_and_not1_saveexec_b32 s22, s22
	s_cbranch_execnz .LBB52_186
.LBB52_96:                              ;   in Loop: Header=BB52_4 Depth=1
	s_wait_alu 0xfffe
	s_or_b32 exec_lo, exec_lo, s22
	s_and_saveexec_b32 s22, s19
	s_wait_alu 0xfffe
	s_xor_b32 s22, exec_lo, s22
	s_cbranch_execnz .LBB52_187
.LBB52_97:                              ;   in Loop: Header=BB52_4 Depth=1
	s_wait_alu 0xfffe
	s_and_not1_saveexec_b32 s22, s22
	s_cbranch_execz .LBB52_99
.LBB52_98:                              ;   in Loop: Header=BB52_4 Depth=1
	v_add_co_u32 v2, vcc_lo, v11, s50
	s_wait_alu 0xfffd
	v_add_co_ci_u32_e64 v3, null, s51, v12, vcc_lo
	flat_load_b128 v[15:18], v[2:3]
	s_wait_loadcnt_dscnt 0x0
	ds_store_2addr_b64 v187, v[15:16], v[17:18] offset1:1
.LBB52_99:                              ;   in Loop: Header=BB52_4 Depth=1
	s_wait_alu 0xfffe
	s_or_b32 exec_lo, exec_lo, s22
	v_add_co_u32 v2, vcc_lo, v11, v238
	s_wait_alu 0xfffd
	v_add_co_ci_u32_e64 v3, null, 0, v12, vcc_lo
	s_lshl_b64 s[64:65], s[52:53], 4
	s_mov_b32 s22, 0
	s_wait_alu 0xfffe
	v_add_co_u32 v2, vcc_lo, v2, s64
	s_wait_alu 0xfffd
	v_add_co_ci_u32_e64 v3, null, s65, v3, vcc_lo
	s_delay_alu instid0(VALU_DEP_2) | instskip(SKIP_1) | instid1(VALU_DEP_2)
	v_add_co_u32 v2, vcc_lo, v2, 16
	s_wait_alu 0xfffd
	v_add_co_ci_u32_e64 v3, null, 0, v3, vcc_lo
	s_delay_alu instid0(VALU_DEP_2) | instskip(NEXT) | instid1(VALU_DEP_2)
	v_cndmask_b32_e64 v2, v2, v9, s1
	v_cndmask_b32_e64 v3, v3, v10, s1
.LBB52_100:                             ;   in Loop: Header=BB52_4 Depth=1
	s_and_b32 vcc_lo, exec_lo, s22
	s_wait_alu 0xfffe
	s_cbranch_vccz .LBB52_102
; %bb.101:                              ;   in Loop: Header=BB52_4 Depth=1
	flat_load_b128 v[15:18], v[9:10]
	v_add_co_u32 v2, vcc_lo, v13, s46
	s_wait_alu 0xfffd
	v_add_co_ci_u32_e64 v3, null, s47, v14, vcc_lo
	s_wait_loadcnt_dscnt 0x0
	ds_store_2addr_b64 v184, v[15:16], v[17:18] offset1:1
	flat_load_b128 v[11:14], v[2:3] offset:-512
	v_add_co_u32 v2, vcc_lo, v2, s46
	s_wait_alu 0xfffd
	v_add_co_ci_u32_e64 v3, null, s47, v3, vcc_lo
	s_wait_loadcnt_dscnt 0x0
	ds_store_2addr_b64 v236, v[11:12], v[13:14] offset1:1
	flat_load_b128 v[11:14], v[2:3] offset:-512
	;; [unrolled: 6-line block ×3, first 2 shown]
	v_dual_mov_b32 v2, v9 :: v_dual_mov_b32 v3, v10
	s_wait_loadcnt_dscnt 0x0
	ds_store_2addr_b64 v187, v[11:12], v[13:14] offset1:1
.LBB52_102:                             ;   in Loop: Header=BB52_4 Depth=1
	v_add_nc_u32_e32 v4, v189, v196
	v_add_nc_u32_e32 v13, v194, v196
	s_wait_loadcnt_dscnt 0x0
	s_barrier_signal -1
	s_barrier_wait -1
	global_inv scope:SCOPE_SE
	ds_load_b128 v[9:12], v4
	ds_load_b128 v[13:16], v13
	ds_load_b128 v[17:20], v204 offset:128
	ds_load_b128 v[21:24], v195 offset:128
	;; [unrolled: 1-line block ×4, first 2 shown]
	s_wait_dscnt 0x2
	v_mul_f64_e32 v[35:36], v[23:24], v[19:20]
	v_mul_f64_e32 v[33:34], v[11:12], v[15:16]
	;; [unrolled: 1-line block ×4, first 2 shown]
	s_delay_alu instid0(VALU_DEP_4) | instskip(NEXT) | instid1(VALU_DEP_4)
	v_fma_f64 v[17:18], v[21:22], v[17:18], v[35:36]
	v_fma_f64 v[33:34], v[9:10], v[13:14], v[33:34]
	s_delay_alu instid0(VALU_DEP_4)
	v_fma_f64 v[37:38], v[9:10], v[15:16], -v[11:12]
	ds_load_b128 v[9:12], v204 offset:256
	ds_load_b128 v[13:16], v204 offset:384
	v_fma_f64 v[19:20], v[21:22], v[19:20], -v[23:24]
	s_wait_dscnt 0x1
	v_mul_f64_e32 v[39:40], v[27:28], v[11:12]
	v_mul_f64_e32 v[27:28], v[27:28], v[9:10]
	v_add_f64_e32 v[21:22], 0, v[33:34]
	v_add_f64_e32 v[23:24], 0, v[37:38]
	s_wait_dscnt 0x0
	v_mul_f64_e32 v[33:34], v[31:32], v[15:16]
	v_mul_f64_e32 v[31:32], v[31:32], v[13:14]
	v_fma_f64 v[9:10], v[25:26], v[9:10], v[39:40]
	v_fma_f64 v[11:12], v[25:26], v[11:12], -v[27:28]
	v_add_f64_e32 v[17:18], v[21:22], v[17:18]
	v_add_f64_e32 v[19:20], v[23:24], v[19:20]
	v_fma_f64 v[13:14], v[29:30], v[13:14], v[33:34]
	v_fma_f64 v[15:16], v[29:30], v[15:16], -v[31:32]
	s_delay_alu instid0(VALU_DEP_4) | instskip(NEXT) | instid1(VALU_DEP_4)
	v_add_f64_e32 v[9:10], v[17:18], v[9:10]
	v_add_f64_e32 v[11:12], v[19:20], v[11:12]
	s_delay_alu instid0(VALU_DEP_2) | instskip(NEXT) | instid1(VALU_DEP_2)
	v_add_f64_e32 v[43:44], v[9:10], v[13:14]
	v_add_f64_e32 v[45:46], v[11:12], v[15:16]
	ds_load_b128 v[33:36], v194 offset:512
	ds_load_b128 v[25:28], v194 offset:528
	;; [unrolled: 1-line block ×4, first 2 shown]
	ds_load_b128 v[29:32], v240
	ds_load_b128 v[21:24], v240 offset:528
	ds_load_b128 v[37:40], v239
	ds_load_b128 v[17:20], v240 offset:1056
	s_wait_loadcnt_dscnt 0x0
	s_barrier_signal -1
	s_barrier_wait -1
	global_inv scope:SCOPE_SE
	ds_store_b128 v195, v[43:46]
	s_wait_loadcnt_dscnt 0x0
	s_barrier_signal -1
	s_barrier_wait -1
	global_inv scope:SCOPE_SE
	s_and_saveexec_b32 s22, s20
	s_cbranch_execz .LBB52_104
; %bb.103:                              ;   in Loop: Header=BB52_4 Depth=1
	ds_load_b128 v[43:46], v192
	ds_load_b128 v[47:50], v192 offset:16
	s_wait_dscnt 0x1
	v_add_f64_e32 v[4:5], v[5:6], v[43:44]
	v_add_f64_e32 v[6:7], v[7:8], v[45:46]
	s_wait_dscnt 0x0
	s_delay_alu instid0(VALU_DEP_2) | instskip(NEXT) | instid1(VALU_DEP_2)
	v_add_f64_e32 v[47:48], v[4:5], v[47:48]
	v_add_f64_e32 v[49:50], v[6:7], v[49:50]
	ds_load_b128 v[4:7], v192 offset:32
	ds_load_b128 v[43:46], v192 offset:48
	s_wait_dscnt 0x1
	v_add_f64_e32 v[4:5], v[47:48], v[4:5]
	v_add_f64_e32 v[6:7], v[49:50], v[6:7]
	s_wait_dscnt 0x0
	s_delay_alu instid0(VALU_DEP_2) | instskip(NEXT) | instid1(VALU_DEP_2)
	v_add_f64_e32 v[47:48], v[4:5], v[43:44]
	v_add_f64_e32 v[49:50], v[6:7], v[45:46]
	ds_load_b128 v[4:7], v192 offset:64
	;; [unrolled: 9-line block ×3, first 2 shown]
	ds_load_b128 v[43:46], v192 offset:112
	s_wait_dscnt 0x1
	v_add_f64_e32 v[4:5], v[47:48], v[4:5]
	v_add_f64_e32 v[7:8], v[49:50], v[6:7]
	s_wait_dscnt 0x0
	s_delay_alu instid0(VALU_DEP_2) | instskip(NEXT) | instid1(VALU_DEP_2)
	v_add_f64_e32 v[5:6], v[4:5], v[43:44]
	v_add_f64_e32 v[7:8], v[7:8], v[45:46]
.LBB52_104:                             ;   in Loop: Header=BB52_4 Depth=1
	s_wait_alu 0xfffe
	s_or_b32 exec_lo, exec_lo, s22
	v_mul_f64_e32 v[43:44], v[35:36], v[39:40]
	v_mul_f64_e32 v[39:40], v[33:34], v[39:40]
	;; [unrolled: 1-line block ×4, first 2 shown]
	s_wait_loadcnt 0x0
	s_barrier_signal -1
	s_barrier_wait -1
	global_inv scope:SCOPE_SE
	v_fma_f64 v[33:34], v[33:34], v[37:38], -v[43:44]
	v_fma_f64 v[35:36], v[35:36], v[37:38], v[39:40]
	v_mul_f64_e32 v[37:38], v[15:16], v[23:24]
	v_mul_f64_e32 v[23:24], v[13:14], v[23:24]
	v_fma_f64 v[25:26], v[25:26], v[29:30], -v[45:46]
	v_fma_f64 v[27:28], v[27:28], v[29:30], v[31:32]
	v_add_f64_e32 v[29:30], 0, v[33:34]
	v_add_f64_e32 v[31:32], 0, v[35:36]
	v_mul_f64_e32 v[33:34], v[11:12], v[19:20]
	v_mul_f64_e32 v[19:20], v[9:10], v[19:20]
	v_fma_f64 v[13:14], v[13:14], v[21:22], -v[37:38]
	v_fma_f64 v[15:16], v[15:16], v[21:22], v[23:24]
	v_add_f64_e32 v[21:22], v[29:30], v[25:26]
	v_add_f64_e32 v[23:24], v[31:32], v[27:28]
	v_fma_f64 v[9:10], v[9:10], v[17:18], -v[33:34]
	v_fma_f64 v[11:12], v[11:12], v[17:18], v[19:20]
	s_delay_alu instid0(VALU_DEP_4) | instskip(NEXT) | instid1(VALU_DEP_4)
	v_add_f64_e32 v[13:14], v[21:22], v[13:14]
	v_add_f64_e32 v[15:16], v[23:24], v[15:16]
	s_delay_alu instid0(VALU_DEP_2) | instskip(NEXT) | instid1(VALU_DEP_2)
	v_add_f64_e32 v[9:10], v[13:14], v[9:10]
	v_add_f64_e32 v[11:12], v[15:16], v[11:12]
	ds_store_b128 v195, v[9:12]
	s_wait_loadcnt_dscnt 0x0
	s_barrier_signal -1
	s_barrier_wait -1
	global_inv scope:SCOPE_SE
	s_and_saveexec_b32 s22, s14
	s_cbranch_execz .LBB52_106
; %bb.105:                              ;   in Loop: Header=BB52_4 Depth=1
	ds_load_b128 v[9:12], v192
	ds_load_b128 v[13:16], v192 offset:16
	s_wait_dscnt 0x1
	v_add_f64_e32 v[4:5], v[5:6], v[9:10]
	v_add_f64_e32 v[6:7], v[7:8], v[11:12]
	s_wait_dscnt 0x0
	s_delay_alu instid0(VALU_DEP_2) | instskip(NEXT) | instid1(VALU_DEP_2)
	v_add_f64_e32 v[12:13], v[4:5], v[13:14]
	v_add_f64_e32 v[14:15], v[6:7], v[15:16]
	ds_load_b128 v[4:7], v192 offset:32
	ds_load_b128 v[8:11], v192 offset:48
	s_wait_dscnt 0x1
	v_add_f64_e32 v[4:5], v[12:13], v[4:5]
	v_add_f64_e32 v[6:7], v[14:15], v[6:7]
	s_wait_dscnt 0x0
	s_delay_alu instid0(VALU_DEP_2) | instskip(NEXT) | instid1(VALU_DEP_2)
	v_add_f64_e32 v[12:13], v[4:5], v[8:9]
	v_add_f64_e32 v[14:15], v[6:7], v[10:11]
	ds_load_b128 v[4:7], v192 offset:64
	ds_load_b128 v[8:11], v192 offset:80
	s_wait_dscnt 0x1
	v_add_f64_e32 v[4:5], v[12:13], v[4:5]
	v_add_f64_e32 v[6:7], v[14:15], v[6:7]
	s_wait_dscnt 0x0
	s_delay_alu instid0(VALU_DEP_2) | instskip(NEXT) | instid1(VALU_DEP_2)
	v_add_f64_e32 v[12:13], v[4:5], v[8:9]
	v_add_f64_e32 v[14:15], v[6:7], v[10:11]
	ds_load_b128 v[4:7], v192 offset:96
	ds_load_b128 v[8:11], v192 offset:112
	s_wait_dscnt 0x1
	v_add_f64_e32 v[4:5], v[12:13], v[4:5]
	v_add_f64_e32 v[12:13], v[14:15], v[6:7]
	s_wait_dscnt 0x0
	s_delay_alu instid0(VALU_DEP_2) | instskip(NEXT) | instid1(VALU_DEP_2)
	v_add_f64_e32 v[5:6], v[4:5], v[8:9]
	v_add_f64_e32 v[7:8], v[12:13], v[10:11]
.LBB52_106:                             ;   in Loop: Header=BB52_4 Depth=1
	s_wait_alu 0xfffe
	s_or_b32 exec_lo, exec_lo, s22
	s_mul_u64 s[64:65], s[40:41], s[34:35]
	s_and_not1_b32 vcc_lo, exec_lo, s71
	s_wait_alu 0xfffe
	s_lshl_b64 s[64:65], s[64:65], 4
	s_wait_loadcnt 0x0
	s_wait_alu 0xfffe
	s_add_nc_u64 s[64:65], s[44:45], s[64:65]
	s_barrier_signal -1
	s_barrier_wait -1
	global_inv scope:SCOPE_SE
	s_cbranch_vccnz .LBB52_164
; %bb.107:                              ;   in Loop: Header=BB52_4 Depth=1
	scratch_load_b32 v4, off, off offset:8  ; 4-byte Folded Reload
	v_add_co_u32 v241, vcc_lo, v41, s62
	s_wait_alu 0xfffd
	v_add_co_ci_u32_e64 v242, null, s63, v42, vcc_lo
	s_mov_b32 s75, ttmp9
	s_mov_b32 s66, s74
	s_wait_loadcnt 0x0
	v_add_co_u32 v243, vcc_lo, v2, v4
	scratch_load_b32 v4, off, off offset:4  ; 4-byte Folded Reload
	s_wait_loadcnt 0x0
	s_wait_alu 0xfffd
	v_add_co_ci_u32_e64 v244, null, v3, v4, vcc_lo
	scratch_load_b32 v4, off, off offset:16 ; 4-byte Folded Reload
	s_wait_loadcnt 0x0
	v_add_co_u32 v245, vcc_lo, v2, v4
	scratch_load_b32 v4, off, off offset:12 ; 4-byte Folded Reload
	s_wait_loadcnt 0x0
	s_wait_alu 0xfffd
	v_add_co_ci_u32_e64 v246, null, v3, v4, vcc_lo
	scratch_load_b32 v4, off, off offset:20 ; 4-byte Folded Reload
	s_wait_loadcnt 0x0
	v_add_co_u32 v247, vcc_lo, v2, v4
	scratch_load_b32 v4, off, off offset:24 ; 4-byte Folded Reload
	;; [unrolled: 7-line block ×15, first 2 shown]
	s_wait_loadcnt 0x0
	s_wait_alu 0xfffd
	v_add_co_ci_u32_e64 v223, null, v3, v2, vcc_lo
	s_cmp_eq_u32 s72, s75
	s_cselect_b32 s76, s33, 0
	s_and_saveexec_b32 s22, s0
	s_cbranch_execz .LBB52_112
.LBB52_108:                             ;   in Loop: Header=BB52_4 Depth=1
	s_wait_alu 0xfffe
	v_cmp_le_i32_e32 vcc_lo, s76, v181
	s_cmp_lg_u32 s76, 0
	s_cselect_b32 s67, -1, 0
	s_wait_alu 0xfffe
	s_and_b32 s67, s67, vcc_lo
	s_wait_alu 0xfffe
	s_and_saveexec_b32 s77, s67
	s_wait_alu 0xfffe
	s_xor_b32 s67, exec_lo, s77
; %bb.109:                              ;   in Loop: Header=BB52_4 Depth=1
	v_dual_mov_b32 v2, v1 :: v_dual_mov_b32 v3, v1
	v_mov_b32_e32 v4, v1
	ds_store_b128 v0, v[1:4]
; %bb.110:                              ;   in Loop: Header=BB52_4 Depth=1
	s_wait_alu 0xfffe
	s_and_not1_saveexec_b32 s67, s67
	s_cbranch_execz .LBB52_112
; %bb.111:                              ;   in Loop: Header=BB52_4 Depth=1
	s_ashr_i32 s67, s66, 31
	s_wait_alu 0xfffe
	s_mul_u64 s[78:79], s[36:37], s[66:67]
	s_wait_alu 0xfffe
	s_lshl_b64 s[78:79], s[78:79], 4
	s_wait_alu 0xfffe
	v_add_co_u32 v2, vcc_lo, v241, s78
	s_wait_alu 0xfffd
	v_add_co_ci_u32_e64 v3, null, s79, v242, vcc_lo
	flat_load_b128 v[9:12], v[2:3]
	s_wait_loadcnt_dscnt 0x0
	ds_store_2addr_b64 v0, v[9:10], v[11:12] offset1:1
.LBB52_112:                             ;   Parent Loop BB52_4 Depth=1
                                        ; =>  This Inner Loop Header: Depth=2
	s_wait_alu 0xfffe
	s_or_b32 exec_lo, exec_lo, s22
	s_cmp_eq_u32 s76, 0
	v_add_co_u32 v2, vcc_lo, v251, v182
	s_cselect_b32 s67, -1, 0
	s_cmp_lg_u32 s76, 0
	s_wait_alu 0xfffd
	v_add_co_ci_u32_e64 v3, null, 0, v252, vcc_lo
	s_cselect_b32 s22, -1, 0
	s_wait_dscnt 0x0
	s_wait_alu 0xfffe
	s_and_b32 vcc_lo, exec_lo, s22
	s_barrier_signal -1
	s_barrier_wait -1
	global_inv scope:SCOPE_SE
	s_wait_alu 0xfffe
	s_cbranch_vccz .LBB52_120
; %bb.113:                              ;   in Loop: Header=BB52_112 Depth=2
	v_mov_b32_e32 v9, 0
	v_dual_mov_b32 v10, 0 :: v_dual_mov_b32 v13, 0
	v_dual_mov_b32 v15, 0 :: v_dual_mov_b32 v14, 0
	v_mov_b32_e32 v16, 0
	s_mov_b32 s77, exec_lo
	v_cmpx_gt_i32_e64 s76, v197
	s_cbranch_execz .LBB52_115
; %bb.114:                              ;   in Loop: Header=BB52_112 Depth=2
	flat_load_b128 v[13:16], v[2:3]
.LBB52_115:                             ;   in Loop: Header=BB52_112 Depth=2
	s_wait_alu 0xfffe
	s_or_b32 exec_lo, exec_lo, s77
	v_mov_b32_e32 v11, 0
	v_or_b32_e32 v4, 1, v197
	v_mov_b32_e32 v12, 0
	s_mov_b32 s77, exec_lo
	s_delay_alu instid0(VALU_DEP_2)
	v_cmpx_gt_i32_e64 s76, v4
	s_cbranch_execz .LBB52_117
; %bb.116:                              ;   in Loop: Header=BB52_112 Depth=2
	v_add_co_u32 v9, vcc_lo, v247, v182
	s_wait_alu 0xfffd
	v_add_co_ci_u32_e64 v10, null, 0, v248, vcc_lo
	flat_load_b128 v[9:12], v[9:10]
.LBB52_117:                             ;   in Loop: Header=BB52_112 Depth=2
	s_wait_alu 0xfffe
	s_or_b32 exec_lo, exec_lo, s77
	v_mov_b32_e32 v17, 0
	v_dual_mov_b32 v18, 0 :: v_dual_mov_b32 v19, 0
	v_or_b32_e32 v4, 2, v197
	v_mov_b32_e32 v20, 0
	s_mov_b32 s77, exec_lo
	s_delay_alu instid0(VALU_DEP_2)
	v_cmpx_gt_i32_e64 s76, v4
	s_cbranch_execz .LBB52_119
; %bb.118:                              ;   in Loop: Header=BB52_112 Depth=2
	v_add_co_u32 v17, vcc_lo, v243, v182
	s_wait_alu 0xfffd
	v_add_co_ci_u32_e64 v18, null, 0, v244, vcc_lo
	flat_load_b128 v[17:20], v[17:18] offset:-8
.LBB52_119:                             ;   in Loop: Header=BB52_112 Depth=2
	s_wait_alu 0xfffe
	s_or_b32 exec_lo, exec_lo, s77
	v_or_b32_e32 v4, 3, v197
	s_delay_alu instid0(VALU_DEP_1)
	v_cmp_gt_i32_e64 s77, s76, v4
	s_branch .LBB52_122
.LBB52_120:                             ;   in Loop: Header=BB52_112 Depth=2
	s_mov_b32 s77, 0
                                        ; implicit-def: $vgpr19_vgpr20
                                        ; implicit-def: $vgpr11_vgpr12
                                        ; implicit-def: $vgpr15_vgpr16
	s_cbranch_execz .LBB52_122
; %bb.121:                              ;   in Loop: Header=BB52_112 Depth=2
	s_wait_loadcnt_dscnt 0x0
	v_add_co_u32 v9, vcc_lo, v247, v182
	s_wait_alu 0xfffd
	v_add_co_ci_u32_e64 v10, null, 0, v248, vcc_lo
	v_add_co_u32 v17, vcc_lo, v243, v182
	s_wait_alu 0xfffd
	v_add_co_ci_u32_e64 v18, null, 0, v244, vcc_lo
	flat_load_b128 v[13:16], v[2:3]
	flat_load_b128 v[9:12], v[9:10]
	flat_load_b128 v[17:20], v[17:18] offset:-8
	s_wait_alu 0xfffe
	s_or_b32 s77, s77, exec_lo
.LBB52_122:                             ;   in Loop: Header=BB52_112 Depth=2
	v_mov_b32_e32 v21, 0
	v_dual_mov_b32 v22, 0 :: v_dual_mov_b32 v23, 0
	v_mov_b32_e32 v24, 0
	s_wait_alu 0xfffe
	s_and_saveexec_b32 s78, s77
	s_cbranch_execz .LBB52_124
; %bb.123:                              ;   in Loop: Header=BB52_112 Depth=2
	v_add_co_u32 v2, vcc_lo, v255, v182
	s_wait_alu 0xfffd
	v_add_co_ci_u32_e64 v3, null, 0, v205, vcc_lo
	flat_load_b128 v[21:24], v[2:3]
.LBB52_124:                             ;   in Loop: Header=BB52_112 Depth=2
	s_wait_alu 0xfffe
	s_or_b32 exec_lo, exec_lo, s78
	ds_load_b128 v[29:32], v183
	ds_load_b128 v[25:28], v198
	v_cndmask_b32_e64 v4, 0, 1, s22
	s_wait_loadcnt_dscnt 0x1
	v_mul_f64_e32 v[2:3], v[15:16], v[31:32]
	v_mul_f64_e32 v[33:34], v[15:16], v[29:30]
	;; [unrolled: 1-line block ×8, first 2 shown]
	v_fma_f64 v[41:42], v[13:14], v[29:30], v[2:3]
	v_fma_f64 v[43:44], v[13:14], v[31:32], -v[33:34]
	v_fma_f64 v[45:46], v[9:10], v[29:30], v[35:36]
	v_fma_f64 v[47:48], v[9:10], v[31:32], -v[37:38]
	;; [unrolled: 2-line block ×4, first 2 shown]
	ds_load_b128 v[37:40], v198 offset:16
	ds_load_b128 v[33:36], v198 offset:32
	;; [unrolled: 1-line block ×3, first 2 shown]
	v_add_co_u32 v2, vcc_lo, v216, v182
	s_wait_alu 0xfffd
	v_add_co_ci_u32_e64 v3, null, 0, v217, vcc_lo
	s_and_not1_b32 vcc_lo, exec_lo, s22
	ds_store_b128 v199, v[41:44]
	ds_store_b128 v199, v[45:48] offset:1072
	ds_store_b128 v199, v[49:52] offset:2144
	;; [unrolled: 1-line block ×3, first 2 shown]
	s_wait_dscnt 0x0
	s_barrier_signal -1
	s_barrier_wait -1
	global_inv scope:SCOPE_SE
	ds_load_b128 v[97:100], v200
	ds_load_b128 v[93:96], v200 offset:16
	ds_load_b128 v[89:92], v200 offset:32
	;; [unrolled: 1-line block ×3, first 2 shown]
	s_wait_loadcnt_dscnt 0x0
	s_barrier_signal -1
	s_barrier_wait -1
	global_inv scope:SCOPE_SE
	s_wait_alu 0xfffe
	s_cbranch_vccnz .LBB52_132
; %bb.125:                              ;   in Loop: Header=BB52_112 Depth=2
	v_mov_b32_e32 v41, 0
	v_mov_b32_e32 v45, 0
	v_mov_b32_e32 v47, 0
	v_dual_mov_b32 v42, 0 :: v_dual_add_nc_u32 v43, 16, v197
	v_mov_b32_e32 v46, 0
	v_mov_b32_e32 v48, 0
	s_mov_b32 s22, exec_lo
	s_delay_alu instid0(VALU_DEP_3)
	v_cmpx_gt_i32_e64 s76, v43
	s_cbranch_execz .LBB52_127
; %bb.126:                              ;   in Loop: Header=BB52_112 Depth=2
	flat_load_b128 v[45:48], v[2:3]
.LBB52_127:                             ;   in Loop: Header=BB52_112 Depth=2
	s_wait_alu 0xfffe
	s_or_b32 exec_lo, exec_lo, s22
	v_mov_b32_e32 v43, 0
	v_dual_mov_b32 v44, 0 :: v_dual_add_nc_u32 v49, 17, v197
	s_mov_b32 s22, exec_lo
	s_delay_alu instid0(VALU_DEP_1)
	v_cmpx_gt_i32_e64 s76, v49
	s_cbranch_execz .LBB52_129
; %bb.128:                              ;   in Loop: Header=BB52_112 Depth=2
	v_add_co_u32 v41, vcc_lo, v212, v182
	s_wait_alu 0xfffd
	v_add_co_ci_u32_e64 v42, null, 0, v213, vcc_lo
	flat_load_b128 v[41:44], v[41:42]
.LBB52_129:                             ;   in Loop: Header=BB52_112 Depth=2
	s_wait_alu 0xfffe
	s_or_b32 exec_lo, exec_lo, s22
	v_mov_b32_e32 v49, 0
	v_mov_b32_e32 v51, 0
	v_dual_mov_b32 v50, 0 :: v_dual_add_nc_u32 v53, 18, v197
	v_mov_b32_e32 v52, 0
	s_mov_b32 s22, exec_lo
	s_delay_alu instid0(VALU_DEP_2)
	v_cmpx_gt_i32_e64 s76, v53
	s_cbranch_execz .LBB52_131
; %bb.130:                              ;   in Loop: Header=BB52_112 Depth=2
	v_add_co_u32 v49, vcc_lo, v208, v182
	s_wait_alu 0xfffd
	v_add_co_ci_u32_e64 v50, null, 0, v209, vcc_lo
	flat_load_b128 v[49:52], v[49:50] offset:-8
.LBB52_131:                             ;   in Loop: Header=BB52_112 Depth=2
	s_wait_alu 0xfffe
	s_or_b32 exec_lo, exec_lo, s22
	v_add_nc_u32_e32 v53, 19, v197
	s_delay_alu instid0(VALU_DEP_1)
	v_cmp_gt_i32_e64 s22, s76, v53
	s_branch .LBB52_134
.LBB52_132:                             ;   in Loop: Header=BB52_112 Depth=2
	s_mov_b32 s22, 0
                                        ; implicit-def: $vgpr51_vgpr52
                                        ; implicit-def: $vgpr43_vgpr44
                                        ; implicit-def: $vgpr47_vgpr48
	s_cbranch_execz .LBB52_134
; %bb.133:                              ;   in Loop: Header=BB52_112 Depth=2
	s_wait_loadcnt_dscnt 0x0
	v_add_co_u32 v41, vcc_lo, v212, v182
	s_wait_alu 0xfffd
	v_add_co_ci_u32_e64 v42, null, 0, v213, vcc_lo
	v_add_co_u32 v49, vcc_lo, v208, v182
	s_wait_alu 0xfffd
	v_add_co_ci_u32_e64 v50, null, 0, v209, vcc_lo
	flat_load_b128 v[45:48], v[2:3]
	flat_load_b128 v[41:44], v[41:42]
	flat_load_b128 v[49:52], v[49:50] offset:-8
	s_wait_alu 0xfffe
	s_or_b32 s22, s22, exec_lo
.LBB52_134:                             ;   in Loop: Header=BB52_112 Depth=2
	v_mov_b32_e32 v53, 0
	v_dual_mov_b32 v54, 0 :: v_dual_mov_b32 v55, 0
	v_mov_b32_e32 v56, 0
	s_wait_alu 0xfffe
	s_and_saveexec_b32 s77, s22
	s_cbranch_execz .LBB52_136
; %bb.135:                              ;   in Loop: Header=BB52_112 Depth=2
	v_add_co_u32 v2, vcc_lo, v220, v182
	s_wait_alu 0xfffd
	v_add_co_ci_u32_e64 v3, null, 0, v221, vcc_lo
	flat_load_b128 v[53:56], v[2:3]
.LBB52_136:                             ;   in Loop: Header=BB52_112 Depth=2
	s_wait_alu 0xfffe
	s_or_b32 exec_lo, exec_lo, s77
	ds_load_b128 v[61:64], v183
	ds_load_b128 v[57:60], v198 offset:256
	v_cmp_ne_u32_e32 vcc_lo, 1, v4
	s_and_b32 vcc_lo, exec_lo, vcc_lo
	s_wait_loadcnt_dscnt 0x1
	v_mul_f64_e32 v[2:3], v[47:48], v[63:64]
	v_mul_f64_e32 v[65:66], v[47:48], v[61:62]
	;; [unrolled: 1-line block ×8, first 2 shown]
	v_fma_f64 v[73:74], v[45:46], v[61:62], v[2:3]
	v_fma_f64 v[75:76], v[45:46], v[63:64], -v[65:66]
	v_fma_f64 v[77:78], v[41:42], v[61:62], v[67:68]
	v_fma_f64 v[79:80], v[41:42], v[63:64], -v[69:70]
	;; [unrolled: 2-line block ×4, first 2 shown]
	ds_load_b128 v[69:72], v198 offset:272
	ds_load_b128 v[65:68], v198 offset:288
	;; [unrolled: 1-line block ×3, first 2 shown]
	v_add_co_u32 v2, s22, v214, v182
	s_wait_alu 0xf1ff
	v_add_co_ci_u32_e64 v3, null, 0, v215, s22
	ds_store_b128 v199, v[73:76]
	ds_store_b128 v199, v[77:80] offset:1072
	ds_store_b128 v199, v[81:84] offset:2144
	;; [unrolled: 1-line block ×3, first 2 shown]
	s_wait_dscnt 0x0
	s_barrier_signal -1
	s_barrier_wait -1
	global_inv scope:SCOPE_SE
	ds_load_b128 v[145:148], v200
	ds_load_b128 v[141:144], v200 offset:16
	ds_load_b128 v[137:140], v200 offset:32
	;; [unrolled: 1-line block ×3, first 2 shown]
	s_wait_loadcnt_dscnt 0x0
	s_barrier_signal -1
	s_barrier_wait -1
	global_inv scope:SCOPE_SE
	s_wait_alu 0xfffe
	s_cbranch_vccnz .LBB52_144
; %bb.137:                              ;   in Loop: Header=BB52_112 Depth=2
	v_mov_b32_e32 v73, 0
	v_mov_b32_e32 v77, 0
	;; [unrolled: 1-line block ×3, first 2 shown]
	v_dual_mov_b32 v74, 0 :: v_dual_add_nc_u32 v75, 32, v197
	v_mov_b32_e32 v78, 0
	v_mov_b32_e32 v80, 0
	s_mov_b32 s22, exec_lo
	s_delay_alu instid0(VALU_DEP_3)
	v_cmpx_gt_i32_e64 s76, v75
	s_cbranch_execz .LBB52_139
; %bb.138:                              ;   in Loop: Header=BB52_112 Depth=2
	flat_load_b128 v[77:80], v[2:3] offset:-8
.LBB52_139:                             ;   in Loop: Header=BB52_112 Depth=2
	s_wait_alu 0xfffe
	s_or_b32 exec_lo, exec_lo, s22
	v_mov_b32_e32 v75, 0
	v_dual_mov_b32 v76, 0 :: v_dual_add_nc_u32 v81, 33, v197
	s_mov_b32 s22, exec_lo
	s_delay_alu instid0(VALU_DEP_1)
	v_cmpx_gt_i32_e64 s76, v81
	s_cbranch_execz .LBB52_141
; %bb.140:                              ;   in Loop: Header=BB52_112 Depth=2
	v_add_co_u32 v73, vcc_lo, v218, v182
	s_wait_alu 0xfffd
	v_add_co_ci_u32_e64 v74, null, 0, v219, vcc_lo
	flat_load_b128 v[73:76], v[73:74] offset:-8
.LBB52_141:                             ;   in Loop: Header=BB52_112 Depth=2
	s_wait_alu 0xfffe
	s_or_b32 exec_lo, exec_lo, s22
	v_mov_b32_e32 v81, 0
	v_mov_b32_e32 v83, 0
	v_dual_mov_b32 v82, 0 :: v_dual_add_nc_u32 v101, 34, v197
	v_mov_b32_e32 v84, 0
	s_mov_b32 s22, exec_lo
	s_delay_alu instid0(VALU_DEP_2)
	v_cmpx_gt_i32_e64 s76, v101
	s_cbranch_execz .LBB52_143
; %bb.142:                              ;   in Loop: Header=BB52_112 Depth=2
	v_add_co_u32 v81, vcc_lo, v222, v182
	s_wait_alu 0xfffd
	v_add_co_ci_u32_e64 v82, null, 0, v223, vcc_lo
	flat_load_b128 v[81:84], v[81:82] offset:-8
.LBB52_143:                             ;   in Loop: Header=BB52_112 Depth=2
	s_wait_alu 0xfffe
	s_or_b32 exec_lo, exec_lo, s22
	v_add_nc_u32_e32 v101, 35, v197
	s_delay_alu instid0(VALU_DEP_1)
	v_cmp_gt_i32_e64 s22, s76, v101
	s_branch .LBB52_146
.LBB52_144:                             ;   in Loop: Header=BB52_112 Depth=2
	s_mov_b32 s22, 0
                                        ; implicit-def: $vgpr83_vgpr84
                                        ; implicit-def: $vgpr75_vgpr76
                                        ; implicit-def: $vgpr79_vgpr80
	s_cbranch_execz .LBB52_146
; %bb.145:                              ;   in Loop: Header=BB52_112 Depth=2
	s_wait_loadcnt_dscnt 0x0
	v_add_co_u32 v73, vcc_lo, v218, v182
	s_wait_alu 0xfffd
	v_add_co_ci_u32_e64 v74, null, 0, v219, vcc_lo
	v_add_co_u32 v81, vcc_lo, v222, v182
	s_wait_alu 0xfffd
	v_add_co_ci_u32_e64 v82, null, 0, v223, vcc_lo
	flat_load_b128 v[77:80], v[2:3] offset:-8
	flat_load_b128 v[73:76], v[73:74] offset:-8
	;; [unrolled: 1-line block ×3, first 2 shown]
	s_wait_alu 0xfffe
	s_or_b32 s22, s22, exec_lo
.LBB52_146:                             ;   in Loop: Header=BB52_112 Depth=2
	v_mov_b32_e32 v101, 0
	v_dual_mov_b32 v102, 0 :: v_dual_mov_b32 v103, 0
	v_mov_b32_e32 v104, 0
	s_wait_alu 0xfffe
	s_and_saveexec_b32 s77, s22
	s_cbranch_execz .LBB52_148
; %bb.147:                              ;   in Loop: Header=BB52_112 Depth=2
	v_add_co_u32 v2, vcc_lo, v210, v182
	s_wait_alu 0xfffd
	v_add_co_ci_u32_e64 v3, null, 0, v211, vcc_lo
	flat_load_b128 v[101:104], v[2:3] offset:-8
.LBB52_148:                             ;   in Loop: Header=BB52_112 Depth=2
	s_wait_alu 0xfffe
	s_or_b32 exec_lo, exec_lo, s77
	ds_load_b128 v[109:112], v183
	ds_load_b128 v[105:108], v198 offset:512
	v_cmp_ne_u32_e32 vcc_lo, 1, v4
	s_and_b32 vcc_lo, exec_lo, vcc_lo
	s_wait_loadcnt_dscnt 0x1
	v_mul_f64_e32 v[2:3], v[79:80], v[111:112]
	v_mul_f64_e32 v[115:116], v[79:80], v[109:110]
	;; [unrolled: 1-line block ×6, first 2 shown]
	v_fma_f64 v[113:114], v[77:78], v[109:110], v[2:3]
	v_mul_f64_e32 v[2:3], v[83:84], v[109:110]
	v_fma_f64 v[115:116], v[77:78], v[111:112], -v[115:116]
	v_fma_f64 v[117:118], v[73:74], v[109:110], v[117:118]
	v_fma_f64 v[119:120], v[73:74], v[111:112], -v[119:120]
	v_fma_f64 v[121:122], v[81:82], v[109:110], v[121:122]
	v_fma_f64 v[127:128], v[101:102], v[111:112], -v[127:128]
	ds_store_b128 v199, v[113:116]
	ds_store_b128 v199, v[117:120] offset:1072
	v_fma_f64 v[123:124], v[81:82], v[111:112], -v[2:3]
	v_mul_f64_e32 v[2:3], v[103:104], v[111:112]
	s_delay_alu instid0(VALU_DEP_1)
	v_fma_f64 v[125:126], v[101:102], v[109:110], v[2:3]
	ds_load_b128 v[113:116], v198 offset:528
	ds_load_b128 v[109:112], v198 offset:544
	ds_store_b128 v199, v[121:124] offset:2144
	ds_load_b128 v[117:120], v198 offset:560
	v_add_co_u32 v2, s22, v249, v182
	s_wait_alu 0xf1ff
	v_add_co_ci_u32_e64 v3, null, 0, v250, s22
	ds_store_b128 v199, v[125:128] offset:3216
	s_wait_dscnt 0x0
	s_barrier_signal -1
	s_barrier_wait -1
	global_inv scope:SCOPE_SE
	ds_load_b128 v[169:172], v200
	ds_load_b128 v[165:168], v200 offset:16
	ds_load_b128 v[161:164], v200 offset:32
	ds_load_b128 v[157:160], v200 offset:48
	s_wait_loadcnt_dscnt 0x0
	s_barrier_signal -1
	s_barrier_wait -1
	global_inv scope:SCOPE_SE
	s_wait_alu 0xfffe
	s_cbranch_vccnz .LBB52_156
; %bb.149:                              ;   in Loop: Header=BB52_112 Depth=2
	v_dual_mov_b32 v121, 0 :: v_dual_add_nc_u32 v4, 48, v197
	v_dual_mov_b32 v122, 0 :: v_dual_mov_b32 v125, 0
	v_dual_mov_b32 v126, 0 :: v_dual_mov_b32 v127, 0
	v_mov_b32_e32 v128, 0
	s_mov_b32 s22, exec_lo
	v_cmpx_gt_i32_e64 s76, v4
	s_cbranch_execz .LBB52_151
; %bb.150:                              ;   in Loop: Header=BB52_112 Depth=2
	flat_load_b128 v[125:128], v[2:3] offset:-8
.LBB52_151:                             ;   in Loop: Header=BB52_112 Depth=2
	s_wait_alu 0xfffe
	s_or_b32 exec_lo, exec_lo, s22
	v_dual_mov_b32 v123, 0 :: v_dual_add_nc_u32 v4, 49, v197
	v_mov_b32_e32 v124, 0
	s_mov_b32 s22, exec_lo
	s_delay_alu instid0(VALU_DEP_2)
	v_cmpx_gt_i32_e64 s76, v4
	s_cbranch_execz .LBB52_153
; %bb.152:                              ;   in Loop: Header=BB52_112 Depth=2
	v_add_co_u32 v121, vcc_lo, v253, v182
	s_wait_alu 0xfffd
	v_add_co_ci_u32_e64 v122, null, 0, v254, vcc_lo
	flat_load_b128 v[121:124], v[121:122] offset:-8
.LBB52_153:                             ;   in Loop: Header=BB52_112 Depth=2
	s_wait_alu 0xfffe
	s_or_b32 exec_lo, exec_lo, s22
	v_dual_mov_b32 v129, 0 :: v_dual_add_nc_u32 v4, 50, v197
	v_dual_mov_b32 v130, 0 :: v_dual_mov_b32 v131, 0
	v_mov_b32_e32 v132, 0
	s_mov_b32 s22, exec_lo
	s_delay_alu instid0(VALU_DEP_3)
	v_cmpx_gt_i32_e64 s76, v4
	s_cbranch_execz .LBB52_155
; %bb.154:                              ;   in Loop: Header=BB52_112 Depth=2
	v_add_co_u32 v129, vcc_lo, v206, v182
	s_wait_alu 0xfffd
	v_add_co_ci_u32_e64 v130, null, 0, v207, vcc_lo
	flat_load_b128 v[129:132], v[129:130]
.LBB52_155:                             ;   in Loop: Header=BB52_112 Depth=2
	s_wait_alu 0xfffe
	s_or_b32 exec_lo, exec_lo, s22
	v_add_nc_u32_e32 v4, 51, v197
	s_delay_alu instid0(VALU_DEP_1)
	v_cmp_gt_i32_e64 s22, s76, v4
	s_branch .LBB52_158
.LBB52_156:                             ;   in Loop: Header=BB52_112 Depth=2
	s_mov_b32 s22, 0
                                        ; implicit-def: $vgpr131_vgpr132
                                        ; implicit-def: $vgpr123_vgpr124
                                        ; implicit-def: $vgpr127_vgpr128
	s_cbranch_execz .LBB52_158
; %bb.157:                              ;   in Loop: Header=BB52_112 Depth=2
	s_wait_loadcnt_dscnt 0x0
	v_add_co_u32 v121, vcc_lo, v253, v182
	s_wait_alu 0xfffd
	v_add_co_ci_u32_e64 v122, null, 0, v254, vcc_lo
	v_add_co_u32 v129, vcc_lo, v206, v182
	s_wait_alu 0xfffd
	v_add_co_ci_u32_e64 v130, null, 0, v207, vcc_lo
	flat_load_b128 v[125:128], v[2:3] offset:-8
	flat_load_b128 v[121:124], v[121:122] offset:-8
	flat_load_b128 v[129:132], v[129:130]
	s_wait_alu 0xfffe
	s_or_b32 s22, s22, exec_lo
.LBB52_158:                             ;   in Loop: Header=BB52_112 Depth=2
	v_mov_b32_e32 v149, 0
	v_dual_mov_b32 v150, 0 :: v_dual_mov_b32 v151, 0
	v_mov_b32_e32 v152, 0
	s_wait_alu 0xfffe
	s_and_saveexec_b32 s77, s22
	s_cbranch_execz .LBB52_160
; %bb.159:                              ;   in Loop: Header=BB52_112 Depth=2
	v_add_co_u32 v2, vcc_lo, v245, v182
	s_wait_alu 0xfffd
	v_add_co_ci_u32_e64 v3, null, 0, v246, vcc_lo
	flat_load_b128 v[149:152], v[2:3] offset:-8
.LBB52_160:                             ;   in Loop: Header=BB52_112 Depth=2
	s_wait_alu 0xfffe
	s_or_b32 exec_lo, exec_lo, s77
	ds_load_b128 v[224:227], v183
	ds_load_b128 v[153:156], v198 offset:768
	v_cmp_gt_i32_e32 vcc_lo, s76, v181
	s_or_b32 s22, s67, vcc_lo
	s_wait_alu 0xfffe
	s_and_b32 s67, s21, s22
	s_wait_loadcnt_dscnt 0x1
	v_mul_f64_e32 v[2:3], v[127:128], v[226:227]
	v_mul_f64_e32 v[175:176], v[127:128], v[224:225]
	;; [unrolled: 1-line block ×4, first 2 shown]
	s_delay_alu instid0(VALU_DEP_4) | instskip(SKIP_4) | instid1(VALU_DEP_4)
	v_fma_f64 v[228:229], v[125:126], v[224:225], v[2:3]
	v_mul_f64_e32 v[2:3], v[123:124], v[226:227]
	v_fma_f64 v[230:231], v[125:126], v[226:227], -v[175:176]
	v_mul_f64_e32 v[175:176], v[123:124], v[224:225]
	v_fma_f64 v[177:178], v[129:130], v[226:227], -v[177:178]
	v_fma_f64 v[232:233], v[121:122], v[224:225], v[2:3]
	v_mul_f64_e32 v[2:3], v[131:132], v[226:227]
	s_delay_alu instid0(VALU_DEP_4) | instskip(NEXT) | instid1(VALU_DEP_2)
	v_fma_f64 v[234:235], v[121:122], v[226:227], -v[175:176]
	v_fma_f64 v[175:176], v[129:130], v[224:225], v[2:3]
	v_mul_f64_e32 v[2:3], v[151:152], v[226:227]
	v_fma_f64 v[226:227], v[149:150], v[226:227], -v[190:191]
	s_delay_alu instid0(VALU_DEP_2)
	v_fma_f64 v[224:225], v[149:150], v[224:225], v[2:3]
	v_add_f64_e32 v[2:3], 0, v[169:170]
	v_add_f64_e32 v[169:170], 0, v[171:172]
	ds_store_b128 v199, v[228:231]
	ds_store_b128 v199, v[232:235] offset:1072
	ds_store_b128 v199, v[175:178] offset:2144
	;; [unrolled: 1-line block ×3, first 2 shown]
	v_add_f64_e32 v[2:3], v[2:3], v[165:166]
	v_add_f64_e32 v[165:166], v[169:170], v[167:168]
	s_delay_alu instid0(VALU_DEP_2) | instskip(NEXT) | instid1(VALU_DEP_2)
	v_add_f64_e32 v[2:3], v[2:3], v[161:162]
	v_add_f64_e32 v[161:162], v[165:166], v[163:164]
	s_delay_alu instid0(VALU_DEP_2) | instskip(SKIP_2) | instid1(VALU_DEP_4)
	v_add_f64_e32 v[157:158], v[2:3], v[157:158]
	v_add_f64_e32 v[2:3], 0, v[97:98]
	;; [unrolled: 1-line block ×4, first 2 shown]
	s_delay_alu instid0(VALU_DEP_3) | instskip(NEXT) | instid1(VALU_DEP_3)
	v_add_f64_e32 v[2:3], v[2:3], v[93:94]
	v_add_f64_e32 v[93:94], v[97:98], v[95:96]
	s_delay_alu instid0(VALU_DEP_2) | instskip(NEXT) | instid1(VALU_DEP_2)
	v_add_f64_e32 v[2:3], v[2:3], v[89:90]
	v_add_f64_e32 v[89:90], v[93:94], v[91:92]
	s_delay_alu instid0(VALU_DEP_2) | instskip(SKIP_2) | instid1(VALU_DEP_4)
	v_add_f64_e32 v[97:98], v[2:3], v[85:86]
	v_add_f64_e32 v[85:86], 0, v[147:148]
	;; [unrolled: 1-line block ×4, first 2 shown]
	s_delay_alu instid0(VALU_DEP_3) | instskip(NEXT) | instid1(VALU_DEP_3)
	v_add_f64_e32 v[85:86], v[85:86], v[143:144]
	v_add_f64_e32 v[2:3], v[2:3], v[141:142]
	s_delay_alu instid0(VALU_DEP_2) | instskip(NEXT) | instid1(VALU_DEP_2)
	v_add_f64_e32 v[85:86], v[85:86], v[139:140]
	v_add_f64_e32 v[2:3], v[2:3], v[137:138]
	s_delay_alu instid0(VALU_DEP_2)
	v_add_f64_e32 v[135:136], v[85:86], v[135:136]
	ds_load_b128 v[93:96], v198 offset:784
	ds_load_b128 v[89:92], v198 offset:800
	;; [unrolled: 1-line block ×3, first 2 shown]
	s_wait_dscnt 0x0
	s_barrier_signal -1
	s_barrier_wait -1
	global_inv scope:SCOPE_SE
	ds_load_b128 v[137:140], v200
	ds_load_b128 v[141:144], v200 offset:16
	v_add_f64_e32 v[133:134], v[2:3], v[133:134]
	s_wait_dscnt 0x1
	v_add_f64_e32 v[2:3], 0, v[137:138]
	v_add_f64_e32 v[137:138], 0, v[139:140]
	s_wait_dscnt 0x0
	s_delay_alu instid0(VALU_DEP_2) | instskip(NEXT) | instid1(VALU_DEP_2)
	v_add_f64_e32 v[2:3], v[2:3], v[141:142]
	v_add_f64_e32 v[145:146], v[137:138], v[143:144]
	ds_load_b128 v[137:140], v200 offset:32
	ds_load_b128 v[141:144], v200 offset:48
	s_wait_loadcnt_dscnt 0x0
	s_barrier_signal -1
	s_barrier_wait -1
	global_inv scope:SCOPE_SE
	ds_store_b128 v237, v[97:100]
	ds_store_b128 v237, v[133:136] offset:256
	ds_store_b128 v237, v[157:160] offset:512
	v_add_f64_e32 v[2:3], v[2:3], v[137:138]
	v_add_f64_e32 v[139:140], v[145:146], v[139:140]
	s_delay_alu instid0(VALU_DEP_2) | instskip(NEXT) | instid1(VALU_DEP_2)
	v_add_f64_e32 v[137:138], v[2:3], v[141:142]
	v_add_f64_e32 v[139:140], v[139:140], v[143:144]
	ds_store_b128 v237, v[137:140] offset:768
	s_wait_loadcnt_dscnt 0x0
	s_barrier_signal -1
	s_barrier_wait -1
	global_inv scope:SCOPE_SE
	s_wait_alu 0xfffe
	s_and_saveexec_b32 s22, s67
	s_cbranch_execz .LBB52_162
; %bb.161:                              ;   in Loop: Header=BB52_112 Depth=2
	ds_load_b128 v[97:100], v201
	ds_load_b128 v[133:136], v201 offset:16
	s_wait_dscnt 0x0
	v_add_f64_e32 v[2:3], v[133:134], v[97:98]
	v_add_f64_e32 v[137:138], v[135:136], v[99:100]
	ds_load_b128 v[97:100], v201 offset:32
	ds_load_b128 v[133:136], v201 offset:48
	s_wait_dscnt 0x1
	v_add_f64_e32 v[2:3], v[2:3], v[97:98]
	v_add_f64_e32 v[97:98], v[137:138], v[99:100]
	s_wait_dscnt 0x0
	s_delay_alu instid0(VALU_DEP_2) | instskip(NEXT) | instid1(VALU_DEP_2)
	v_add_f64_e32 v[2:3], v[2:3], v[133:134]
	v_add_f64_e32 v[137:138], v[97:98], v[135:136]
	ds_load_b128 v[97:100], v201 offset:64
	ds_load_b128 v[133:136], v201 offset:80
	s_wait_dscnt 0x1
	v_add_f64_e32 v[2:3], v[2:3], v[97:98]
	v_add_f64_e32 v[97:98], v[137:138], v[99:100]
	s_wait_dscnt 0x0
	s_delay_alu instid0(VALU_DEP_2) | instskip(NEXT) | instid1(VALU_DEP_2)
	;; [unrolled: 9-line block ×6, first 2 shown]
	v_add_f64_e32 v[2:3], v[2:3], v[133:134]
	v_add_f64_e32 v[137:138], v[97:98], v[135:136]
	ds_load_b128 v[97:100], v201 offset:224
	ds_load_b128 v[133:136], v202
	s_wait_dscnt 0x1
	v_add_f64_e32 v[2:3], v[2:3], v[97:98]
	v_add_f64_e32 v[99:100], v[137:138], v[99:100]
	s_wait_dscnt 0x0
	s_delay_alu instid0(VALU_DEP_2) | instskip(NEXT) | instid1(VALU_DEP_2)
	v_add_f64_e32 v[97:98], v[2:3], v[133:134]
	v_add_f64_e32 v[99:100], v[99:100], v[135:136]
	v_add_nc_u32_e32 v2, s66, v181
	s_delay_alu instid0(VALU_DEP_1) | instskip(NEXT) | instid1(VALU_DEP_1)
	v_ashrrev_i32_e32 v3, 31, v2
	v_lshlrev_b64_e32 v[2:3], 4, v[2:3]
	s_delay_alu instid0(VALU_DEP_1) | instskip(SKIP_1) | instid1(VALU_DEP_2)
	v_add_co_u32 v2, vcc_lo, s64, v2
	s_wait_alu 0xfffd
	v_add_co_ci_u32_e64 v3, null, s65, v3, vcc_lo
	global_store_b128 v[2:3], v[97:100], off
.LBB52_162:                             ;   in Loop: Header=BB52_112 Depth=2
	s_wait_alu 0xfffe
	s_or_b32 exec_lo, exec_lo, s22
	v_mul_f64_e32 v[2:3], v[15:16], v[27:28]
	v_add_co_u32 v243, vcc_lo, v243, s54
	s_wait_alu 0xfffd
	v_add_co_ci_u32_e64 v244, null, s55, v244, vcc_lo
	v_add_co_u32 v245, vcc_lo, v245, s54
	s_wait_alu 0xfffd
	v_add_co_ci_u32_e64 v246, null, s55, v246, vcc_lo
	;; [unrolled: 3-line block ×9, first 2 shown]
	v_add_co_u32 v210, vcc_lo, v210, s54
	v_fma_f64 v[2:3], v[13:14], v[25:26], -v[2:3]
	v_mul_f64_e32 v[13:14], v[13:14], v[27:28]
	v_mul_f64_e32 v[27:28], v[43:44], v[71:72]
	s_wait_alu 0xfffd
	v_add_co_ci_u32_e64 v211, null, s55, v211, vcc_lo
	v_add_co_u32 v212, vcc_lo, v212, s54
	s_wait_alu 0xfffd
	v_add_co_ci_u32_e64 v213, null, s55, v213, vcc_lo
	v_add_co_u32 v214, vcc_lo, v214, s54
	;; [unrolled: 3-line block ×6, first 2 shown]
	s_wait_alu 0xfffd
	v_add_co_ci_u32_e64 v223, null, s55, v223, vcc_lo
	s_add_co_i32 s67, s75, 2
	s_add_co_i32 s22, s75, 1
	;; [unrolled: 1-line block ×3, first 2 shown]
	s_wait_alu 0xfffe
	s_cmp_ge_u32 s67, s38
	s_wait_loadcnt 0x0
	s_wait_storecnt 0x0
	s_barrier_signal -1
	s_barrier_wait -1
	global_inv scope:SCOPE_SE
	v_add_f64_e32 v[2:3], v[5:6], v[2:3]
	v_fma_f64 v[13:14], v[15:16], v[25:26], v[13:14]
	v_mul_f64_e32 v[15:16], v[11:12], v[39:40]
	v_mul_f64_e32 v[25:26], v[45:46], v[59:60]
	v_fma_f64 v[27:28], v[41:42], v[69:70], -v[27:28]
	s_delay_alu instid0(VALU_DEP_4) | instskip(NEXT) | instid1(VALU_DEP_4)
	v_add_f64_e32 v[4:5], v[7:8], v[13:14]
	v_fma_f64 v[15:16], v[9:10], v[37:38], -v[15:16]
	v_mul_f64_e32 v[9:10], v[9:10], v[39:40]
	v_fma_f64 v[25:26], v[47:48], v[57:58], v[25:26]
	v_mul_f64_e32 v[39:40], v[79:80], v[107:108]
	s_delay_alu instid0(VALU_DEP_4) | instskip(NEXT) | instid1(VALU_DEP_4)
	v_add_f64_e32 v[2:3], v[2:3], v[15:16]
	v_fma_f64 v[9:10], v[11:12], v[37:38], v[9:10]
	v_mul_f64_e32 v[11:12], v[19:20], v[35:36]
	v_mul_f64_e32 v[37:38], v[53:54], v[63:64]
	v_fma_f64 v[39:40], v[77:78], v[105:106], -v[39:40]
	s_delay_alu instid0(VALU_DEP_4) | instskip(NEXT) | instid1(VALU_DEP_4)
	v_add_f64_e32 v[4:5], v[4:5], v[9:10]
	v_fma_f64 v[11:12], v[17:18], v[33:34], -v[11:12]
	v_mul_f64_e32 v[17:18], v[17:18], v[35:36]
	v_mul_f64_e32 v[35:36], v[55:56], v[63:64]
	v_fma_f64 v[37:38], v[55:56], v[61:62], v[37:38]
	v_mul_f64_e32 v[55:56], v[127:128], v[155:156]
	v_mul_f64_e32 v[63:64], v[131:132], v[91:92]
	v_add_f64_e32 v[2:3], v[2:3], v[11:12]
	v_fma_f64 v[17:18], v[19:20], v[33:34], v[17:18]
	v_mul_f64_e32 v[19:20], v[23:24], v[31:32]
	v_mul_f64_e32 v[33:34], v[49:50], v[67:68]
	v_fma_f64 v[35:36], v[53:54], v[61:62], -v[35:36]
	v_mul_f64_e32 v[53:54], v[101:102], v[119:120]
	v_fma_f64 v[55:56], v[125:126], v[153:154], -v[55:56]
	;; [unrolled: 2-line block ×3, first 2 shown]
	v_add_f64_e32 v[4:5], v[4:5], v[17:18]
	v_fma_f64 v[19:20], v[21:22], v[29:30], -v[19:20]
	v_mul_f64_e32 v[21:22], v[21:22], v[31:32]
	v_mul_f64_e32 v[31:32], v[51:52], v[67:68]
	v_fma_f64 v[33:34], v[51:52], v[65:66], v[33:34]
	v_mul_f64_e32 v[51:52], v[103:104], v[119:120]
	v_fma_f64 v[53:54], v[103:104], v[117:118], v[53:54]
	v_fma_f64 v[61:62], v[123:124], v[93:94], v[61:62]
	v_mul_f64_e32 v[67:68], v[151:152], v[87:88]
	v_add_f64_e32 v[2:3], v[2:3], v[19:20]
	v_fma_f64 v[21:22], v[23:24], v[29:30], v[21:22]
	v_mul_f64_e32 v[23:24], v[47:48], v[59:60]
	v_mul_f64_e32 v[29:30], v[41:42], v[71:72]
	v_fma_f64 v[31:32], v[49:50], v[65:66], -v[31:32]
	v_mul_f64_e32 v[41:42], v[77:78], v[107:108]
	v_mul_f64_e32 v[47:48], v[83:84], v[111:112]
	;; [unrolled: 1-line block ×3, first 2 shown]
	v_fma_f64 v[51:52], v[101:102], v[117:118], -v[51:52]
	v_mul_f64_e32 v[59:60], v[123:124], v[95:96]
	v_mul_f64_e32 v[65:66], v[129:130], v[91:92]
	v_fma_f64 v[67:68], v[149:150], v[85:86], -v[67:68]
	v_add_f64_e32 v[4:5], v[4:5], v[21:22]
	v_fma_f64 v[23:24], v[45:46], v[57:58], -v[23:24]
	v_fma_f64 v[29:30], v[43:44], v[69:70], v[29:30]
	v_mul_f64_e32 v[43:44], v[75:76], v[115:116]
	v_fma_f64 v[41:42], v[79:80], v[105:106], v[41:42]
	v_mul_f64_e32 v[45:46], v[73:74], v[115:116]
	v_fma_f64 v[47:48], v[81:82], v[109:110], -v[47:48]
	v_fma_f64 v[49:50], v[83:84], v[109:110], v[49:50]
	v_mul_f64_e32 v[57:58], v[125:126], v[155:156]
	v_fma_f64 v[59:60], v[121:122], v[93:94], -v[59:60]
	v_fma_f64 v[65:66], v[131:132], v[89:90], v[65:66]
	v_mul_f64_e32 v[69:70], v[149:150], v[87:88]
	v_add_f64_e32 v[4:5], v[4:5], v[25:26]
	v_add_f64_e32 v[2:3], v[2:3], v[23:24]
	v_fma_f64 v[43:44], v[73:74], v[113:114], -v[43:44]
	v_fma_f64 v[45:46], v[75:76], v[113:114], v[45:46]
	v_fma_f64 v[57:58], v[127:128], v[153:154], v[57:58]
	;; [unrolled: 1-line block ×3, first 2 shown]
	v_add_f64_e32 v[4:5], v[4:5], v[29:30]
	v_add_f64_e32 v[2:3], v[2:3], v[27:28]
	s_delay_alu instid0(VALU_DEP_2) | instskip(NEXT) | instid1(VALU_DEP_2)
	v_add_f64_e32 v[4:5], v[4:5], v[33:34]
	v_add_f64_e32 v[2:3], v[2:3], v[31:32]
	s_delay_alu instid0(VALU_DEP_2) | instskip(NEXT) | instid1(VALU_DEP_2)
	;; [unrolled: 3-line block ×10, first 2 shown]
	v_add_f64_e32 v[7:8], v[7:8], v[69:70]
	v_add_f64_e32 v[5:6], v[2:3], v[67:68]
	s_cbranch_scc1 .LBB52_164
; %bb.163:                              ;   in Loop: Header=BB52_112 Depth=2
	s_mov_b32 s75, s22
	s_delay_alu instid0(SALU_CYCLE_1)
	s_cmp_eq_u32 s72, s75
	s_cselect_b32 s76, s33, 0
	s_and_saveexec_b32 s22, s0
	s_cbranch_execnz .LBB52_108
	s_branch .LBB52_112
.LBB52_164:                             ;   in Loop: Header=BB52_4 Depth=1
	scratch_load_b32 v2, off, off           ; 4-byte Folded Reload
	s_wait_loadcnt 0x0
	ds_store_b128 v2, v[5:8]
	s_wait_dscnt 0x0
	s_barrier_signal -1
	s_barrier_wait -1
	global_inv scope:SCOPE_SE
	s_and_saveexec_b32 s22, s73
	s_cbranch_execz .LBB52_2
; %bb.165:                              ;   in Loop: Header=BB52_4 Depth=1
	ds_load_b128 v[2:5], v182 offset:1072
	ds_load_b128 v[6:9], v182
	s_wait_dscnt 0x0
	v_add_f64_e32 v[10:11], v[2:3], v[6:7]
	v_add_f64_e32 v[12:13], v[4:5], v[8:9]
	ds_load_b128 v[2:5], v182 offset:2144
	ds_load_b128 v[6:9], v182 offset:3216
	s_wait_dscnt 0x1
	v_add_f64_e32 v[2:3], v[10:11], v[2:3]
	v_add_f64_e32 v[4:5], v[12:13], v[4:5]
	s_wait_dscnt 0x0
	s_delay_alu instid0(VALU_DEP_2)
	v_add_f64_e32 v[2:3], v[2:3], v[6:7]
	scratch_load_b64 v[6:7], off, off offset:132 ; 8-byte Folded Reload
	v_add_f64_e32 v[4:5], v[4:5], v[8:9]
	s_wait_loadcnt 0x0
	s_wait_alu 0xfffe
	v_add_co_u32 v6, vcc_lo, s64, v6
	s_wait_alu 0xfffd
	v_add_co_ci_u32_e64 v7, null, s65, v7, vcc_lo
	global_store_b128 v[6:7], v[2:5], off
	s_branch .LBB52_2
.LBB52_166:                             ;   in Loop: Header=BB52_4 Depth=1
	ds_load_b128 v[2:5], v240
	s_mov_b32 s22, exec_lo
	s_wait_dscnt 0x0
	v_xor_b32_e32 v5, 0x80000000, v5
	ds_store_b64 v193, v[2:3]
	s_wait_alu 0xfffe
	s_or_saveexec_b32 s64, s64
	v_mov_b32_e32 v2, v193
	s_wait_alu 0xfffe
	s_xor_b32 exec_lo, exec_lo, s64
	s_cbranch_execz .LBB52_34
.LBB52_167:                             ;   in Loop: Header=BB52_4 Depth=1
	v_mov_b32_e32 v4, 0
	v_dual_mov_b32 v5, 0 :: v_dual_mov_b32 v2, v188
	s_and_not1_b32 s22, s22, exec_lo
	s_and_b32 s65, s9, exec_lo
	s_wait_alu 0xfffe
	s_or_b32 s22, s22, s65
	s_or_b32 exec_lo, exec_lo, s64
	s_wait_alu 0xfffe
	s_and_saveexec_b32 s64, s22
	s_cbranch_execnz .LBB52_35
	s_branch .LBB52_36
.LBB52_168:                             ;   in Loop: Header=BB52_4 Depth=1
	ds_load_b128 v[9:12], v240
	s_mov_b32 s22, exec_lo
	s_wait_dscnt 0x0
	v_xor_b32_e32 v12, 0x80000000, v12
	ds_store_b64 v193, v[9:10]
	s_wait_alu 0xfffe
	s_or_saveexec_b32 s64, s64
	v_mov_b32_e32 v2, v193
	s_wait_alu 0xfffe
	s_xor_b32 exec_lo, exec_lo, s64
	s_cbranch_execz .LBB52_72
.LBB52_169:                             ;   in Loop: Header=BB52_4 Depth=1
	v_dual_mov_b32 v11, 0 :: v_dual_mov_b32 v2, v188
	v_mov_b32_e32 v12, 0
	s_and_not1_b32 s22, s22, exec_lo
	s_and_b32 s65, s9, exec_lo
	s_wait_alu 0xfffe
	s_or_b32 s22, s22, s65
	s_or_b32 exec_lo, exec_lo, s64
	s_wait_alu 0xfffe
	s_and_saveexec_b32 s64, s22
	s_cbranch_execnz .LBB52_73
	s_branch .LBB52_74
.LBB52_170:                             ;   in Loop: Header=BB52_4 Depth=1
	flat_load_b128 v[9:12], v[7:8]
	s_wait_loadcnt_dscnt 0x0
	ds_store_2addr_b64 v184, v[9:10], v[11:12] offset1:1
	s_or_b32 exec_lo, exec_lo, s22
	s_and_saveexec_b32 s22, s3
	s_wait_alu 0xfffe
	s_xor_b32 s22, exec_lo, s22
	s_cbranch_execz .LBB52_17
.LBB52_171:                             ;   in Loop: Header=BB52_4 Depth=1
	v_dual_mov_b32 v2, v1 :: v_dual_mov_b32 v3, v1
	v_mov_b32_e32 v4, v1
	ds_store_b128 v236, v[1:4]
	s_wait_alu 0xfffe
	s_and_not1_saveexec_b32 s22, s22
	s_cbranch_execz .LBB52_18
.LBB52_172:                             ;   in Loop: Header=BB52_4 Depth=1
	v_add_co_u32 v2, vcc_lo, v7, s46
	s_wait_alu 0xfffd
	v_add_co_ci_u32_e64 v3, null, s47, v8, vcc_lo
	flat_load_b128 v[9:12], v[2:3]
	s_wait_loadcnt_dscnt 0x0
	ds_store_2addr_b64 v236, v[9:10], v[11:12] offset1:1
	s_wait_alu 0xfffe
	s_or_b32 exec_lo, exec_lo, s22
	s_and_saveexec_b32 s22, s4
	s_wait_alu 0xfffe
	s_xor_b32 s22, exec_lo, s22
	s_cbranch_execz .LBB52_19
.LBB52_173:                             ;   in Loop: Header=BB52_4 Depth=1
	v_dual_mov_b32 v2, v1 :: v_dual_mov_b32 v3, v1
	v_mov_b32_e32 v4, v1
	ds_store_b128 v203, v[1:4]
	s_wait_alu 0xfffe
	s_and_not1_saveexec_b32 s22, s22
	s_cbranch_execz .LBB52_20
.LBB52_174:                             ;   in Loop: Header=BB52_4 Depth=1
	v_add_co_u32 v2, vcc_lo, v7, s48
	s_wait_alu 0xfffd
	v_add_co_ci_u32_e64 v3, null, s49, v8, vcc_lo
	flat_load_b128 v[9:12], v[2:3]
	s_wait_loadcnt_dscnt 0x0
	ds_store_2addr_b64 v203, v[9:10], v[11:12] offset1:1
	s_wait_alu 0xfffe
	s_or_b32 exec_lo, exec_lo, s22
	s_and_saveexec_b32 s22, s5
	s_wait_alu 0xfffe
	s_xor_b32 s22, exec_lo, s22
	s_cbranch_execz .LBB52_21
.LBB52_175:                             ;   in Loop: Header=BB52_4 Depth=1
	v_dual_mov_b32 v2, v1 :: v_dual_mov_b32 v3, v1
	v_mov_b32_e32 v4, v1
	ds_store_b128 v187, v[1:4]
	s_wait_alu 0xfffe
	s_and_not1_saveexec_b32 s22, s22
	s_cbranch_execnz .LBB52_22
	s_branch .LBB52_23
.LBB52_176:                             ;   in Loop: Header=BB52_4 Depth=1
	flat_load_b128 v[17:20], v[11:12]
	s_wait_loadcnt_dscnt 0x0
	ds_store_2addr_b64 v184, v[17:18], v[19:20] offset1:1
	s_or_b32 exec_lo, exec_lo, s22
	s_and_saveexec_b32 s22, s17
	s_wait_alu 0xfffe
	s_xor_b32 s22, exec_lo, s22
	s_cbranch_execz .LBB52_55
.LBB52_177:                             ;   in Loop: Header=BB52_4 Depth=1
	v_dual_mov_b32 v2, v1 :: v_dual_mov_b32 v3, v1
	v_mov_b32_e32 v4, v1
	ds_store_b128 v236, v[1:4]
	s_wait_alu 0xfffe
	s_and_not1_saveexec_b32 s22, s22
	s_cbranch_execz .LBB52_56
.LBB52_178:                             ;   in Loop: Header=BB52_4 Depth=1
	v_add_co_u32 v2, vcc_lo, v11, s46
	s_wait_alu 0xfffd
	v_add_co_ci_u32_e64 v3, null, s47, v12, vcc_lo
	flat_load_b128 v[17:20], v[2:3]
	s_wait_loadcnt_dscnt 0x0
	ds_store_2addr_b64 v236, v[17:18], v[19:20] offset1:1
	s_wait_alu 0xfffe
	s_or_b32 exec_lo, exec_lo, s22
	s_and_saveexec_b32 s22, s18
	s_wait_alu 0xfffe
	s_xor_b32 s22, exec_lo, s22
	s_cbranch_execz .LBB52_57
.LBB52_179:                             ;   in Loop: Header=BB52_4 Depth=1
	v_dual_mov_b32 v2, v1 :: v_dual_mov_b32 v3, v1
	v_mov_b32_e32 v4, v1
	ds_store_b128 v203, v[1:4]
	s_wait_alu 0xfffe
	s_and_not1_saveexec_b32 s22, s22
	s_cbranch_execz .LBB52_58
.LBB52_180:                             ;   in Loop: Header=BB52_4 Depth=1
	v_add_co_u32 v2, vcc_lo, v11, s48
	s_wait_alu 0xfffd
	v_add_co_ci_u32_e64 v3, null, s49, v12, vcc_lo
	flat_load_b128 v[17:20], v[2:3]
	s_wait_loadcnt_dscnt 0x0
	ds_store_2addr_b64 v203, v[17:18], v[19:20] offset1:1
	s_wait_alu 0xfffe
	s_or_b32 exec_lo, exec_lo, s22
	s_and_saveexec_b32 s22, s19
	s_wait_alu 0xfffe
	s_xor_b32 s22, exec_lo, s22
	s_cbranch_execz .LBB52_59
.LBB52_181:                             ;   in Loop: Header=BB52_4 Depth=1
	v_dual_mov_b32 v2, v1 :: v_dual_mov_b32 v3, v1
	v_mov_b32_e32 v4, v1
	ds_store_b128 v187, v[1:4]
	s_wait_alu 0xfffe
	s_and_not1_saveexec_b32 s22, s22
	s_cbranch_execnz .LBB52_60
	s_branch .LBB52_61
.LBB52_182:                             ;   in Loop: Header=BB52_4 Depth=1
	flat_load_b128 v[15:18], v[11:12]
	s_wait_loadcnt_dscnt 0x0
	ds_store_2addr_b64 v184, v[15:16], v[17:18] offset1:1
	s_or_b32 exec_lo, exec_lo, s22
	s_and_saveexec_b32 s22, s17
	s_wait_alu 0xfffe
	s_xor_b32 s22, exec_lo, s22
	s_cbranch_execz .LBB52_93
.LBB52_183:                             ;   in Loop: Header=BB52_4 Depth=1
	v_dual_mov_b32 v2, v1 :: v_dual_mov_b32 v3, v1
	v_mov_b32_e32 v4, v1
	ds_store_b128 v236, v[1:4]
	s_wait_alu 0xfffe
	s_and_not1_saveexec_b32 s22, s22
	s_cbranch_execz .LBB52_94
.LBB52_184:                             ;   in Loop: Header=BB52_4 Depth=1
	v_add_co_u32 v2, vcc_lo, v11, s46
	s_wait_alu 0xfffd
	v_add_co_ci_u32_e64 v3, null, s47, v12, vcc_lo
	flat_load_b128 v[15:18], v[2:3]
	s_wait_loadcnt_dscnt 0x0
	ds_store_2addr_b64 v236, v[15:16], v[17:18] offset1:1
	s_wait_alu 0xfffe
	s_or_b32 exec_lo, exec_lo, s22
	s_and_saveexec_b32 s22, s18
	s_wait_alu 0xfffe
	s_xor_b32 s22, exec_lo, s22
	s_cbranch_execz .LBB52_95
.LBB52_185:                             ;   in Loop: Header=BB52_4 Depth=1
	v_dual_mov_b32 v2, v1 :: v_dual_mov_b32 v3, v1
	v_mov_b32_e32 v4, v1
	ds_store_b128 v203, v[1:4]
	s_wait_alu 0xfffe
	s_and_not1_saveexec_b32 s22, s22
	s_cbranch_execz .LBB52_96
.LBB52_186:                             ;   in Loop: Header=BB52_4 Depth=1
	v_add_co_u32 v2, vcc_lo, v11, s48
	s_wait_alu 0xfffd
	v_add_co_ci_u32_e64 v3, null, s49, v12, vcc_lo
	flat_load_b128 v[15:18], v[2:3]
	s_wait_loadcnt_dscnt 0x0
	ds_store_2addr_b64 v203, v[15:16], v[17:18] offset1:1
	s_wait_alu 0xfffe
	s_or_b32 exec_lo, exec_lo, s22
	s_and_saveexec_b32 s22, s19
	s_wait_alu 0xfffe
	s_xor_b32 s22, exec_lo, s22
	s_cbranch_execz .LBB52_97
.LBB52_187:                             ;   in Loop: Header=BB52_4 Depth=1
	v_dual_mov_b32 v2, v1 :: v_dual_mov_b32 v3, v1
	v_mov_b32_e32 v4, v1
	ds_store_b128 v187, v[1:4]
	s_wait_alu 0xfffe
	s_and_not1_saveexec_b32 s22, s22
	s_cbranch_execnz .LBB52_98
	s_branch .LBB52_99
.LBB52_188:
	s_nop 0
	s_sendmsg sendmsg(MSG_DEALLOC_VGPRS)
	s_endpgm
	.section	.rodata,"a",@progbits
	.p2align	6, 0x0
	.amdhsa_kernel _ZL26rocblas_hemvn_kernel_upperILb1ELi64ELi4ELi33ELi32ELi16El19rocblas_complex_numIdEPKPKS1_PS1_EviT6_lT7_lT5_lS8_lS9_lS7_lT8_i
		.amdhsa_group_segment_fixed_size 19200
		.amdhsa_private_segment_fixed_size 144
		.amdhsa_kernarg_size 392
		.amdhsa_user_sgpr_count 2
		.amdhsa_user_sgpr_dispatch_ptr 0
		.amdhsa_user_sgpr_queue_ptr 0
		.amdhsa_user_sgpr_kernarg_segment_ptr 1
		.amdhsa_user_sgpr_dispatch_id 0
		.amdhsa_user_sgpr_private_segment_size 0
		.amdhsa_wavefront_size32 1
		.amdhsa_uses_dynamic_stack 0
		.amdhsa_enable_private_segment 1
		.amdhsa_system_sgpr_workgroup_id_x 1
		.amdhsa_system_sgpr_workgroup_id_y 0
		.amdhsa_system_sgpr_workgroup_id_z 1
		.amdhsa_system_sgpr_workgroup_info 0
		.amdhsa_system_vgpr_workitem_id 1
		.amdhsa_next_free_vgpr 256
		.amdhsa_next_free_sgpr 80
		.amdhsa_reserve_vcc 1
		.amdhsa_float_round_mode_32 0
		.amdhsa_float_round_mode_16_64 0
		.amdhsa_float_denorm_mode_32 3
		.amdhsa_float_denorm_mode_16_64 3
		.amdhsa_fp16_overflow 0
		.amdhsa_workgroup_processor_mode 1
		.amdhsa_memory_ordered 1
		.amdhsa_forward_progress 1
		.amdhsa_inst_pref_size 111
		.amdhsa_round_robin_scheduling 0
		.amdhsa_exception_fp_ieee_invalid_op 0
		.amdhsa_exception_fp_denorm_src 0
		.amdhsa_exception_fp_ieee_div_zero 0
		.amdhsa_exception_fp_ieee_overflow 0
		.amdhsa_exception_fp_ieee_underflow 0
		.amdhsa_exception_fp_ieee_inexact 0
		.amdhsa_exception_int_div_zero 0
	.end_amdhsa_kernel
	.section	.text._ZL26rocblas_hemvn_kernel_upperILb1ELi64ELi4ELi33ELi32ELi16El19rocblas_complex_numIdEPKPKS1_PS1_EviT6_lT7_lT5_lS8_lS9_lS7_lT8_i,"axG",@progbits,_ZL26rocblas_hemvn_kernel_upperILb1ELi64ELi4ELi33ELi32ELi16El19rocblas_complex_numIdEPKPKS1_PS1_EviT6_lT7_lT5_lS8_lS9_lS7_lT8_i,comdat
.Lfunc_end52:
	.size	_ZL26rocblas_hemvn_kernel_upperILb1ELi64ELi4ELi33ELi32ELi16El19rocblas_complex_numIdEPKPKS1_PS1_EviT6_lT7_lT5_lS8_lS9_lS7_lT8_i, .Lfunc_end52-_ZL26rocblas_hemvn_kernel_upperILb1ELi64ELi4ELi33ELi32ELi16El19rocblas_complex_numIdEPKPKS1_PS1_EviT6_lT7_lT5_lS8_lS9_lS7_lT8_i
                                        ; -- End function
	.set _ZL26rocblas_hemvn_kernel_upperILb1ELi64ELi4ELi33ELi32ELi16El19rocblas_complex_numIdEPKPKS1_PS1_EviT6_lT7_lT5_lS8_lS9_lS7_lT8_i.num_vgpr, 256
	.set _ZL26rocblas_hemvn_kernel_upperILb1ELi64ELi4ELi33ELi32ELi16El19rocblas_complex_numIdEPKPKS1_PS1_EviT6_lT7_lT5_lS8_lS9_lS7_lT8_i.num_agpr, 0
	.set _ZL26rocblas_hemvn_kernel_upperILb1ELi64ELi4ELi33ELi32ELi16El19rocblas_complex_numIdEPKPKS1_PS1_EviT6_lT7_lT5_lS8_lS9_lS7_lT8_i.numbered_sgpr, 80
	.set _ZL26rocblas_hemvn_kernel_upperILb1ELi64ELi4ELi33ELi32ELi16El19rocblas_complex_numIdEPKPKS1_PS1_EviT6_lT7_lT5_lS8_lS9_lS7_lT8_i.num_named_barrier, 0
	.set _ZL26rocblas_hemvn_kernel_upperILb1ELi64ELi4ELi33ELi32ELi16El19rocblas_complex_numIdEPKPKS1_PS1_EviT6_lT7_lT5_lS8_lS9_lS7_lT8_i.private_seg_size, 144
	.set _ZL26rocblas_hemvn_kernel_upperILb1ELi64ELi4ELi33ELi32ELi16El19rocblas_complex_numIdEPKPKS1_PS1_EviT6_lT7_lT5_lS8_lS9_lS7_lT8_i.uses_vcc, 1
	.set _ZL26rocblas_hemvn_kernel_upperILb1ELi64ELi4ELi33ELi32ELi16El19rocblas_complex_numIdEPKPKS1_PS1_EviT6_lT7_lT5_lS8_lS9_lS7_lT8_i.uses_flat_scratch, 1
	.set _ZL26rocblas_hemvn_kernel_upperILb1ELi64ELi4ELi33ELi32ELi16El19rocblas_complex_numIdEPKPKS1_PS1_EviT6_lT7_lT5_lS8_lS9_lS7_lT8_i.has_dyn_sized_stack, 0
	.set _ZL26rocblas_hemvn_kernel_upperILb1ELi64ELi4ELi33ELi32ELi16El19rocblas_complex_numIdEPKPKS1_PS1_EviT6_lT7_lT5_lS8_lS9_lS7_lT8_i.has_recursion, 0
	.set _ZL26rocblas_hemvn_kernel_upperILb1ELi64ELi4ELi33ELi32ELi16El19rocblas_complex_numIdEPKPKS1_PS1_EviT6_lT7_lT5_lS8_lS9_lS7_lT8_i.has_indirect_call, 0
	.section	.AMDGPU.csdata,"",@progbits
; Kernel info:
; codeLenInByte = 14092
; TotalNumSgprs: 82
; NumVgprs: 256
; ScratchSize: 144
; MemoryBound: 1
; FloatMode: 240
; IeeeMode: 1
; LDSByteSize: 19200 bytes/workgroup (compile time only)
; SGPRBlocks: 0
; VGPRBlocks: 31
; NumSGPRsForWavesPerEU: 82
; NumVGPRsForWavesPerEU: 256
; Occupancy: 5
; WaveLimiterHint : 1
; COMPUTE_PGM_RSRC2:SCRATCH_EN: 1
; COMPUTE_PGM_RSRC2:USER_SGPR: 2
; COMPUTE_PGM_RSRC2:TRAP_HANDLER: 0
; COMPUTE_PGM_RSRC2:TGID_X_EN: 1
; COMPUTE_PGM_RSRC2:TGID_Y_EN: 0
; COMPUTE_PGM_RSRC2:TGID_Z_EN: 1
; COMPUTE_PGM_RSRC2:TIDIG_COMP_CNT: 1
	.section	.text._ZL36rocblas_hemvn_kernel_upper_block_sumILi64El19rocblas_complex_numIdEPKPS1_S1_EviT1_lS5_lT2_lT0_lPT3_i,"axG",@progbits,_ZL36rocblas_hemvn_kernel_upper_block_sumILi64El19rocblas_complex_numIdEPKPS1_S1_EviT1_lS5_lT2_lT0_lPT3_i,comdat
	.globl	_ZL36rocblas_hemvn_kernel_upper_block_sumILi64El19rocblas_complex_numIdEPKPS1_S1_EviT1_lS5_lT2_lT0_lPT3_i ; -- Begin function _ZL36rocblas_hemvn_kernel_upper_block_sumILi64El19rocblas_complex_numIdEPKPS1_S1_EviT1_lS5_lT2_lT0_lPT3_i
	.p2align	8
	.type	_ZL36rocblas_hemvn_kernel_upper_block_sumILi64El19rocblas_complex_numIdEPKPS1_S1_EviT1_lS5_lT2_lT0_lPT3_i,@function
_ZL36rocblas_hemvn_kernel_upper_block_sumILi64El19rocblas_complex_numIdEPKPS1_S1_EviT1_lS5_lT2_lT0_lPT3_i: ; @_ZL36rocblas_hemvn_kernel_upper_block_sumILi64El19rocblas_complex_numIdEPKPS1_S1_EviT1_lS5_lT2_lT0_lPT3_i
; %bb.0:
	s_load_b32 s22, s[0:1], 0x60
	s_lshr_b32 s2, ttmp7, 16
	s_wait_kmcnt 0x0
	s_cmp_ge_u32 s2, s22
	s_cbranch_scc1 .LBB53_24
; %bb.1:
	s_clause 0x5
	s_load_b128 s[4:7], s[0:1], 0x8
	s_load_b128 s[8:11], s[0:1], 0x20
	;; [unrolled: 1-line block ×3, first 2 shown]
	s_load_b32 s18, s[0:1], 0x0
	s_load_b64 s[20:21], s[0:1], 0x58
	s_load_b64 s[16:17], s[0:1], 0x38
	v_lshl_or_b32 v0, ttmp9, 6, v0
	s_delay_alu instid0(VALU_DEP_1) | instskip(NEXT) | instid1(VALU_DEP_1)
	v_ashrrev_i32_e32 v1, 31, v0
	v_lshlrev_b64_e32 v[2:3], 4, v[0:1]
	s_wait_kmcnt 0x0
	v_cmp_neq_f64_e64 s3, s[4:5], 0
	v_cmp_neq_f64_e64 s23, s[6:7], 0
	;; [unrolled: 1-line block ×4, first 2 shown]
	v_cmp_neq_f64_e64 s25, s[8:9], 1.0
	v_mul_lo_u32 v1, s14, v1
	v_mul_lo_u32 v4, s15, v0
	v_mad_co_u64_u32 v[6:7], null, s14, v0, 0
	s_add_nc_u64 s[14:15], s[0:1], 0x68
	v_cmp_gt_i32_e64 s0, s18, v0
	v_add_co_u32 v0, vcc_lo, s20, v2
	s_delay_alu instid0(VALU_DEP_1) | instskip(SKIP_2) | instid1(VALU_DEP_3)
	v_add_co_ci_u32_e64 v2, null, s21, v3, vcc_lo
	v_add3_u32 v7, v7, v1, v4
	s_ashr_i32 s19, s18, 31
	v_add_co_u32 v4, vcc_lo, v0, 8
	s_wait_alu 0xfffd
	v_add_co_ci_u32_e64 v5, null, 0, v2, vcc_lo
	v_lshlrev_b64_e32 v[6:7], 4, v[6:7]
	s_or_b32 s3, s3, s23
	s_or_b32 s20, s24, s26
	s_xor_b32 s1, s3, -1
	s_wait_alu 0xfffe
	s_xor_b32 s23, s20, -1
	s_cmp_gt_i32 ttmp9, -1
	v_cndmask_b32_e64 v10, 0, 1, s20
	s_cselect_b32 s24, -1, 0
	s_or_b32 s3, s3, s25
	s_add_co_i32 s25, ttmp9, 1
	s_or_b32 s26, s3, s26
	s_lshl_b64 s[18:19], s[18:19], 4
	s_mov_b32 s3, 0
	s_lshl_b64 s[12:13], s[12:13], 4
	s_branch .LBB53_4
.LBB53_2:                               ;   in Loop: Header=BB53_4 Depth=1
	s_or_b32 exec_lo, exec_lo, s28
.LBB53_3:                               ;   in Loop: Header=BB53_4 Depth=1
	s_add_co_i32 s2, s2, 0x10000
	s_wait_alu 0xfffe
	s_cmp_lt_u32 s2, s22
	s_cbranch_scc0 .LBB53_24
.LBB53_4:                               ; =>This Loop Header: Depth=1
                                        ;     Child Loop BB53_15 Depth 2
	s_and_not1_b32 vcc_lo, exec_lo, s26
	s_wait_alu 0xfffe
	s_cbranch_vccnz .LBB53_3
; %bb.5:                                ;   in Loop: Header=BB53_4 Depth=1
	s_lshl_b64 s[20:21], s[2:3], 3
	s_and_not1_b32 vcc_lo, exec_lo, s1
	s_wait_alu 0xfffe
	s_add_nc_u64 s[20:21], s[16:17], s[20:21]
	s_load_b64 s[20:21], s[20:21], 0x0
	s_wait_kmcnt 0x0
	s_add_nc_u64 s[20:21], s[20:21], s[12:13]
	s_cbranch_vccnz .LBB53_10
; %bb.6:                                ;   in Loop: Header=BB53_4 Depth=1
	s_mov_b32 s28, 0
	s_mov_b32 s27, 0
                                        ; implicit-def: $vgpr2_vgpr3
	s_and_saveexec_b32 s29, s0
	s_cbranch_execz .LBB53_11
; %bb.7:                                ;   in Loop: Header=BB53_4 Depth=1
	v_cmp_ne_u32_e32 vcc_lo, 1, v10
	v_mov_b32_e32 v2, 0
	v_dual_mov_b32 v3, 0 :: v_dual_mov_b32 v0, 0
	v_mov_b32_e32 v1, 0
	s_cbranch_vccnz .LBB53_9
; %bb.8:                                ;   in Loop: Header=BB53_4 Depth=1
	s_wait_alu 0xfffe
	v_add_co_u32 v0, vcc_lo, s20, v6
	s_wait_alu 0xfffd
	v_add_co_ci_u32_e64 v1, null, s21, v7, vcc_lo
	flat_load_b128 v[11:14], v[0:1]
	s_wait_loadcnt_dscnt 0x0
	v_mul_f64_e32 v[0:1], s[10:11], v[13:14]
	v_mul_f64_e32 v[2:3], s[8:9], v[13:14]
	s_delay_alu instid0(VALU_DEP_2) | instskip(NEXT) | instid1(VALU_DEP_2)
	v_fma_f64 v[0:1], s[8:9], v[11:12], -v[0:1]
	v_fma_f64 v[2:3], s[10:11], v[11:12], v[2:3]
.LBB53_9:                               ;   in Loop: Header=BB53_4 Depth=1
	s_mov_b32 s27, exec_lo
	s_or_b32 exec_lo, exec_lo, s29
	s_delay_alu instid0(SALU_CYCLE_1)
	s_and_b32 vcc_lo, exec_lo, s28
	s_wait_alu 0xfffe
	s_cbranch_vccnz .LBB53_12
	s_branch .LBB53_22
.LBB53_10:                              ;   in Loop: Header=BB53_4 Depth=1
	s_mov_b32 s27, 0
                                        ; implicit-def: $vgpr2_vgpr3
	s_cbranch_execnz .LBB53_12
	s_branch .LBB53_22
.LBB53_11:                              ;   in Loop: Header=BB53_4 Depth=1
	s_or_b32 exec_lo, exec_lo, s29
	s_delay_alu instid0(SALU_CYCLE_1)
	s_and_b32 vcc_lo, exec_lo, s28
	s_wait_alu 0xfffe
	s_cbranch_vccz .LBB53_22
.LBB53_12:                              ;   in Loop: Header=BB53_4 Depth=1
                                        ; implicit-def: $vgpr2_vgpr3
	s_and_saveexec_b32 s28, s0
	s_cbranch_execz .LBB53_21
; %bb.13:                               ;   in Loop: Header=BB53_4 Depth=1
	v_mov_b32_e32 v0, 0
	v_dual_mov_b32 v1, 0 :: v_dual_mov_b32 v2, 0
	v_mov_b32_e32 v3, 0
	s_and_not1_b32 vcc_lo, exec_lo, s24
	s_wait_alu 0xfffe
	s_cbranch_vccnz .LBB53_16
; %bb.14:                               ;   in Loop: Header=BB53_4 Depth=1
	s_load_b32 s30, s[14:15], 0x0
	s_mov_b32 s31, s3
	v_mov_b32_e32 v2, 0
	s_mov_b32 s29, s25
	v_mov_b32_e32 v3, 0
	s_wait_kmcnt 0x0
	s_wait_alu 0xfffe
	s_mul_u64 s[30:31], s[18:19], s[30:31]
	s_wait_alu 0xfffe
	v_mad_co_u64_u32 v[8:9], null, s30, s2, v[4:5]
	s_delay_alu instid0(VALU_DEP_1) | instskip(NEXT) | instid1(VALU_DEP_1)
	v_mov_b32_e32 v0, v9
	v_mad_co_u64_u32 v[11:12], null, s31, s2, v[0:1]
	v_mov_b32_e32 v0, 0
	v_mov_b32_e32 v1, 0
	s_delay_alu instid0(VALU_DEP_3)
	v_mov_b32_e32 v9, v11
.LBB53_15:                              ;   Parent Loop BB53_4 Depth=1
                                        ; =>  This Inner Loop Header: Depth=2
	global_load_b128 v[11:14], v[8:9], off offset:-8
	v_add_co_u32 v8, vcc_lo, v8, s18
	s_wait_alu 0xfffd
	v_add_co_ci_u32_e64 v9, null, s19, v9, vcc_lo
	s_add_co_i32 s29, s29, -1
	s_delay_alu instid0(SALU_CYCLE_1)
	s_cmp_eq_u32 s29, 0
	s_wait_loadcnt 0x0
	v_add_f64_e32 v[2:3], v[2:3], v[11:12]
	v_add_f64_e32 v[0:1], v[0:1], v[13:14]
	s_cbranch_scc0 .LBB53_15
.LBB53_16:                              ;   in Loop: Header=BB53_4 Depth=1
	s_delay_alu instid0(VALU_DEP_1) | instskip(SKIP_3) | instid1(VALU_DEP_2)
	v_mul_f64_e32 v[8:9], s[6:7], v[0:1]
	v_mul_f64_e32 v[11:12], s[4:5], v[0:1]
	s_and_b32 vcc_lo, exec_lo, s23
	s_mov_b32 s29, -1
	v_fma_f64 v[0:1], s[4:5], v[2:3], -v[8:9]
	s_delay_alu instid0(VALU_DEP_2)
	v_fma_f64 v[2:3], s[6:7], v[2:3], v[11:12]
	s_wait_alu 0xfffe
	s_cbranch_vccz .LBB53_18
; %bb.17:                               ;   in Loop: Header=BB53_4 Depth=1
	s_mov_b32 s29, 0
.LBB53_18:                              ;   in Loop: Header=BB53_4 Depth=1
	s_delay_alu instid0(SALU_CYCLE_1)
	s_and_not1_b32 vcc_lo, exec_lo, s29
	s_wait_alu 0xfffe
	s_cbranch_vccnz .LBB53_20
; %bb.19:                               ;   in Loop: Header=BB53_4 Depth=1
	v_add_co_u32 v8, vcc_lo, s20, v6
	s_wait_alu 0xfffd
	v_add_co_ci_u32_e64 v9, null, s21, v7, vcc_lo
	flat_load_b128 v[11:14], v[8:9]
	s_wait_loadcnt_dscnt 0x0
	v_mul_f64_e32 v[8:9], s[10:11], v[13:14]
	v_mul_f64_e32 v[13:14], s[8:9], v[13:14]
	s_delay_alu instid0(VALU_DEP_2) | instskip(NEXT) | instid1(VALU_DEP_2)
	v_fma_f64 v[8:9], s[8:9], v[11:12], -v[8:9]
	v_fma_f64 v[11:12], s[10:11], v[11:12], v[13:14]
	s_delay_alu instid0(VALU_DEP_2) | instskip(NEXT) | instid1(VALU_DEP_2)
	v_add_f64_e32 v[0:1], v[0:1], v[8:9]
	v_add_f64_e32 v[2:3], v[2:3], v[11:12]
.LBB53_20:                              ;   in Loop: Header=BB53_4 Depth=1
	s_or_b32 s27, s27, exec_lo
.LBB53_21:                              ;   in Loop: Header=BB53_4 Depth=1
	s_or_b32 exec_lo, exec_lo, s28
.LBB53_22:                              ;   in Loop: Header=BB53_4 Depth=1
	s_and_saveexec_b32 s28, s27
	s_cbranch_execz .LBB53_2
; %bb.23:                               ;   in Loop: Header=BB53_4 Depth=1
	s_wait_alu 0xfffe
	v_add_co_u32 v8, vcc_lo, s20, v6
	s_wait_alu 0xfffd
	v_add_co_ci_u32_e64 v9, null, s21, v7, vcc_lo
	flat_store_b128 v[8:9], v[0:3]
	s_branch .LBB53_2
.LBB53_24:
	s_endpgm
	.section	.rodata,"a",@progbits
	.p2align	6, 0x0
	.amdhsa_kernel _ZL36rocblas_hemvn_kernel_upper_block_sumILi64El19rocblas_complex_numIdEPKPS1_S1_EviT1_lS5_lT2_lT0_lPT3_i
		.amdhsa_group_segment_fixed_size 0
		.amdhsa_private_segment_fixed_size 0
		.amdhsa_kernarg_size 360
		.amdhsa_user_sgpr_count 2
		.amdhsa_user_sgpr_dispatch_ptr 0
		.amdhsa_user_sgpr_queue_ptr 0
		.amdhsa_user_sgpr_kernarg_segment_ptr 1
		.amdhsa_user_sgpr_dispatch_id 0
		.amdhsa_user_sgpr_private_segment_size 0
		.amdhsa_wavefront_size32 1
		.amdhsa_uses_dynamic_stack 0
		.amdhsa_enable_private_segment 0
		.amdhsa_system_sgpr_workgroup_id_x 1
		.amdhsa_system_sgpr_workgroup_id_y 0
		.amdhsa_system_sgpr_workgroup_id_z 1
		.amdhsa_system_sgpr_workgroup_info 0
		.amdhsa_system_vgpr_workitem_id 0
		.amdhsa_next_free_vgpr 15
		.amdhsa_next_free_sgpr 32
		.amdhsa_reserve_vcc 1
		.amdhsa_float_round_mode_32 0
		.amdhsa_float_round_mode_16_64 0
		.amdhsa_float_denorm_mode_32 3
		.amdhsa_float_denorm_mode_16_64 3
		.amdhsa_fp16_overflow 0
		.amdhsa_workgroup_processor_mode 1
		.amdhsa_memory_ordered 1
		.amdhsa_forward_progress 1
		.amdhsa_inst_pref_size 8
		.amdhsa_round_robin_scheduling 0
		.amdhsa_exception_fp_ieee_invalid_op 0
		.amdhsa_exception_fp_denorm_src 0
		.amdhsa_exception_fp_ieee_div_zero 0
		.amdhsa_exception_fp_ieee_overflow 0
		.amdhsa_exception_fp_ieee_underflow 0
		.amdhsa_exception_fp_ieee_inexact 0
		.amdhsa_exception_int_div_zero 0
	.end_amdhsa_kernel
	.section	.text._ZL36rocblas_hemvn_kernel_upper_block_sumILi64El19rocblas_complex_numIdEPKPS1_S1_EviT1_lS5_lT2_lT0_lPT3_i,"axG",@progbits,_ZL36rocblas_hemvn_kernel_upper_block_sumILi64El19rocblas_complex_numIdEPKPS1_S1_EviT1_lS5_lT2_lT0_lPT3_i,comdat
.Lfunc_end53:
	.size	_ZL36rocblas_hemvn_kernel_upper_block_sumILi64El19rocblas_complex_numIdEPKPS1_S1_EviT1_lS5_lT2_lT0_lPT3_i, .Lfunc_end53-_ZL36rocblas_hemvn_kernel_upper_block_sumILi64El19rocblas_complex_numIdEPKPS1_S1_EviT1_lS5_lT2_lT0_lPT3_i
                                        ; -- End function
	.set _ZL36rocblas_hemvn_kernel_upper_block_sumILi64El19rocblas_complex_numIdEPKPS1_S1_EviT1_lS5_lT2_lT0_lPT3_i.num_vgpr, 15
	.set _ZL36rocblas_hemvn_kernel_upper_block_sumILi64El19rocblas_complex_numIdEPKPS1_S1_EviT1_lS5_lT2_lT0_lPT3_i.num_agpr, 0
	.set _ZL36rocblas_hemvn_kernel_upper_block_sumILi64El19rocblas_complex_numIdEPKPS1_S1_EviT1_lS5_lT2_lT0_lPT3_i.numbered_sgpr, 32
	.set _ZL36rocblas_hemvn_kernel_upper_block_sumILi64El19rocblas_complex_numIdEPKPS1_S1_EviT1_lS5_lT2_lT0_lPT3_i.num_named_barrier, 0
	.set _ZL36rocblas_hemvn_kernel_upper_block_sumILi64El19rocblas_complex_numIdEPKPS1_S1_EviT1_lS5_lT2_lT0_lPT3_i.private_seg_size, 0
	.set _ZL36rocblas_hemvn_kernel_upper_block_sumILi64El19rocblas_complex_numIdEPKPS1_S1_EviT1_lS5_lT2_lT0_lPT3_i.uses_vcc, 1
	.set _ZL36rocblas_hemvn_kernel_upper_block_sumILi64El19rocblas_complex_numIdEPKPS1_S1_EviT1_lS5_lT2_lT0_lPT3_i.uses_flat_scratch, 0
	.set _ZL36rocblas_hemvn_kernel_upper_block_sumILi64El19rocblas_complex_numIdEPKPS1_S1_EviT1_lS5_lT2_lT0_lPT3_i.has_dyn_sized_stack, 0
	.set _ZL36rocblas_hemvn_kernel_upper_block_sumILi64El19rocblas_complex_numIdEPKPS1_S1_EviT1_lS5_lT2_lT0_lPT3_i.has_recursion, 0
	.set _ZL36rocblas_hemvn_kernel_upper_block_sumILi64El19rocblas_complex_numIdEPKPS1_S1_EviT1_lS5_lT2_lT0_lPT3_i.has_indirect_call, 0
	.section	.AMDGPU.csdata,"",@progbits
; Kernel info:
; codeLenInByte = 920
; TotalNumSgprs: 34
; NumVgprs: 15
; ScratchSize: 0
; MemoryBound: 0
; FloatMode: 240
; IeeeMode: 1
; LDSByteSize: 0 bytes/workgroup (compile time only)
; SGPRBlocks: 0
; VGPRBlocks: 1
; NumSGPRsForWavesPerEU: 34
; NumVGPRsForWavesPerEU: 15
; Occupancy: 16
; WaveLimiterHint : 1
; COMPUTE_PGM_RSRC2:SCRATCH_EN: 0
; COMPUTE_PGM_RSRC2:USER_SGPR: 2
; COMPUTE_PGM_RSRC2:TRAP_HANDLER: 0
; COMPUTE_PGM_RSRC2:TGID_X_EN: 1
; COMPUTE_PGM_RSRC2:TGID_Y_EN: 0
; COMPUTE_PGM_RSRC2:TGID_Z_EN: 1
; COMPUTE_PGM_RSRC2:TIDIG_COMP_CNT: 0
	.section	.text._ZL26rocblas_hemvn_kernel_upperILb1ELi64ELi4ELi33ELi32ELi16Ei19rocblas_complex_numIdEPKPKS1_PS1_EviT6_lT7_lT5_lS8_lS9_lS7_lT8_i,"axG",@progbits,_ZL26rocblas_hemvn_kernel_upperILb1ELi64ELi4ELi33ELi32ELi16Ei19rocblas_complex_numIdEPKPKS1_PS1_EviT6_lT7_lT5_lS8_lS9_lS7_lT8_i,comdat
	.globl	_ZL26rocblas_hemvn_kernel_upperILb1ELi64ELi4ELi33ELi32ELi16Ei19rocblas_complex_numIdEPKPKS1_PS1_EviT6_lT7_lT5_lS8_lS9_lS7_lT8_i ; -- Begin function _ZL26rocblas_hemvn_kernel_upperILb1ELi64ELi4ELi33ELi32ELi16Ei19rocblas_complex_numIdEPKPKS1_PS1_EviT6_lT7_lT5_lS8_lS9_lS7_lT8_i
	.p2align	8
	.type	_ZL26rocblas_hemvn_kernel_upperILb1ELi64ELi4ELi33ELi32ELi16Ei19rocblas_complex_numIdEPKPKS1_PS1_EviT6_lT7_lT5_lS8_lS9_lS7_lT8_i,@function
_ZL26rocblas_hemvn_kernel_upperILb1ELi64ELi4ELi33ELi32ELi16Ei19rocblas_complex_numIdEPKPKS1_PS1_EviT6_lT7_lT5_lS8_lS9_lS7_lT8_i: ; @_ZL26rocblas_hemvn_kernel_upperILb1ELi64ELi4ELi33ELi32ELi16Ei19rocblas_complex_numIdEPKPKS1_PS1_EviT6_lT7_lT5_lS8_lS9_lS7_lT8_i
; %bb.0:
	s_clause 0x1
	s_load_b64 s[2:3], s[0:1], 0x94
	s_load_b32 s33, s[0:1], 0x80
	s_lshr_b32 s34, ttmp7, 16
	s_wait_kmcnt 0x0
	s_lshr_b32 s4, s2, 16
	s_and_b32 s2, s2, 0xffff
	s_and_b32 s3, s3, 0xffff
	s_mul_i32 s2, s4, s2
	s_delay_alu instid0(SALU_CYCLE_1) | instskip(NEXT) | instid1(SALU_CYCLE_1)
	s_mul_i32 s2, s2, s3
	s_cmp_lg_u32 s2, 0x100
	s_cselect_b32 s2, -1, 0
	s_cmp_ge_u32 s34, s33
	s_cselect_b32 s3, -1, 0
	s_delay_alu instid0(SALU_CYCLE_1) | instskip(NEXT) | instid1(SALU_CYCLE_1)
	s_or_b32 s2, s2, s3
	s_and_b32 vcc_lo, exec_lo, s2
	s_cbranch_vccnz .LBB54_188
; %bb.1:
	s_clause 0x3
	s_load_b128 s[12:15], s[0:1], 0x8
	s_load_b128 s[16:19], s[0:1], 0x60
	s_load_b32 s10, s[0:1], 0x0
	s_load_b64 s[8:9], s[0:1], 0x78
	s_add_nc_u64 s[2:3], s[0:1], 0x88
	s_clause 0x3
	s_load_b128 s[24:27], s[0:1], 0x20
	s_load_b32 s22, s[0:1], 0x30
	s_load_b128 s[28:31], s[0:1], 0x40
	s_load_b32 s54, s[0:1], 0x50
	s_load_b32 s36, s[2:3], 0x0
	v_dual_mov_b32 v1, 0 :: v_dual_and_b32 v2, 31, v0
	v_bfe_u32 v4, v0, 10, 10
	v_and_b32_e32 v173, 0x3ff, v0
	s_mov_b32 s35, 0
	s_delay_alu instid0(VALU_DEP_3) | instskip(NEXT) | instid1(VALU_DEP_1)
	v_sub_co_u32 v5, s2, 0, v2
	v_sub_co_ci_u32_e64 v6, null, 0, 0, s2
	v_lshlrev_b32_e32 v13, 6, v4
	s_mov_b32 s37, s35
	s_lshl_b32 s58, ttmp9, 6
	s_mov_b32 s6, ttmp9
	s_wait_kmcnt 0x0
	v_cmp_eq_f64_e64 s1, s[12:13], 0
	v_cmp_eq_f64_e64 s4, s[14:15], 0
	v_cmp_neq_f64_e64 s5, s[16:17], 1.0
	v_cmp_neq_f64_e64 s7, s[18:19], 0
	s_ashr_i32 s11, s10, 31
	v_add_nc_u32_e32 v14, v13, v173
	s_lshr_b32 s2, s11, 26
	s_add_co_i32 s3, s36, -1
	s_wait_alu 0xfffe
	s_add_co_i32 s2, s10, s2
	s_ashr_i32 s23, s22, 31
	s_wait_alu 0xfffe
	s_and_not1_b32 s2, s2, 63
	s_mul_u64 s[38:39], s[36:37], s[10:11]
	s_wait_alu 0xfffe
	s_sub_co_i32 s37, s10, s2
	v_lshrrev_b32_e32 v11, 5, v14
	v_lshlrev_b32_e32 v15, 4, v2
	v_add_nc_u32_e32 v3, s58, v173
	v_lshlrev_b32_e32 v24, 4, v173
	v_lshlrev_b32_e32 v200, 2, v4
	;; [unrolled: 1-line block ×3, first 2 shown]
	v_lshl_or_b32 v19, v2, 9, v15
	v_lshlrev_b32_e32 v20, 6, v11
	v_add_nc_u32_e32 v16, 16, v11
	v_mad_co_u64_u32 v[9:10], null, s22, v11, v[2:3]
	v_or_b32_e32 v21, 1, v18
	v_or_b32_e32 v22, 2, v18
	v_mad_u32_u24 v186, 0x210, v11, v15
	v_add_nc_u32_e32 v12, 8, v11
	v_add_nc_u32_e32 v17, 24, v11
	v_add_nc_u32_e32 v193, v19, v20
	v_mul_u32_u24_e32 v19, 0x840, v11
	v_cmp_eq_u32_e64 s20, 1, v11
	v_cmp_eq_u32_e64 s0, 0, v4
	v_mad_u32_u24 v203, 0x10c0, v4, v24
	v_mad_u32_u24 v4, 0x430, v4, v24
	v_add_nc_u32_e32 v198, 0x4700, v20
	v_ashrrev_i32_e32 v10, 31, v9
	s_mul_i32 s60, s22, s58
	s_mul_i32 s46, s22, 24
	s_and_b32 s68, s1, s4
	v_cmp_gt_u32_e64 s14, 32, v14
	s_or_b32 s69, s5, s7
	s_cmp_eq_u32 ttmp9, s3
	s_mul_i32 s48, s54, s58
	s_cselect_b32 s40, s37, 0
	v_cmp_gt_u32_e64 s21, 64, v14
	s_cmp_lg_u32 s40, 0
	v_cmp_le_i32_e64 s2, s40, v11
	s_cselect_b32 s70, -1, 0
	s_cmp_eq_u32 s40, 0
	v_cmp_gt_i32_e32 vcc_lo, s40, v173
	s_cselect_b32 s5, -1, 0
	s_ashr_i32 s7, ttmp9, 31
	s_sub_co_i32 s19, s40, 32
	s_mul_u64 s[6:7], s[10:11], s[6:7]
	v_cmp_le_u32_e64 s10, v22, v2
	s_lshl_b64 s[6:7], s[6:7], 4
	v_cmp_eq_u32_e64 s11, v22, v2
	s_add_nc_u64 s[44:45], s[8:9], s[6:7]
	v_cmp_le_u32_e64 s6, v18, v2
	v_cmp_eq_u32_e64 s7, v18, v2
	v_cmp_ge_u32_e64 s8, v18, v2
	v_or_b32_e32 v18, 3, v18
	v_lshlrev_b32_e32 v22, 4, v11
	s_wait_alu 0xfffe
	v_cmp_le_i32_e64 s16, s19, v11
	v_mul_i32_i24_e32 v11, 0xffffffd0, v11
	v_cmp_le_i32_e64 s4, s40, v16
	v_cmp_le_u32_e64 s12, v18, v2
	v_cmp_eq_u32_e64 s13, v18, v2
	v_or_b32_e32 v18, 32, v2
	v_cmp_le_i32_e64 s18, s19, v16
	v_lshrrev_b32_e32 v16, 4, v14
	v_cmp_le_i32_e64 s3, s40, v12
	v_cmp_le_i32_e64 s17, s19, v12
	v_cmp_gt_i32_e64 s15, s40, v18
	v_and_b32_e32 v18, 48, v0
	scratch_store_b32 off, v11, off offset:4 ; 4-byte Folded Spill
	v_mad_co_u64_u32 v[11:12], null, s22, v200, v[173:174]
	s_or_b32 s50, s5, vcc_lo
	v_cmp_le_i32_e64 s5, s40, v17
	v_cmp_le_i32_e64 s19, s19, v17
	v_and_b32_e32 v17, 15, v0
	v_lshlrev_b32_e32 v20, 6, v16
	v_add_nc_u32_e32 v0, 0x4300, v13
	v_lshlrev_b32_e32 v13, 4, v18
	v_or_b32_e32 v18, 0xf0, v24
	v_ashrrev_i32_e32 v12, 31, v11
	v_mad_u32_u24 v204, 0x430, v17, v20
	s_lshl_b32 s52, s22, 5
	v_mad_u32_u24 v205, 0x430, v17, v13
	v_mad_u32_u24 v206, 0x430, v17, v18
	v_add_nc_u32_e32 v13, 0x4700, v22
	v_add_nc_u32_e32 v17, 64, v3
	s_ashr_i32 s53, s52, 31
	scratch_store_b32 off, v4, off offset:8 ; 4-byte Folded Spill
	s_lshl_b32 s42, s22, 3
	s_lshl_b32 s62, s22, 4
	scratch_store_b32 off, v17, off offset:32 ; 4-byte Folded Spill
	v_lshlrev_b64_e32 v[17:18], 4, v[9:10]
	scratch_store_b32 off, v13, off offset:12 ; 4-byte Folded Spill
	v_add_co_u32 v13, vcc_lo, s52, v11
	s_delay_alu instid0(VALU_DEP_1)
	v_add_co_ci_u32_e64 v14, null, s53, v12, vcc_lo
	s_add_co_i32 s55, ttmp9, 1
	s_ashr_i32 s59, s58, 31
	s_ashr_i32 s61, s60, 31
	;; [unrolled: 1-line block ×4, first 2 shown]
	s_xor_b32 s71, s50, -1
	s_ashr_i32 s63, s62, 31
	s_ashr_i32 s47, s46, 31
	;; [unrolled: 1-line block ×3, first 2 shown]
	s_cmp_lt_u32 s55, s36
	v_lshlrev_b64_e32 v[11:12], 4, v[11:12]
	s_cselect_b32 s72, -1, 0
	s_lshl_b64 s[80:81], s[22:23], 5
	s_lshl_b64 s[52:53], s[52:53], 4
	v_lshlrev_b64_e32 v[13:14], 4, v[13:14]
	v_mul_u32_u24_e32 v23, 0x210, v21
	v_cmp_eq_u32_e64 s9, v21, v2
	v_mul_u32_u24_e32 v21, 33, v2
	s_wait_alu 0xfffe
	s_add_nc_u64 s[82:83], s[80:81], s[52:53]
	s_mul_i32 s78, s22, 3
	v_add_co_u32 v9, vcc_lo, s82, v11
	v_lshlrev_b32_e32 v196, 4, v21
	v_mad_co_i64_i32 v[20:21], null, s62, 48, v[13:14]
	s_wait_alu 0xfffd
	v_add_co_ci_u32_e64 v10, null, s83, v12, vcc_lo
	v_or_b32_e32 v9, 8, v9
	s_ashr_i32 s79, s78, 31
	s_clause 0x1
	scratch_store_b64 off, v[17:18], off offset:16
	scratch_store_b32 off, v10, off offset:44
	s_lshl_b64 s[78:79], s[78:79], 4
	scratch_store_b32 off, v9, off offset:48 ; 4-byte Folded Spill
	v_add_co_u32 v9, vcc_lo, v20, s78
	s_lshl_b32 s56, s22, 1
	s_wait_alu 0xfffd
	v_add_co_ci_u32_e64 v10, null, s79, v21, vcc_lo
	v_or_b32_e32 v9, 8, v9
	s_ashr_i32 s57, s56, 31
	s_lshl_b64 s[66:67], s[22:23], 4
	s_and_b32 s75, s0, s50
	s_lshl_b64 s[50:51], s[22:23], 7
	v_sub_co_u32 v210, s22, 0, v17
	s_add_nc_u64 s[86:87], s[66:67], s[52:53]
	s_lshl_b64 s[88:89], s[56:57], 4
	v_sub_co_ci_u32_e64 v211, null, 0, v18, s22
	scratch_store_b32 off, v10, off offset:52 ; 4-byte Folded Spill
	v_add_co_u32 v10, s22, s86, v11
	scratch_store_b32 off, v9, off offset:56 ; 4-byte Folded Spill
	v_add_co_u32 v9, vcc_lo, v20, s88
	v_or_b32_e32 v20, 8, v20
	v_mul_lo_u32 v7, s54, v3
	v_ashrrev_i32_e32 v4, 31, v3
	s_delay_alu instid0(VALU_DEP_4)
	v_or_b32_e32 v9, 8, v9
	scratch_store_b32 off, v10, off offset:60 ; 4-byte Folded Spill
	s_wait_alu 0xf1ff
	v_add_co_ci_u32_e64 v10, null, s87, v12, s22
	s_add_nc_u64 s[22:23], s[52:53], s[88:89]
	scratch_store_b32 off, v9, off offset:72 ; 4-byte Folded Spill
	v_ashrrev_i32_e32 v8, 31, v7
	scratch_store_b32 off, v10, off offset:64 ; 4-byte Folded Spill
	s_wait_alu 0xfffd
	v_add_co_ci_u32_e64 v10, null, s89, v21, vcc_lo
	v_add_co_u32 v9, vcc_lo, s52, v11
	v_cmp_gt_i32_e64 s1, s40, v2
	scratch_store_b32 off, v10, off offset:68 ; 4-byte Folded Spill
	v_mad_u32_u24 v192, 0x210, v2, v15
	scratch_store_b32 off, v9, off offset:76 ; 4-byte Folded Spill
	s_wait_alu 0xfffd
	v_add_co_ci_u32_e64 v9, null, s53, v12, vcc_lo
	v_lshlrev_b64_e32 v[7:8], 4, v[7:8]
	v_lshlrev_b64_e32 v[3:4], 4, v[3:4]
	v_lshlrev_b32_e32 v2, 4, v2
	scratch_store_b32 off, v9, off offset:80 ; 4-byte Folded Spill
	s_wait_alu 0xfffe
	v_add_co_u32 v9, vcc_lo, s22, v11
	s_mul_u64 s[84:85], s[62:63], 48
	s_lshl_b64 s[56:57], s[62:63], 4
	s_lshl_b32 s74, s54, 6
	scratch_store_b32 off, v9, off offset:84 ; 4-byte Folded Spill
	s_wait_alu 0xfffd
	v_add_co_ci_u32_e64 v9, null, s23, v12, vcc_lo
	s_add_nc_u64 s[22:23], s[52:53], s[78:79]
	s_mul_i32 s54, s54, s55
	v_mul_i32_i24_e32 v16, 0xffffffd0, v16
	scratch_store_b32 off, v9, off offset:88 ; 4-byte Folded Spill
	v_add_co_u32 v9, vcc_lo, v20, s66
	s_clause 0x1
	scratch_store_b32 off, v9, off offset:92
	scratch_store_b64 off, v[20:21], off offset:36
	s_wait_alu 0xfffd
	v_add_co_ci_u32_e64 v9, null, s67, v21, vcc_lo
	s_wait_alu 0xfffe
	s_lshl_b32 s76, s54, 6
	s_lshl_b64 s[54:55], s[62:63], 6
	s_lshl_b64 s[62:63], s[62:63], 5
	s_clause 0x3
	scratch_store_b32 off, v9, off offset:96
	scratch_store_b64 off, v[7:8], off offset:24
	scratch_store_b64 off, v[3:4], off offset:196
	scratch_store_b32 off, v2, off
	v_add_co_u32 v9, vcc_lo, s22, v11
	v_lshlrev_b64_e32 v[174:175], 4, v[5:6]
	v_add_nc_u32_e32 v187, 0x4700, v24
	v_add_nc_u32_e32 v199, v196, v22
	scratch_store_b32 off, v9, off offset:100 ; 4-byte Folded Spill
	s_wait_alu 0xfffd
	v_add_co_ci_u32_e64 v9, null, s23, v12, vcc_lo
	s_add_nc_u64 s[22:23], s[84:85], s[80:81]
	s_wait_alu 0xfffe
	s_add_nc_u64 s[80:81], s[62:63], s[52:53]
	s_add_nc_u64 s[62:63], s[82:83], s[62:63]
	scratch_store_b32 off, v9, off offset:104 ; 4-byte Folded Spill
	v_add_co_u32 v9, vcc_lo, s22, v13
	s_add_nc_u64 s[84:85], s[80:81], s[78:79]
	s_add_nc_u64 s[66:67], s[80:81], s[66:67]
	v_add_nc_u32_e32 v202, 0x4300, v24
	scratch_store_b32 off, v9, off offset:108 ; 4-byte Folded Spill
	s_wait_alu 0xfffd
	v_add_co_ci_u32_e64 v9, null, s23, v14, vcc_lo
	s_add_nc_u64 s[22:23], s[82:83], s[56:57]
	v_add_nc_u32_e32 v250, v204, v16
	v_add_nc_u32_e32 v197, v15, v19
	scratch_store_b32 off, v9, off offset:112 ; 4-byte Folded Spill
	s_wait_alu 0xfffe
	v_add_co_u32 v9, vcc_lo, s22, v11
	s_wait_alu 0xfffd
	v_add_co_ci_u32_e64 v13, null, s23, v12, vcc_lo
	v_add_co_u32 v10, s22, s84, v11
	s_delay_alu instid0(VALU_DEP_3)
	v_or_b32_e32 v9, 8, v9
	scratch_store_b32 off, v13, off offset:116 ; 4-byte Folded Spill
	v_add_nc_u32_e32 v194, v15, v23
	s_sub_nc_u64 s[64:65], 0, s[48:49]
	s_add_co_i32 s73, s36, -2
	scratch_store_b32 off, v9, off offset:120 ; 4-byte Folded Spill
	s_wait_alu 0xf1ff
	v_add_co_ci_u32_e64 v9, null, s85, v12, s22
	s_add_nc_u64 s[22:23], s[86:87], s[56:57]
	s_add_nc_u64 s[84:85], s[80:81], s[88:89]
	s_sub_nc_u64 s[48:49], 0, s[40:41]
	scratch_store_b32 off, v9, off offset:124 ; 4-byte Folded Spill
	v_or_b32_e32 v9, 8, v10
	s_wait_alu 0xfffe
	v_add_co_u32 v10, s22, s22, v11
	s_lshl_b64 s[30:31], s[30:31], 4
	s_lshl_b64 s[26:27], s[26:27], 4
	scratch_store_b32 off, v9, off offset:128 ; 4-byte Folded Spill
	v_add_co_u32 v9, vcc_lo, s84, v11
	s_lshl_b64 s[58:59], s[58:59], 4
	s_lshl_b64 s[60:61], s[60:61], 4
	v_or_b32_e32 v9, 8, v9
	scratch_store_b32 off, v10, off offset:132 ; 4-byte Folded Spill
	v_add_co_ci_u32_e64 v10, null, s23, v12, s22
	s_clause 0x1
	scratch_store_b32 off, v9, off offset:144
	scratch_store_b32 off, v10, off offset:136
	s_wait_alu 0xfffd
	v_add_co_ci_u32_e64 v10, null, s85, v12, vcc_lo
	v_add_co_u32 v9, vcc_lo, s80, v11
	s_add_nc_u64 s[84:85], s[52:53], s[56:57]
	v_or_b32_e32 v9, 8, v9
	scratch_store_b32 off, v10, off offset:140 ; 4-byte Folded Spill
	s_wait_alu 0xfffe
	v_add_co_u32 v10, s22, s84, v11
	s_clause 0x1
	scratch_store_b32 off, v9, off offset:160
	scratch_store_b32 off, v10, off offset:148
	s_wait_alu 0xf1ff
	v_add_co_ci_u32_e64 v10, null, s85, v12, s22
	s_add_nc_u64 s[22:23], s[84:85], s[88:89]
	scratch_store_b32 off, v10, off offset:152 ; 4-byte Folded Spill
	s_wait_alu 0xfffd
	v_add_co_ci_u32_e64 v10, null, s81, v12, vcc_lo
	v_add_co_u32 v9, vcc_lo, s66, v11
	s_delay_alu instid0(VALU_DEP_1)
	v_or_b32_e32 v9, 8, v9
	scratch_store_b32 off, v10, off offset:156 ; 4-byte Folded Spill
	s_wait_alu 0xfffe
	v_add_co_u32 v10, s22, s22, v11
	s_clause 0x1
	scratch_store_b32 off, v9, off offset:176
	scratch_store_b32 off, v10, off offset:164
	s_wait_alu 0xf1ff
	v_add_co_ci_u32_e64 v10, null, s23, v12, s22
	s_add_nc_u64 s[22:23], s[84:85], s[78:79]
	scratch_store_b32 off, v10, off offset:168 ; 4-byte Folded Spill
	s_wait_alu 0xfffd
	v_add_co_ci_u32_e64 v10, null, s67, v12, vcc_lo
	v_add_co_u32 v9, vcc_lo, s62, v11
	s_delay_alu instid0(VALU_DEP_1)
	v_or_b32_e32 v9, 8, v9
	scratch_store_b32 off, v10, off offset:172 ; 4-byte Folded Spill
	s_wait_alu 0xfffe
	v_add_co_u32 v10, s22, s22, v11
	s_clause 0x1
	scratch_store_b32 off, v9, off offset:192
	scratch_store_b32 off, v10, off offset:180
	s_wait_alu 0xf1ff
	v_add_co_ci_u32_e64 v10, null, s23, v12, s22
	scratch_store_b32 off, v10, off offset:184 ; 4-byte Folded Spill
	s_wait_alu 0xfffd
	v_add_co_ci_u32_e64 v10, null, s63, v12, vcc_lo
	s_lshl_b64 s[62:63], s[64:65], 4
	scratch_store_b32 off, v10, off offset:188 ; 4-byte Folded Spill
	s_branch .LBB54_4
.LBB54_2:                               ;   in Loop: Header=BB54_4 Depth=1
	s_wait_alu 0xfffe
	s_or_b32 exec_lo, exec_lo, s22
.LBB54_3:                               ;   in Loop: Header=BB54_4 Depth=1
	s_add_co_i32 s34, s34, 0x10000
	s_delay_alu instid0(SALU_CYCLE_1)
	s_cmp_lt_u32 s34, s33
	s_cbranch_scc0 .LBB54_188
.LBB54_4:                               ; =>This Loop Header: Depth=1
                                        ;     Child Loop BB54_112 Depth 2
	s_and_not1_b32 vcc_lo, exec_lo, s68
	s_mov_b32 s22, -1
	s_wait_alu 0xfffe
	s_cbranch_vccz .LBB54_6
; %bb.5:                                ;   in Loop: Header=BB54_4 Depth=1
	s_and_not1_b32 vcc_lo, exec_lo, s22
	s_wait_alu 0xfffe
	s_cbranch_vccnz .LBB54_3
	s_branch .LBB54_7
.LBB54_6:                               ;   in Loop: Header=BB54_4 Depth=1
	s_and_b32 vcc_lo, exec_lo, s69
	s_cbranch_execnz .LBB54_3
.LBB54_7:                               ;   in Loop: Header=BB54_4 Depth=1
	s_lshl_b64 s[22:23], s[34:35], 3
	scratch_load_b64 v[7:8], off, off offset:24 ; 8-byte Folded Reload
	s_wait_alu 0xfffe
	s_add_nc_u64 s[64:65], s[28:29], s[22:23]
	s_add_nc_u64 s[22:23], s[24:25], s[22:23]
	s_clause 0x1
	global_load_b64 v[2:3], v1, s[64:65]
	global_load_b64 v[5:6], v1, s[22:23]
	s_wait_loadcnt 0x1
	v_add_co_u32 v2, vcc_lo, v2, s30
	s_wait_alu 0xfffd
	v_add_co_ci_u32_e64 v3, null, s31, v3, vcc_lo
	s_delay_alu instid0(VALU_DEP_2) | instskip(SKIP_1) | instid1(VALU_DEP_2)
	v_add_co_u32 v41, vcc_lo, v2, v7
	s_wait_alu 0xfffd
	v_add_co_ci_u32_e64 v42, null, v3, v8, vcc_lo
	s_and_saveexec_b32 s22, s0
	s_cbranch_execz .LBB54_12
; %bb.8:                                ;   in Loop: Header=BB54_4 Depth=1
	s_and_saveexec_b32 s23, s71
	s_wait_alu 0xfffe
	s_xor_b32 s23, exec_lo, s23
; %bb.9:                                ;   in Loop: Header=BB54_4 Depth=1
	v_dual_mov_b32 v2, v1 :: v_dual_mov_b32 v3, v1
	v_mov_b32_e32 v4, v1
	ds_store_b128 v187, v[1:4]
; %bb.10:                               ;   in Loop: Header=BB54_4 Depth=1
	s_wait_alu 0xfffe
	s_and_not1_saveexec_b32 s23, s23
	s_cbranch_execz .LBB54_12
; %bb.11:                               ;   in Loop: Header=BB54_4 Depth=1
	flat_load_b128 v[7:10], v[41:42]
	s_wait_loadcnt_dscnt 0x0
	ds_store_2addr_b64 v187, v[7:8], v[9:10] offset1:1
.LBB54_12:                              ;   in Loop: Header=BB54_4 Depth=1
	s_wait_alu 0xfffe
	s_or_b32 exec_lo, exec_lo, s22
	s_wait_loadcnt 0x0
	v_add_co_u32 v2, vcc_lo, v5, s26
	scratch_load_b64 v[4:5], off, off offset:16 ; 8-byte Folded Reload
	s_wait_alu 0xfffd
	v_add_co_ci_u32_e64 v3, null, s27, v6, vcc_lo
	v_add_co_u32 v2, vcc_lo, v2, s58
	s_mov_b32 s22, -1
	s_wait_alu 0xfffd
	v_add_co_ci_u32_e64 v3, null, s59, v3, vcc_lo
                                        ; implicit-def: $vgpr9_vgpr10
	s_wait_loadcnt 0x0
	v_add_co_u32 v2, vcc_lo, v2, v4
	s_wait_alu 0xfffd
	s_delay_alu instid0(VALU_DEP_2) | instskip(NEXT) | instid1(VALU_DEP_2)
	v_add_co_ci_u32_e64 v3, null, v3, v5, vcc_lo
	v_add_co_u32 v5, vcc_lo, v2, s60
	s_wait_alu 0xfffd
	s_delay_alu instid0(VALU_DEP_2)
	v_add_co_ci_u32_e64 v6, null, s61, v3, vcc_lo
	s_and_b32 vcc_lo, exec_lo, s70
	s_wait_alu 0xfffe
	s_cbranch_vccz .LBB54_24
; %bb.13:                               ;   in Loop: Header=BB54_4 Depth=1
	s_and_saveexec_b32 s22, s2
	s_wait_alu 0xfffe
	s_xor_b32 s22, exec_lo, s22
; %bb.14:                               ;   in Loop: Header=BB54_4 Depth=1
	v_dual_mov_b32 v2, v1 :: v_dual_mov_b32 v3, v1
	v_mov_b32_e32 v4, v1
	ds_store_b128 v186, v[1:4]
; %bb.15:                               ;   in Loop: Header=BB54_4 Depth=1
	s_wait_alu 0xfffe
	s_or_saveexec_b32 s22, s22
	v_add_co_u32 v2, vcc_lo, v5, v174
	s_wait_alu 0xfffd
	v_add_co_ci_u32_e64 v3, null, v6, v175, vcc_lo
	s_lshl_b64 s[64:65], s[40:41], 4
	s_wait_alu 0xfffe
	v_add_co_u32 v2, vcc_lo, v2, s64
	s_wait_alu 0xfffd
	v_add_co_ci_u32_e64 v3, null, s65, v3, vcc_lo
	s_delay_alu instid0(VALU_DEP_2) | instskip(SKIP_1) | instid1(VALU_DEP_2)
	v_add_co_u32 v2, vcc_lo, v2, -16
	s_wait_alu 0xfffd
	v_add_co_ci_u32_e64 v3, null, -1, v3, vcc_lo
	s_delay_alu instid0(VALU_DEP_2) | instskip(NEXT) | instid1(VALU_DEP_2)
	v_cndmask_b32_e64 v7, v2, v5, s1
	v_cndmask_b32_e64 v8, v3, v6, s1
	s_xor_b32 exec_lo, exec_lo, s22
	s_cbranch_execnz .LBB54_170
; %bb.16:                               ;   in Loop: Header=BB54_4 Depth=1
	s_or_b32 exec_lo, exec_lo, s22
	s_and_saveexec_b32 s22, s3
	s_wait_alu 0xfffe
	s_xor_b32 s22, exec_lo, s22
	s_cbranch_execnz .LBB54_171
.LBB54_17:                              ;   in Loop: Header=BB54_4 Depth=1
	s_wait_alu 0xfffe
	s_and_not1_saveexec_b32 s22, s22
	s_cbranch_execnz .LBB54_172
.LBB54_18:                              ;   in Loop: Header=BB54_4 Depth=1
	s_wait_alu 0xfffe
	s_or_b32 exec_lo, exec_lo, s22
	s_and_saveexec_b32 s22, s4
	s_wait_alu 0xfffe
	s_xor_b32 s22, exec_lo, s22
	s_cbranch_execnz .LBB54_173
.LBB54_19:                              ;   in Loop: Header=BB54_4 Depth=1
	s_wait_alu 0xfffe
	s_and_not1_saveexec_b32 s22, s22
	s_cbranch_execnz .LBB54_174
.LBB54_20:                              ;   in Loop: Header=BB54_4 Depth=1
	s_wait_alu 0xfffe
	s_or_b32 exec_lo, exec_lo, s22
	s_and_saveexec_b32 s22, s5
	s_wait_alu 0xfffe
	s_xor_b32 s22, exec_lo, s22
	s_cbranch_execnz .LBB54_175
.LBB54_21:                              ;   in Loop: Header=BB54_4 Depth=1
	s_wait_alu 0xfffe
	s_and_not1_saveexec_b32 s22, s22
	s_cbranch_execz .LBB54_23
.LBB54_22:                              ;   in Loop: Header=BB54_4 Depth=1
	s_lshl_b64 s[64:65], s[46:47], 4
	s_wait_alu 0xfffe
	v_add_co_u32 v2, vcc_lo, v7, s64
	s_wait_alu 0xfffd
	v_add_co_ci_u32_e64 v3, null, s65, v8, vcc_lo
	flat_load_b128 v[9:12], v[2:3]
	v_add_nc_u32_e32 v2, 0x3180, v186
	s_wait_loadcnt_dscnt 0x0
	ds_store_2addr_b64 v2, v[9:10], v[11:12] offset1:1
.LBB54_23:                              ;   in Loop: Header=BB54_4 Depth=1
	s_wait_alu 0xfffe
	s_or_b32 exec_lo, exec_lo, s22
	scratch_load_b32 v2, off, off           ; 4-byte Folded Reload
	s_lshl_b64 s[22:23], s[48:49], 4
	s_wait_loadcnt 0x0
	v_add_co_u32 v2, vcc_lo, v7, v2
	s_wait_alu 0xfffd
	v_add_co_ci_u32_e64 v3, null, 0, v8, vcc_lo
	s_wait_alu 0xfffe
	s_delay_alu instid0(VALU_DEP_2) | instskip(SKIP_1) | instid1(VALU_DEP_2)
	v_add_co_u32 v2, vcc_lo, v2, s22
	s_wait_alu 0xfffd
	v_add_co_ci_u32_e64 v3, null, s23, v3, vcc_lo
	s_mov_b32 s22, 0
	v_add_co_u32 v2, vcc_lo, v2, 16
	s_wait_alu 0xfffd
	v_add_co_ci_u32_e64 v3, null, 0, v3, vcc_lo
	s_delay_alu instid0(VALU_DEP_2) | instskip(NEXT) | instid1(VALU_DEP_2)
	v_cndmask_b32_e64 v9, v2, v5, s1
	v_cndmask_b32_e64 v10, v3, v6, s1
.LBB54_24:                              ;   in Loop: Header=BB54_4 Depth=1
	s_wait_alu 0xfffe
	s_and_b32 vcc_lo, exec_lo, s22
	s_wait_alu 0xfffe
	s_cbranch_vccz .LBB54_26
; %bb.25:                               ;   in Loop: Header=BB54_4 Depth=1
	flat_load_b128 v[7:10], v[5:6]
	s_lshl_b64 s[22:23], s[42:43], 4
	v_add_nc_u32_e32 v4, 0x1080, v186
	s_wait_alu 0xfffe
	v_add_co_u32 v2, vcc_lo, v5, s22
	s_wait_alu 0xfffd
	v_add_co_ci_u32_e64 v3, null, s23, v6, vcc_lo
	s_wait_loadcnt_dscnt 0x0
	ds_store_2addr_b64 v186, v[7:8], v[9:10] offset1:1
	flat_load_b128 v[7:10], v[2:3]
	v_add_co_u32 v2, vcc_lo, v2, s50
	s_wait_alu 0xfffd
	v_add_co_ci_u32_e64 v3, null, s51, v3, vcc_lo
	s_wait_loadcnt_dscnt 0x0
	ds_store_2addr_b64 v4, v[7:8], v[9:10] offset1:1
	flat_load_b128 v[7:10], v[2:3]
	v_add_co_u32 v2, vcc_lo, v2, s50
	v_add_nc_u32_e32 v4, 0x2100, v186
	s_wait_alu 0xfffd
	v_add_co_ci_u32_e64 v3, null, s51, v3, vcc_lo
	s_wait_loadcnt_dscnt 0x0
	ds_store_2addr_b64 v4, v[7:8], v[9:10] offset1:1
	flat_load_b128 v[11:14], v[2:3]
	v_dual_mov_b32 v10, v6 :: v_dual_mov_b32 v9, v5
	v_add_nc_u32_e32 v2, 0x3180, v186
	s_wait_loadcnt_dscnt 0x0
	ds_store_2addr_b64 v2, v[11:12], v[13:14] offset1:1
.LBB54_26:                              ;   in Loop: Header=BB54_4 Depth=1
	s_mov_b32 s22, 0
	s_wait_storecnt_dscnt 0x0
	s_barrier_signal -1
	s_barrier_wait -1
	global_inv scope:SCOPE_SE
	s_and_saveexec_b32 s23, s6
	s_wait_alu 0xfffe
	s_xor_b32 s23, exec_lo, s23
; %bb.27:                               ;   in Loop: Header=BB54_4 Depth=1
	s_and_b32 s22, s7, exec_lo
; %bb.28:                               ;   in Loop: Header=BB54_4 Depth=1
	s_wait_alu 0xfffe
	s_or_saveexec_b32 s23, s23
	v_mov_b32_e32 v4, 0
	v_dual_mov_b32 v5, 0 :: v_dual_mov_b32 v6, v192
	s_wait_alu 0xfffe
	s_xor_b32 exec_lo, exec_lo, s23
	s_cbranch_execz .LBB54_30
; %bb.29:                               ;   in Loop: Header=BB54_4 Depth=1
	ds_load_b128 v[2:5], v197
	v_mov_b32_e32 v6, v193
	s_or_b32 s22, s22, exec_lo
	s_wait_dscnt 0x0
	v_xor_b32_e32 v5, 0x80000000, v5
	ds_store_b64 v193, v[2:3]
.LBB54_30:                              ;   in Loop: Header=BB54_4 Depth=1
	s_or_b32 exec_lo, exec_lo, s23
	s_wait_alu 0xfffe
	s_and_saveexec_b32 s23, s22
; %bb.31:                               ;   in Loop: Header=BB54_4 Depth=1
	ds_store_b64 v6, v[4:5] offset:8
; %bb.32:                               ;   in Loop: Header=BB54_4 Depth=1
	s_wait_alu 0xfffe
	s_or_b32 exec_lo, exec_lo, s23
	s_mov_b32 s22, 0
                                        ; implicit-def: $vgpr4_vgpr5
	s_and_saveexec_b32 s23, s8
	s_wait_alu 0xfffe
	s_xor_b32 s23, exec_lo, s23
	s_cbranch_execnz .LBB54_166
; %bb.33:                               ;   in Loop: Header=BB54_4 Depth=1
	s_wait_alu 0xfffe
	s_or_saveexec_b32 s23, s23
	v_add_nc_u32_e32 v2, 16, v193
	s_wait_alu 0xfffe
	s_xor_b32 exec_lo, exec_lo, s23
	s_cbranch_execnz .LBB54_167
.LBB54_34:                              ;   in Loop: Header=BB54_4 Depth=1
	s_or_b32 exec_lo, exec_lo, s23
	s_and_saveexec_b32 s23, s22
.LBB54_35:                              ;   in Loop: Header=BB54_4 Depth=1
	ds_store_b64 v2, v[4:5] offset:8
.LBB54_36:                              ;   in Loop: Header=BB54_4 Depth=1
	s_wait_alu 0xfffe
	s_or_b32 exec_lo, exec_lo, s23
	s_mov_b32 s22, 0
	s_and_saveexec_b32 s23, s10
	s_wait_alu 0xfffe
	s_xor_b32 s23, exec_lo, s23
; %bb.37:                               ;   in Loop: Header=BB54_4 Depth=1
	s_and_b32 s22, s11, exec_lo
; %bb.38:                               ;   in Loop: Header=BB54_4 Depth=1
	s_wait_alu 0xfffe
	s_or_saveexec_b32 s23, s23
	v_mov_b32_e32 v4, 0
	v_dual_mov_b32 v5, 0 :: v_dual_mov_b32 v6, v192
	s_wait_alu 0xfffe
	s_xor_b32 exec_lo, exec_lo, s23
	s_cbranch_execz .LBB54_40
; %bb.39:                               ;   in Loop: Header=BB54_4 Depth=1
	ds_load_b128 v[2:5], v194 offset:528
	v_add_nc_u32_e32 v7, 32, v193
	s_or_b32 s22, s22, exec_lo
	s_delay_alu instid0(VALU_DEP_1)
	v_mov_b32_e32 v6, v7
	s_wait_dscnt 0x0
	v_xor_b32_e32 v5, 0x80000000, v5
	ds_store_b64 v7, v[2:3]
.LBB54_40:                              ;   in Loop: Header=BB54_4 Depth=1
	s_or_b32 exec_lo, exec_lo, s23
	s_wait_alu 0xfffe
	s_and_saveexec_b32 s23, s22
; %bb.41:                               ;   in Loop: Header=BB54_4 Depth=1
	ds_store_b64 v6, v[4:5] offset:8
; %bb.42:                               ;   in Loop: Header=BB54_4 Depth=1
	s_wait_alu 0xfffe
	s_or_b32 exec_lo, exec_lo, s23
	s_mov_b32 s22, 0
	s_and_saveexec_b32 s23, s12
	s_wait_alu 0xfffe
	s_xor_b32 s23, exec_lo, s23
; %bb.43:                               ;   in Loop: Header=BB54_4 Depth=1
	s_and_b32 s22, s13, exec_lo
; %bb.44:                               ;   in Loop: Header=BB54_4 Depth=1
	s_wait_alu 0xfffe
	s_or_saveexec_b32 s23, s23
	v_mov_b32_e32 v4, 0
	v_dual_mov_b32 v5, 0 :: v_dual_mov_b32 v6, v192
	s_wait_alu 0xfffe
	s_xor_b32 exec_lo, exec_lo, s23
	s_cbranch_execz .LBB54_46
; %bb.45:                               ;   in Loop: Header=BB54_4 Depth=1
	ds_load_b128 v[2:5], v194 offset:1056
	v_add_nc_u32_e32 v7, 48, v193
	s_or_b32 s22, s22, exec_lo
	s_delay_alu instid0(VALU_DEP_1)
	v_mov_b32_e32 v6, v7
	s_wait_dscnt 0x0
	v_xor_b32_e32 v5, 0x80000000, v5
	ds_store_b64 v7, v[2:3]
.LBB54_46:                              ;   in Loop: Header=BB54_4 Depth=1
	s_or_b32 exec_lo, exec_lo, s23
	s_wait_alu 0xfffe
	s_and_saveexec_b32 s23, s22
; %bb.47:                               ;   in Loop: Header=BB54_4 Depth=1
	ds_store_b64 v6, v[4:5] offset:8
; %bb.48:                               ;   in Loop: Header=BB54_4 Depth=1
	s_wait_alu 0xfffe
	s_or_b32 exec_lo, exec_lo, s23
	s_wait_loadcnt_dscnt 0x0
	s_barrier_signal -1
	s_barrier_wait -1
	global_inv scope:SCOPE_SE
	ds_load_b128 v[2:5], v197
	ds_load_b128 v[11:14], v198
	ds_load_b128 v[15:18], v198 offset:16
	ds_load_b128 v[19:22], v194 offset:1056
	s_wait_dscnt 0x2
	v_mul_f64_e32 v[27:28], v[13:14], v[4:5]
	v_mul_f64_e32 v[29:30], v[11:12], v[4:5]
	ds_load_b128 v[4:7], v194
	ds_load_b128 v[23:26], v194 offset:528
	s_wait_dscnt 0x1
	v_mul_f64_e32 v[31:32], v[17:18], v[6:7]
	v_mul_f64_e32 v[6:7], v[15:16], v[6:7]
	v_fma_f64 v[33:34], v[11:12], v[2:3], -v[27:28]
	v_fma_f64 v[2:3], v[13:14], v[2:3], v[29:30]
	ds_load_b128 v[11:14], v198 offset:32
	ds_load_b128 v[27:30], v198 offset:48
	s_wait_loadcnt_dscnt 0x0
	s_barrier_signal -1
	s_barrier_wait -1
	global_inv scope:SCOPE_SE
	v_mul_f64_e32 v[35:36], v[13:14], v[25:26]
	v_mul_f64_e32 v[25:26], v[11:12], v[25:26]
	v_fma_f64 v[15:16], v[15:16], v[4:5], -v[31:32]
	v_fma_f64 v[4:5], v[17:18], v[4:5], v[6:7]
	v_mul_f64_e32 v[17:18], v[29:30], v[21:22]
	v_mul_f64_e32 v[21:22], v[27:28], v[21:22]
	v_add_f64_e32 v[6:7], 0, v[33:34]
	v_add_f64_e32 v[2:3], 0, v[2:3]
	v_fma_f64 v[11:12], v[11:12], v[23:24], -v[35:36]
	v_fma_f64 v[13:14], v[13:14], v[23:24], v[25:26]
	s_delay_alu instid0(VALU_DEP_4) | instskip(NEXT) | instid1(VALU_DEP_4)
	v_add_f64_e32 v[6:7], v[6:7], v[15:16]
	v_add_f64_e32 v[2:3], v[2:3], v[4:5]
	v_fma_f64 v[4:5], v[27:28], v[19:20], -v[17:18]
	v_fma_f64 v[15:16], v[29:30], v[19:20], v[21:22]
	s_delay_alu instid0(VALU_DEP_4) | instskip(NEXT) | instid1(VALU_DEP_4)
	v_add_f64_e32 v[6:7], v[6:7], v[11:12]
	v_add_f64_e32 v[2:3], v[2:3], v[13:14]
	s_delay_alu instid0(VALU_DEP_2) | instskip(NEXT) | instid1(VALU_DEP_2)
	v_add_f64_e32 v[11:12], v[6:7], v[4:5]
	v_add_f64_e32 v[13:14], v[2:3], v[15:16]
	v_mov_b32_e32 v5, 0
	v_dual_mov_b32 v6, 0 :: v_dual_mov_b32 v7, 0
	v_mov_b32_e32 v8, 0
	ds_store_b128 v199, v[11:14]
	s_wait_loadcnt_dscnt 0x0
	s_barrier_signal -1
	s_barrier_wait -1
	global_inv scope:SCOPE_SE
	s_and_saveexec_b32 s22, s14
	s_cbranch_execz .LBB54_50
; %bb.49:                               ;   in Loop: Header=BB54_4 Depth=1
	ds_load_b128 v[2:5], v196
	ds_load_b128 v[11:14], v196 offset:16
	s_wait_dscnt 0x0
	v_add_f64_e32 v[6:7], v[11:12], v[2:3]
	v_add_f64_e32 v[15:16], v[13:14], v[4:5]
	ds_load_b128 v[2:5], v196 offset:32
	ds_load_b128 v[11:14], v196 offset:48
	s_wait_dscnt 0x1
	v_add_f64_e32 v[2:3], v[6:7], v[2:3]
	v_add_f64_e32 v[4:5], v[15:16], v[4:5]
	s_wait_dscnt 0x0
	s_delay_alu instid0(VALU_DEP_2) | instskip(NEXT) | instid1(VALU_DEP_2)
	v_add_f64_e32 v[6:7], v[2:3], v[11:12]
	v_add_f64_e32 v[15:16], v[4:5], v[13:14]
	ds_load_b128 v[2:5], v196 offset:64
	ds_load_b128 v[11:14], v196 offset:80
	s_wait_dscnt 0x1
	v_add_f64_e32 v[2:3], v[6:7], v[2:3]
	v_add_f64_e32 v[4:5], v[15:16], v[4:5]
	s_wait_dscnt 0x0
	s_delay_alu instid0(VALU_DEP_2) | instskip(NEXT) | instid1(VALU_DEP_2)
	;; [unrolled: 9-line block ×3, first 2 shown]
	v_add_f64_e32 v[5:6], v[2:3], v[11:12]
	v_add_f64_e32 v[7:8], v[7:8], v[13:14]
.LBB54_50:                              ;   in Loop: Header=BB54_4 Depth=1
	s_wait_alu 0xfffe
	s_or_b32 exec_lo, exec_lo, s22
	v_add_co_u32 v15, vcc_lo, v9, s52
	s_wait_alu 0xfffd
	v_add_co_ci_u32_e64 v16, null, s53, v10, vcc_lo
	s_mov_b32 s22, -1
	v_add_co_u32 v9, vcc_lo, 0x200, v15
	s_wait_alu 0xfffd
	v_add_co_ci_u32_e64 v10, null, 0, v16, vcc_lo
	s_and_b32 vcc_lo, exec_lo, s70
	s_wait_loadcnt 0x0
	s_barrier_signal -1
	s_barrier_wait -1
	global_inv scope:SCOPE_SE
                                        ; implicit-def: $vgpr13_vgpr14
	s_wait_alu 0xfffe
	s_cbranch_vccz .LBB54_62
; %bb.51:                               ;   in Loop: Header=BB54_4 Depth=1
	s_and_saveexec_b32 s22, s16
	s_wait_alu 0xfffe
	s_xor_b32 s22, exec_lo, s22
; %bb.52:                               ;   in Loop: Header=BB54_4 Depth=1
	v_dual_mov_b32 v2, v1 :: v_dual_mov_b32 v3, v1
	v_mov_b32_e32 v4, v1
	ds_store_b128 v186, v[1:4]
; %bb.53:                               ;   in Loop: Header=BB54_4 Depth=1
	s_wait_alu 0xfffe
	s_or_saveexec_b32 s22, s22
	v_add_co_u32 v2, vcc_lo, v15, v174
	s_wait_alu 0xfffd
	v_add_co_ci_u32_e64 v3, null, v16, v175, vcc_lo
	s_lshl_b64 s[64:65], s[40:41], 4
	s_wait_alu 0xfffe
	v_add_co_u32 v2, vcc_lo, v2, s64
	s_wait_alu 0xfffd
	v_add_co_ci_u32_e64 v3, null, s65, v3, vcc_lo
	s_delay_alu instid0(VALU_DEP_2) | instskip(SKIP_1) | instid1(VALU_DEP_2)
	v_add_co_u32 v2, vcc_lo, v2, -16
	s_wait_alu 0xfffd
	v_add_co_ci_u32_e64 v3, null, -1, v3, vcc_lo
	s_delay_alu instid0(VALU_DEP_2) | instskip(NEXT) | instid1(VALU_DEP_2)
	v_cndmask_b32_e64 v11, v2, v9, s15
	v_cndmask_b32_e64 v12, v3, v10, s15
	s_xor_b32 exec_lo, exec_lo, s22
	s_cbranch_execnz .LBB54_176
; %bb.54:                               ;   in Loop: Header=BB54_4 Depth=1
	s_or_b32 exec_lo, exec_lo, s22
	s_and_saveexec_b32 s22, s17
	s_wait_alu 0xfffe
	s_xor_b32 s22, exec_lo, s22
	s_cbranch_execnz .LBB54_177
.LBB54_55:                              ;   in Loop: Header=BB54_4 Depth=1
	s_wait_alu 0xfffe
	s_and_not1_saveexec_b32 s22, s22
	s_cbranch_execnz .LBB54_178
.LBB54_56:                              ;   in Loop: Header=BB54_4 Depth=1
	s_wait_alu 0xfffe
	s_or_b32 exec_lo, exec_lo, s22
	s_and_saveexec_b32 s22, s18
	s_wait_alu 0xfffe
	s_xor_b32 s22, exec_lo, s22
	s_cbranch_execnz .LBB54_179
.LBB54_57:                              ;   in Loop: Header=BB54_4 Depth=1
	s_wait_alu 0xfffe
	s_and_not1_saveexec_b32 s22, s22
	s_cbranch_execnz .LBB54_180
.LBB54_58:                              ;   in Loop: Header=BB54_4 Depth=1
	s_wait_alu 0xfffe
	s_or_b32 exec_lo, exec_lo, s22
	s_and_saveexec_b32 s22, s19
	s_wait_alu 0xfffe
	s_xor_b32 s22, exec_lo, s22
	s_cbranch_execnz .LBB54_181
.LBB54_59:                              ;   in Loop: Header=BB54_4 Depth=1
	s_wait_alu 0xfffe
	s_and_not1_saveexec_b32 s22, s22
	s_cbranch_execz .LBB54_61
.LBB54_60:                              ;   in Loop: Header=BB54_4 Depth=1
	s_lshl_b64 s[64:65], s[46:47], 4
	s_wait_alu 0xfffe
	v_add_co_u32 v2, vcc_lo, v11, s64
	s_wait_alu 0xfffd
	v_add_co_ci_u32_e64 v3, null, s65, v12, vcc_lo
	flat_load_b128 v[17:20], v[2:3]
	v_add_nc_u32_e32 v2, 0x3180, v186
	s_wait_loadcnt_dscnt 0x0
	ds_store_2addr_b64 v2, v[17:18], v[19:20] offset1:1
.LBB54_61:                              ;   in Loop: Header=BB54_4 Depth=1
	s_wait_alu 0xfffe
	s_or_b32 exec_lo, exec_lo, s22
	scratch_load_b32 v2, off, off           ; 4-byte Folded Reload
	s_lshl_b64 s[22:23], s[48:49], 4
	s_wait_loadcnt 0x0
	v_add_co_u32 v2, vcc_lo, v11, v2
	s_wait_alu 0xfffd
	v_add_co_ci_u32_e64 v3, null, 0, v12, vcc_lo
	s_wait_alu 0xfffe
	s_delay_alu instid0(VALU_DEP_2) | instskip(SKIP_1) | instid1(VALU_DEP_2)
	v_add_co_u32 v2, vcc_lo, v2, s22
	s_wait_alu 0xfffd
	v_add_co_ci_u32_e64 v3, null, s23, v3, vcc_lo
	s_mov_b32 s22, 0
	v_add_co_u32 v2, vcc_lo, 0x210, v2
	s_wait_alu 0xfffd
	v_add_co_ci_u32_e64 v3, null, 0, v3, vcc_lo
	s_delay_alu instid0(VALU_DEP_2) | instskip(NEXT) | instid1(VALU_DEP_2)
	v_cndmask_b32_e64 v13, v2, v9, s15
	v_cndmask_b32_e64 v14, v3, v10, s15
.LBB54_62:                              ;   in Loop: Header=BB54_4 Depth=1
	s_wait_alu 0xfffe
	s_and_b32 vcc_lo, exec_lo, s22
	s_wait_alu 0xfffe
	s_cbranch_vccz .LBB54_64
; %bb.63:                               ;   in Loop: Header=BB54_4 Depth=1
	flat_load_b128 v[11:14], v[9:10]
	s_lshl_b64 s[22:23], s[42:43], 4
	v_add_nc_u32_e32 v4, 0x1080, v186
	s_wait_alu 0xfffe
	v_add_co_u32 v2, vcc_lo, v15, s22
	s_wait_alu 0xfffd
	v_add_co_ci_u32_e64 v3, null, s23, v16, vcc_lo
	s_wait_loadcnt_dscnt 0x0
	ds_store_2addr_b64 v186, v[11:12], v[13:14] offset1:1
	flat_load_b128 v[11:14], v[2:3] offset:512
	v_add_co_u32 v2, vcc_lo, v2, s50
	s_wait_alu 0xfffd
	v_add_co_ci_u32_e64 v3, null, s51, v3, vcc_lo
	s_wait_loadcnt_dscnt 0x0
	ds_store_2addr_b64 v4, v[11:12], v[13:14] offset1:1
	flat_load_b128 v[11:14], v[2:3] offset:512
	v_add_co_u32 v2, vcc_lo, v2, s50
	v_add_nc_u32_e32 v4, 0x2100, v186
	s_wait_alu 0xfffd
	v_add_co_ci_u32_e64 v3, null, s51, v3, vcc_lo
	s_wait_loadcnt_dscnt 0x0
	ds_store_2addr_b64 v4, v[11:12], v[13:14] offset1:1
	flat_load_b128 v[15:18], v[2:3] offset:512
	v_dual_mov_b32 v14, v10 :: v_dual_mov_b32 v13, v9
	v_add_nc_u32_e32 v2, 0x3180, v186
	s_wait_loadcnt_dscnt 0x0
	ds_store_2addr_b64 v2, v[15:16], v[17:18] offset1:1
.LBB54_64:                              ;   in Loop: Header=BB54_4 Depth=1
	s_mov_b32 s22, 0
	s_wait_loadcnt_dscnt 0x0
	s_barrier_signal -1
	s_barrier_wait -1
	global_inv scope:SCOPE_SE
	s_and_saveexec_b32 s23, s6
	s_wait_alu 0xfffe
	s_xor_b32 s23, exec_lo, s23
; %bb.65:                               ;   in Loop: Header=BB54_4 Depth=1
	s_and_b32 s22, s7, exec_lo
; %bb.66:                               ;   in Loop: Header=BB54_4 Depth=1
	s_wait_alu 0xfffe
	s_or_saveexec_b32 s23, s23
	v_dual_mov_b32 v11, 0 :: v_dual_mov_b32 v2, v192
	v_mov_b32_e32 v12, 0
	s_wait_alu 0xfffe
	s_xor_b32 exec_lo, exec_lo, s23
	s_cbranch_execz .LBB54_68
; %bb.67:                               ;   in Loop: Header=BB54_4 Depth=1
	ds_load_b128 v[9:12], v197
	v_mov_b32_e32 v2, v193
	s_or_b32 s22, s22, exec_lo
	s_wait_dscnt 0x0
	v_xor_b32_e32 v12, 0x80000000, v12
	ds_store_b64 v193, v[9:10]
.LBB54_68:                              ;   in Loop: Header=BB54_4 Depth=1
	s_or_b32 exec_lo, exec_lo, s23
	s_wait_alu 0xfffe
	s_and_saveexec_b32 s23, s22
; %bb.69:                               ;   in Loop: Header=BB54_4 Depth=1
	ds_store_b64 v2, v[11:12] offset:8
; %bb.70:                               ;   in Loop: Header=BB54_4 Depth=1
	s_wait_alu 0xfffe
	s_or_b32 exec_lo, exec_lo, s23
	s_mov_b32 s22, 0
                                        ; implicit-def: $vgpr11_vgpr12
	s_and_saveexec_b32 s23, s8
	s_wait_alu 0xfffe
	s_xor_b32 s23, exec_lo, s23
	s_cbranch_execnz .LBB54_168
; %bb.71:                               ;   in Loop: Header=BB54_4 Depth=1
	s_wait_alu 0xfffe
	s_or_saveexec_b32 s23, s23
	v_add_nc_u32_e32 v2, 16, v193
	s_wait_alu 0xfffe
	s_xor_b32 exec_lo, exec_lo, s23
	s_cbranch_execnz .LBB54_169
.LBB54_72:                              ;   in Loop: Header=BB54_4 Depth=1
	s_or_b32 exec_lo, exec_lo, s23
	s_and_saveexec_b32 s23, s22
.LBB54_73:                              ;   in Loop: Header=BB54_4 Depth=1
	ds_store_b64 v2, v[11:12] offset:8
.LBB54_74:                              ;   in Loop: Header=BB54_4 Depth=1
	s_wait_alu 0xfffe
	s_or_b32 exec_lo, exec_lo, s23
	s_mov_b32 s22, 0
	s_and_saveexec_b32 s23, s10
	s_wait_alu 0xfffe
	s_xor_b32 s23, exec_lo, s23
; %bb.75:                               ;   in Loop: Header=BB54_4 Depth=1
	s_and_b32 s22, s11, exec_lo
; %bb.76:                               ;   in Loop: Header=BB54_4 Depth=1
	s_wait_alu 0xfffe
	s_or_saveexec_b32 s23, s23
	v_dual_mov_b32 v11, 0 :: v_dual_mov_b32 v2, v192
	v_mov_b32_e32 v12, 0
	s_wait_alu 0xfffe
	s_xor_b32 exec_lo, exec_lo, s23
	s_cbranch_execz .LBB54_78
; %bb.77:                               ;   in Loop: Header=BB54_4 Depth=1
	ds_load_b128 v[9:12], v194 offset:528
	v_add_nc_u32_e32 v3, 32, v193
	s_or_b32 s22, s22, exec_lo
	s_delay_alu instid0(VALU_DEP_1)
	v_mov_b32_e32 v2, v3
	s_wait_dscnt 0x0
	v_xor_b32_e32 v12, 0x80000000, v12
	ds_store_b64 v3, v[9:10]
.LBB54_78:                              ;   in Loop: Header=BB54_4 Depth=1
	s_or_b32 exec_lo, exec_lo, s23
	s_wait_alu 0xfffe
	s_and_saveexec_b32 s23, s22
; %bb.79:                               ;   in Loop: Header=BB54_4 Depth=1
	ds_store_b64 v2, v[11:12] offset:8
; %bb.80:                               ;   in Loop: Header=BB54_4 Depth=1
	s_wait_alu 0xfffe
	s_or_b32 exec_lo, exec_lo, s23
	s_mov_b32 s22, 0
	s_and_saveexec_b32 s23, s12
	s_wait_alu 0xfffe
	s_xor_b32 s23, exec_lo, s23
; %bb.81:                               ;   in Loop: Header=BB54_4 Depth=1
	s_and_b32 s22, s13, exec_lo
; %bb.82:                               ;   in Loop: Header=BB54_4 Depth=1
	s_wait_alu 0xfffe
	s_or_saveexec_b32 s23, s23
	v_dual_mov_b32 v11, 0 :: v_dual_mov_b32 v2, v192
	v_mov_b32_e32 v12, 0
	s_wait_alu 0xfffe
	s_xor_b32 exec_lo, exec_lo, s23
	s_cbranch_execz .LBB54_84
; %bb.83:                               ;   in Loop: Header=BB54_4 Depth=1
	ds_load_b128 v[9:12], v194 offset:1056
	v_add_nc_u32_e32 v3, 48, v193
	s_or_b32 s22, s22, exec_lo
	s_delay_alu instid0(VALU_DEP_1)
	v_mov_b32_e32 v2, v3
	s_wait_dscnt 0x0
	v_xor_b32_e32 v12, 0x80000000, v12
	ds_store_b64 v3, v[9:10]
.LBB54_84:                              ;   in Loop: Header=BB54_4 Depth=1
	s_or_b32 exec_lo, exec_lo, s23
	s_wait_alu 0xfffe
	s_and_saveexec_b32 s23, s22
; %bb.85:                               ;   in Loop: Header=BB54_4 Depth=1
	ds_store_b64 v2, v[11:12] offset:8
; %bb.86:                               ;   in Loop: Header=BB54_4 Depth=1
	s_wait_alu 0xfffe
	s_or_b32 exec_lo, exec_lo, s23
	s_wait_loadcnt_dscnt 0x0
	s_barrier_signal -1
	s_barrier_wait -1
	global_inv scope:SCOPE_SE
	ds_load_b128 v[9:12], v197
	ds_load_b128 v[15:18], v198 offset:512
	ds_load_b128 v[19:22], v198 offset:528
	;; [unrolled: 1-line block ×3, first 2 shown]
	ds_load_b128 v[27:30], v194
	ds_load_b128 v[31:34], v194 offset:528
	s_wait_dscnt 0x4
	v_mul_f64_e32 v[2:3], v[17:18], v[11:12]
	v_mul_f64_e32 v[11:12], v[15:16], v[11:12]
	s_wait_dscnt 0x1
	v_mul_f64_e32 v[35:36], v[21:22], v[29:30]
	v_mul_f64_e32 v[29:30], v[19:20], v[29:30]
	s_delay_alu instid0(VALU_DEP_4) | instskip(NEXT) | instid1(VALU_DEP_4)
	v_fma_f64 v[2:3], v[15:16], v[9:10], -v[2:3]
	v_fma_f64 v[37:38], v[17:18], v[9:10], v[11:12]
	ds_load_b128 v[9:12], v198 offset:544
	ds_load_b128 v[15:18], v198 offset:560
	v_fma_f64 v[19:20], v[19:20], v[27:28], -v[35:36]
	v_fma_f64 v[21:22], v[21:22], v[27:28], v[29:30]
	s_wait_loadcnt_dscnt 0x0
	s_barrier_signal -1
	s_barrier_wait -1
	global_inv scope:SCOPE_SE
	v_mul_f64_e32 v[39:40], v[11:12], v[33:34]
	v_mul_f64_e32 v[33:34], v[9:10], v[33:34]
	;; [unrolled: 1-line block ×4, first 2 shown]
	v_add_f64_e32 v[2:3], 0, v[2:3]
	v_add_f64_e32 v[27:28], 0, v[37:38]
	v_fma_f64 v[9:10], v[9:10], v[31:32], -v[39:40]
	v_fma_f64 v[11:12], v[11:12], v[31:32], v[33:34]
	v_fma_f64 v[15:16], v[15:16], v[23:24], -v[29:30]
	v_fma_f64 v[17:18], v[17:18], v[23:24], v[25:26]
	v_add_f64_e32 v[2:3], v[2:3], v[19:20]
	v_add_f64_e32 v[19:20], v[27:28], v[21:22]
	s_delay_alu instid0(VALU_DEP_2) | instskip(NEXT) | instid1(VALU_DEP_2)
	v_add_f64_e32 v[2:3], v[2:3], v[9:10]
	v_add_f64_e32 v[11:12], v[19:20], v[11:12]
	s_delay_alu instid0(VALU_DEP_2) | instskip(NEXT) | instid1(VALU_DEP_2)
	v_add_f64_e32 v[9:10], v[2:3], v[15:16]
	v_add_f64_e32 v[11:12], v[11:12], v[17:18]
	ds_store_b128 v199, v[9:12]
	s_wait_loadcnt_dscnt 0x0
	s_barrier_signal -1
	s_barrier_wait -1
	global_inv scope:SCOPE_SE
	s_and_saveexec_b32 s22, s20
	s_cbranch_execz .LBB54_88
; %bb.87:                               ;   in Loop: Header=BB54_4 Depth=1
	ds_load_b128 v[2:5], v196
	ds_load_b128 v[6:9], v196 offset:16
	s_wait_dscnt 0x0
	v_add_f64_e32 v[10:11], v[6:7], v[2:3]
	v_add_f64_e32 v[15:16], v[8:9], v[4:5]
	ds_load_b128 v[2:5], v196 offset:32
	ds_load_b128 v[6:9], v196 offset:48
	s_wait_dscnt 0x1
	v_add_f64_e32 v[2:3], v[10:11], v[2:3]
	v_add_f64_e32 v[4:5], v[15:16], v[4:5]
	s_wait_dscnt 0x0
	s_delay_alu instid0(VALU_DEP_2) | instskip(NEXT) | instid1(VALU_DEP_2)
	v_add_f64_e32 v[10:11], v[2:3], v[6:7]
	v_add_f64_e32 v[15:16], v[4:5], v[8:9]
	ds_load_b128 v[2:5], v196 offset:64
	ds_load_b128 v[6:9], v196 offset:80
	s_wait_dscnt 0x1
	v_add_f64_e32 v[2:3], v[10:11], v[2:3]
	v_add_f64_e32 v[4:5], v[15:16], v[4:5]
	s_wait_dscnt 0x0
	s_delay_alu instid0(VALU_DEP_2) | instskip(NEXT) | instid1(VALU_DEP_2)
	;; [unrolled: 9-line block ×3, first 2 shown]
	v_add_f64_e32 v[5:6], v[2:3], v[6:7]
	v_add_f64_e32 v[7:8], v[10:11], v[8:9]
.LBB54_88:                              ;   in Loop: Header=BB54_4 Depth=1
	s_wait_alu 0xfffe
	s_or_b32 exec_lo, exec_lo, s22
	v_add_co_u32 v9, vcc_lo, 0xfffffe00, v13
	s_wait_alu 0xfffd
	v_add_co_ci_u32_e64 v10, null, -1, v14, vcc_lo
	s_and_b32 vcc_lo, exec_lo, s70
	s_mov_b32 s22, -1
	s_wait_loadcnt 0x0
	s_barrier_signal -1
	s_barrier_wait -1
	global_inv scope:SCOPE_SE
                                        ; implicit-def: $vgpr2_vgpr3
	s_wait_alu 0xfffe
	s_cbranch_vccz .LBB54_100
; %bb.89:                               ;   in Loop: Header=BB54_4 Depth=1
	s_and_saveexec_b32 s22, s16
	s_wait_alu 0xfffe
	s_xor_b32 s22, exec_lo, s22
; %bb.90:                               ;   in Loop: Header=BB54_4 Depth=1
	v_dual_mov_b32 v2, v1 :: v_dual_mov_b32 v3, v1
	v_mov_b32_e32 v4, v1
	ds_store_b128 v186, v[1:4]
; %bb.91:                               ;   in Loop: Header=BB54_4 Depth=1
	s_wait_alu 0xfffe
	s_or_saveexec_b32 s22, s22
	v_add_co_u32 v2, vcc_lo, v13, v174
	s_wait_alu 0xfffd
	v_add_co_ci_u32_e64 v3, null, v14, v175, vcc_lo
	s_lshl_b64 s[64:65], s[40:41], 4
	s_wait_alu 0xfffe
	v_add_co_u32 v2, vcc_lo, v2, s64
	s_wait_alu 0xfffd
	v_add_co_ci_u32_e64 v3, null, s65, v3, vcc_lo
	s_delay_alu instid0(VALU_DEP_2) | instskip(SKIP_1) | instid1(VALU_DEP_2)
	v_add_co_u32 v2, vcc_lo, 0xfffffdf0, v2
	s_wait_alu 0xfffd
	v_add_co_ci_u32_e64 v3, null, -1, v3, vcc_lo
	s_delay_alu instid0(VALU_DEP_2) | instskip(NEXT) | instid1(VALU_DEP_2)
	v_cndmask_b32_e64 v11, v2, v9, s1
	v_cndmask_b32_e64 v12, v3, v10, s1
	s_xor_b32 exec_lo, exec_lo, s22
	s_cbranch_execnz .LBB54_182
; %bb.92:                               ;   in Loop: Header=BB54_4 Depth=1
	s_or_b32 exec_lo, exec_lo, s22
	s_and_saveexec_b32 s22, s17
	s_wait_alu 0xfffe
	s_xor_b32 s22, exec_lo, s22
	s_cbranch_execnz .LBB54_183
.LBB54_93:                              ;   in Loop: Header=BB54_4 Depth=1
	s_wait_alu 0xfffe
	s_and_not1_saveexec_b32 s22, s22
	s_cbranch_execnz .LBB54_184
.LBB54_94:                              ;   in Loop: Header=BB54_4 Depth=1
	s_wait_alu 0xfffe
	s_or_b32 exec_lo, exec_lo, s22
	s_and_saveexec_b32 s22, s18
	s_wait_alu 0xfffe
	s_xor_b32 s22, exec_lo, s22
	s_cbranch_execnz .LBB54_185
.LBB54_95:                              ;   in Loop: Header=BB54_4 Depth=1
	s_wait_alu 0xfffe
	s_and_not1_saveexec_b32 s22, s22
	s_cbranch_execnz .LBB54_186
.LBB54_96:                              ;   in Loop: Header=BB54_4 Depth=1
	s_wait_alu 0xfffe
	s_or_b32 exec_lo, exec_lo, s22
	s_and_saveexec_b32 s22, s19
	s_wait_alu 0xfffe
	s_xor_b32 s22, exec_lo, s22
	s_cbranch_execnz .LBB54_187
.LBB54_97:                              ;   in Loop: Header=BB54_4 Depth=1
	s_wait_alu 0xfffe
	s_and_not1_saveexec_b32 s22, s22
	s_cbranch_execz .LBB54_99
.LBB54_98:                              ;   in Loop: Header=BB54_4 Depth=1
	s_lshl_b64 s[64:65], s[46:47], 4
	s_wait_alu 0xfffe
	v_add_co_u32 v2, vcc_lo, v11, s64
	s_wait_alu 0xfffd
	v_add_co_ci_u32_e64 v3, null, s65, v12, vcc_lo
	flat_load_b128 v[15:18], v[2:3]
	v_add_nc_u32_e32 v2, 0x3180, v186
	s_wait_loadcnt_dscnt 0x0
	ds_store_2addr_b64 v2, v[15:16], v[17:18] offset1:1
.LBB54_99:                              ;   in Loop: Header=BB54_4 Depth=1
	s_wait_alu 0xfffe
	s_or_b32 exec_lo, exec_lo, s22
	scratch_load_b32 v2, off, off           ; 4-byte Folded Reload
	s_lshl_b64 s[22:23], s[48:49], 4
	s_wait_loadcnt 0x0
	v_add_co_u32 v2, vcc_lo, v11, v2
	s_wait_alu 0xfffd
	v_add_co_ci_u32_e64 v3, null, 0, v12, vcc_lo
	s_wait_alu 0xfffe
	s_delay_alu instid0(VALU_DEP_2) | instskip(SKIP_1) | instid1(VALU_DEP_2)
	v_add_co_u32 v2, vcc_lo, v2, s22
	s_wait_alu 0xfffd
	v_add_co_ci_u32_e64 v3, null, s23, v3, vcc_lo
	s_mov_b32 s22, 0
	v_add_co_u32 v2, vcc_lo, v2, 16
	s_wait_alu 0xfffd
	v_add_co_ci_u32_e64 v3, null, 0, v3, vcc_lo
	s_delay_alu instid0(VALU_DEP_2) | instskip(NEXT) | instid1(VALU_DEP_2)
	v_cndmask_b32_e64 v2, v2, v9, s1
	v_cndmask_b32_e64 v3, v3, v10, s1
.LBB54_100:                             ;   in Loop: Header=BB54_4 Depth=1
	s_wait_alu 0xfffe
	s_and_b32 vcc_lo, exec_lo, s22
	s_wait_alu 0xfffe
	s_cbranch_vccz .LBB54_102
; %bb.101:                              ;   in Loop: Header=BB54_4 Depth=1
	flat_load_b128 v[15:18], v[9:10]
	s_lshl_b64 s[22:23], s[42:43], 4
	v_add_nc_u32_e32 v4, 0x1080, v186
	s_wait_alu 0xfffe
	v_add_co_u32 v2, vcc_lo, v13, s22
	s_wait_alu 0xfffd
	v_add_co_ci_u32_e64 v3, null, s23, v14, vcc_lo
	s_wait_loadcnt_dscnt 0x0
	ds_store_2addr_b64 v186, v[15:16], v[17:18] offset1:1
	flat_load_b128 v[11:14], v[2:3] offset:-512
	v_add_co_u32 v2, vcc_lo, v2, s50
	s_wait_alu 0xfffd
	v_add_co_ci_u32_e64 v3, null, s51, v3, vcc_lo
	s_wait_loadcnt_dscnt 0x0
	ds_store_2addr_b64 v4, v[11:12], v[13:14] offset1:1
	flat_load_b128 v[11:14], v[2:3] offset:-512
	v_add_co_u32 v2, vcc_lo, v2, s50
	v_add_nc_u32_e32 v4, 0x2100, v186
	s_wait_alu 0xfffd
	v_add_co_ci_u32_e64 v3, null, s51, v3, vcc_lo
	s_wait_loadcnt_dscnt 0x0
	ds_store_2addr_b64 v4, v[11:12], v[13:14] offset1:1
	flat_load_b128 v[11:14], v[2:3] offset:-512
	v_dual_mov_b32 v2, v9 :: v_dual_mov_b32 v3, v10
	v_add_nc_u32_e32 v4, 0x3180, v186
	s_wait_loadcnt_dscnt 0x0
	ds_store_2addr_b64 v4, v[11:12], v[13:14] offset1:1
.LBB54_102:                             ;   in Loop: Header=BB54_4 Depth=1
	s_wait_loadcnt_dscnt 0x0
	scratch_load_b32 v9, off, off offset:4  ; 4-byte Folded Reload
	s_barrier_signal -1
	s_barrier_wait -1
	s_wait_loadcnt 0x0
	global_inv scope:SCOPE_SE
	v_add_nc_u32_e32 v4, v193, v9
	v_add_nc_u32_e32 v13, v198, v9
	ds_load_b128 v[9:12], v4
	ds_load_b128 v[13:16], v13
	scratch_load_b32 v4, off, off offset:12 ; 4-byte Folded Reload
	s_wait_loadcnt 0x0
	ds_load_b128 v[17:20], v4 offset:128
	ds_load_b128 v[21:24], v199 offset:128
	;; [unrolled: 1-line block ×4, first 2 shown]
	s_wait_dscnt 0x4
	v_mul_f64_e32 v[33:34], v[11:12], v[15:16]
	v_mul_f64_e32 v[11:12], v[11:12], v[13:14]
	s_wait_dscnt 0x2
	v_mul_f64_e32 v[35:36], v[23:24], v[19:20]
	v_mul_f64_e32 v[23:24], v[23:24], v[17:18]
	s_delay_alu instid0(VALU_DEP_4) | instskip(NEXT) | instid1(VALU_DEP_4)
	v_fma_f64 v[33:34], v[9:10], v[13:14], v[33:34]
	v_fma_f64 v[37:38], v[9:10], v[15:16], -v[11:12]
	ds_load_b128 v[9:12], v4 offset:256
	ds_load_b128 v[13:16], v4 offset:384
	v_fma_f64 v[17:18], v[21:22], v[17:18], v[35:36]
	v_fma_f64 v[19:20], v[21:22], v[19:20], -v[23:24]
	s_wait_dscnt 0x1
	v_mul_f64_e32 v[39:40], v[27:28], v[11:12]
	v_mul_f64_e32 v[27:28], v[27:28], v[9:10]
	v_add_f64_e32 v[21:22], 0, v[33:34]
	v_add_f64_e32 v[23:24], 0, v[37:38]
	s_wait_dscnt 0x0
	v_mul_f64_e32 v[33:34], v[31:32], v[15:16]
	v_mul_f64_e32 v[31:32], v[31:32], v[13:14]
	v_fma_f64 v[9:10], v[25:26], v[9:10], v[39:40]
	v_fma_f64 v[11:12], v[25:26], v[11:12], -v[27:28]
	v_add_f64_e32 v[17:18], v[21:22], v[17:18]
	v_add_f64_e32 v[19:20], v[23:24], v[19:20]
	v_fma_f64 v[13:14], v[29:30], v[13:14], v[33:34]
	v_fma_f64 v[15:16], v[29:30], v[15:16], -v[31:32]
	s_delay_alu instid0(VALU_DEP_4) | instskip(NEXT) | instid1(VALU_DEP_4)
	v_add_f64_e32 v[9:10], v[17:18], v[9:10]
	v_add_f64_e32 v[11:12], v[19:20], v[11:12]
	s_delay_alu instid0(VALU_DEP_2) | instskip(NEXT) | instid1(VALU_DEP_2)
	v_add_f64_e32 v[43:44], v[9:10], v[13:14]
	v_add_f64_e32 v[45:46], v[11:12], v[15:16]
	ds_load_b128 v[33:36], v198 offset:512
	ds_load_b128 v[25:28], v198 offset:528
	;; [unrolled: 1-line block ×4, first 2 shown]
	ds_load_b128 v[29:32], v194
	ds_load_b128 v[21:24], v194 offset:528
	ds_load_b128 v[37:40], v197
	ds_load_b128 v[17:20], v194 offset:1056
	s_wait_dscnt 0x0
	s_barrier_signal -1
	s_barrier_wait -1
	global_inv scope:SCOPE_SE
	ds_store_b128 v199, v[43:46]
	s_wait_loadcnt_dscnt 0x0
	s_barrier_signal -1
	s_barrier_wait -1
	global_inv scope:SCOPE_SE
	s_and_saveexec_b32 s22, s20
	s_cbranch_execz .LBB54_104
; %bb.103:                              ;   in Loop: Header=BB54_4 Depth=1
	ds_load_b128 v[43:46], v196
	ds_load_b128 v[47:50], v196 offset:16
	s_wait_dscnt 0x1
	v_add_f64_e32 v[4:5], v[5:6], v[43:44]
	v_add_f64_e32 v[6:7], v[7:8], v[45:46]
	s_wait_dscnt 0x0
	s_delay_alu instid0(VALU_DEP_2) | instskip(NEXT) | instid1(VALU_DEP_2)
	v_add_f64_e32 v[47:48], v[4:5], v[47:48]
	v_add_f64_e32 v[49:50], v[6:7], v[49:50]
	ds_load_b128 v[4:7], v196 offset:32
	ds_load_b128 v[43:46], v196 offset:48
	s_wait_dscnt 0x1
	v_add_f64_e32 v[4:5], v[47:48], v[4:5]
	v_add_f64_e32 v[6:7], v[49:50], v[6:7]
	s_wait_dscnt 0x0
	s_delay_alu instid0(VALU_DEP_2) | instskip(NEXT) | instid1(VALU_DEP_2)
	v_add_f64_e32 v[47:48], v[4:5], v[43:44]
	v_add_f64_e32 v[49:50], v[6:7], v[45:46]
	ds_load_b128 v[4:7], v196 offset:64
	;; [unrolled: 9-line block ×3, first 2 shown]
	ds_load_b128 v[43:46], v196 offset:112
	s_wait_dscnt 0x1
	v_add_f64_e32 v[4:5], v[47:48], v[4:5]
	v_add_f64_e32 v[7:8], v[49:50], v[6:7]
	s_wait_dscnt 0x0
	s_delay_alu instid0(VALU_DEP_2) | instskip(NEXT) | instid1(VALU_DEP_2)
	v_add_f64_e32 v[5:6], v[4:5], v[43:44]
	v_add_f64_e32 v[7:8], v[7:8], v[45:46]
.LBB54_104:                             ;   in Loop: Header=BB54_4 Depth=1
	s_wait_alu 0xfffe
	s_or_b32 exec_lo, exec_lo, s22
	v_mul_f64_e32 v[43:44], v[35:36], v[39:40]
	v_mul_f64_e32 v[39:40], v[33:34], v[39:40]
	;; [unrolled: 1-line block ×4, first 2 shown]
	s_wait_loadcnt 0x0
	s_barrier_signal -1
	s_barrier_wait -1
	global_inv scope:SCOPE_SE
	v_fma_f64 v[33:34], v[33:34], v[37:38], -v[43:44]
	v_fma_f64 v[35:36], v[35:36], v[37:38], v[39:40]
	v_mul_f64_e32 v[37:38], v[15:16], v[23:24]
	v_mul_f64_e32 v[23:24], v[13:14], v[23:24]
	v_fma_f64 v[25:26], v[25:26], v[29:30], -v[45:46]
	v_fma_f64 v[27:28], v[27:28], v[29:30], v[31:32]
	v_add_f64_e32 v[29:30], 0, v[33:34]
	v_add_f64_e32 v[31:32], 0, v[35:36]
	v_mul_f64_e32 v[33:34], v[11:12], v[19:20]
	v_mul_f64_e32 v[19:20], v[9:10], v[19:20]
	v_fma_f64 v[13:14], v[13:14], v[21:22], -v[37:38]
	v_fma_f64 v[15:16], v[15:16], v[21:22], v[23:24]
	v_add_f64_e32 v[21:22], v[29:30], v[25:26]
	v_add_f64_e32 v[23:24], v[31:32], v[27:28]
	v_fma_f64 v[9:10], v[9:10], v[17:18], -v[33:34]
	v_fma_f64 v[11:12], v[11:12], v[17:18], v[19:20]
	s_delay_alu instid0(VALU_DEP_4) | instskip(NEXT) | instid1(VALU_DEP_4)
	v_add_f64_e32 v[13:14], v[21:22], v[13:14]
	v_add_f64_e32 v[15:16], v[23:24], v[15:16]
	s_delay_alu instid0(VALU_DEP_2) | instskip(NEXT) | instid1(VALU_DEP_2)
	v_add_f64_e32 v[9:10], v[13:14], v[9:10]
	v_add_f64_e32 v[11:12], v[15:16], v[11:12]
	ds_store_b128 v199, v[9:12]
	s_wait_loadcnt_dscnt 0x0
	s_barrier_signal -1
	s_barrier_wait -1
	global_inv scope:SCOPE_SE
	s_and_saveexec_b32 s22, s14
	s_cbranch_execz .LBB54_106
; %bb.105:                              ;   in Loop: Header=BB54_4 Depth=1
	ds_load_b128 v[9:12], v196
	ds_load_b128 v[13:16], v196 offset:16
	s_wait_dscnt 0x1
	v_add_f64_e32 v[4:5], v[5:6], v[9:10]
	v_add_f64_e32 v[6:7], v[7:8], v[11:12]
	s_wait_dscnt 0x0
	s_delay_alu instid0(VALU_DEP_2) | instskip(NEXT) | instid1(VALU_DEP_2)
	v_add_f64_e32 v[12:13], v[4:5], v[13:14]
	v_add_f64_e32 v[14:15], v[6:7], v[15:16]
	ds_load_b128 v[4:7], v196 offset:32
	ds_load_b128 v[8:11], v196 offset:48
	s_wait_dscnt 0x1
	v_add_f64_e32 v[4:5], v[12:13], v[4:5]
	v_add_f64_e32 v[6:7], v[14:15], v[6:7]
	s_wait_dscnt 0x0
	s_delay_alu instid0(VALU_DEP_2) | instskip(NEXT) | instid1(VALU_DEP_2)
	v_add_f64_e32 v[12:13], v[4:5], v[8:9]
	v_add_f64_e32 v[14:15], v[6:7], v[10:11]
	ds_load_b128 v[4:7], v196 offset:64
	;; [unrolled: 9-line block ×3, first 2 shown]
	ds_load_b128 v[8:11], v196 offset:112
	s_wait_dscnt 0x1
	v_add_f64_e32 v[4:5], v[12:13], v[4:5]
	v_add_f64_e32 v[12:13], v[14:15], v[6:7]
	s_wait_dscnt 0x0
	s_delay_alu instid0(VALU_DEP_2) | instskip(NEXT) | instid1(VALU_DEP_2)
	v_add_f64_e32 v[5:6], v[4:5], v[8:9]
	v_add_f64_e32 v[7:8], v[12:13], v[10:11]
.LBB54_106:                             ;   in Loop: Header=BB54_4 Depth=1
	s_wait_alu 0xfffe
	s_or_b32 exec_lo, exec_lo, s22
	s_mul_u64 s[22:23], s[38:39], s[34:35]
	s_and_not1_b32 vcc_lo, exec_lo, s72
	s_wait_alu 0xfffe
	s_lshl_b64 s[22:23], s[22:23], 4
	s_wait_loadcnt 0x0
	s_wait_alu 0xfffe
	s_add_nc_u64 s[64:65], s[44:45], s[22:23]
	s_barrier_signal -1
	s_barrier_wait -1
	global_inv scope:SCOPE_SE
	s_cbranch_vccnz .LBB54_164
; %bb.107:                              ;   in Loop: Header=BB54_4 Depth=1
	scratch_load_b32 v4, off, off offset:48 ; 4-byte Folded Reload
	v_add_co_u32 v201, vcc_lo, v41, s62
	s_wait_alu 0xfffd
	v_add_co_ci_u32_e64 v255, null, s63, v42, vcc_lo
	s_mov_b32 s23, ttmp9
	s_mov_b32 s66, s76
	s_clause 0x1
	scratch_load_b64 v[9:10], off, off offset:36
	scratch_load_b32 v184, off, off offset:32
	s_wait_loadcnt 0x2
	v_add_co_u32 v209, vcc_lo, v2, v4
	scratch_load_b32 v4, off, off offset:44 ; 4-byte Folded Reload
	s_wait_loadcnt 0x0
	s_wait_alu 0xfffd
	v_add_co_ci_u32_e64 v212, null, v3, v4, vcc_lo
	scratch_load_b32 v4, off, off offset:56 ; 4-byte Folded Reload
	s_wait_loadcnt 0x0
	v_add_co_u32 v213, vcc_lo, v2, v4
	scratch_load_b32 v4, off, off offset:52 ; 4-byte Folded Reload
	s_wait_loadcnt 0x0
	s_wait_alu 0xfffd
	v_add_co_ci_u32_e64 v214, null, v3, v4, vcc_lo
	scratch_load_b32 v4, off, off offset:60 ; 4-byte Folded Reload
	;; [unrolled: 7-line block ×5, first 2 shown]
	v_add_co_u32 v221, vcc_lo, v2, v9
	s_wait_alu 0xfffd
	v_add_co_ci_u32_e64 v222, null, v3, v10, vcc_lo
	s_wait_loadcnt 0x0
	v_add_co_u32 v223, vcc_lo, v2, v4
	scratch_load_b32 v4, off, off offset:88 ; 4-byte Folded Reload
	s_wait_loadcnt 0x0
	s_wait_alu 0xfffd
	v_add_co_ci_u32_e64 v224, null, v3, v4, vcc_lo
	scratch_load_b32 v4, off, off offset:92 ; 4-byte Folded Reload
	s_wait_loadcnt 0x0
	v_add_co_u32 v225, vcc_lo, v2, v4
	scratch_load_b32 v4, off, off offset:96 ; 4-byte Folded Reload
	s_wait_loadcnt 0x0
	s_wait_alu 0xfffd
	v_add_co_ci_u32_e64 v226, null, v3, v4, vcc_lo
	scratch_load_b32 v4, off, off offset:100 ; 4-byte Folded Reload
	;; [unrolled: 7-line block ×13, first 2 shown]
	s_wait_loadcnt 0x0
	v_add_co_u32 v249, vcc_lo, v2, v4
	scratch_load_b32 v2, off, off offset:188 ; 4-byte Folded Reload
	s_wait_loadcnt 0x0
	s_wait_alu 0xfffd
	v_add_co_ci_u32_e64 v195, null, v3, v2, vcc_lo
	s_wait_alu 0xfffe
	s_cmp_eq_u32 s73, s23
	s_cselect_b32 s77, s37, 0
	s_and_saveexec_b32 s22, s0
	s_cbranch_execz .LBB54_112
.LBB54_108:                             ;   in Loop: Header=BB54_4 Depth=1
	s_wait_alu 0xfffe
	v_cmp_le_i32_e32 vcc_lo, s77, v173
	s_cmp_lg_u32 s77, 0
	s_cselect_b32 s67, -1, 0
	s_wait_alu 0xfffe
	s_and_b32 s67, s67, vcc_lo
	s_wait_alu 0xfffe
	s_and_saveexec_b32 s78, s67
	s_wait_alu 0xfffe
	s_xor_b32 s67, exec_lo, s78
; %bb.109:                              ;   in Loop: Header=BB54_4 Depth=1
	v_dual_mov_b32 v2, v1 :: v_dual_mov_b32 v3, v1
	v_mov_b32_e32 v4, v1
	ds_store_b128 v202, v[1:4]
; %bb.110:                              ;   in Loop: Header=BB54_4 Depth=1
	s_wait_alu 0xfffe
	s_and_not1_saveexec_b32 s67, s67
	s_cbranch_execz .LBB54_112
; %bb.111:                              ;   in Loop: Header=BB54_4 Depth=1
	s_ashr_i32 s67, s66, 31
	s_wait_alu 0xfffe
	s_lshl_b64 s[78:79], s[66:67], 4
	s_wait_alu 0xfffe
	v_add_co_u32 v2, vcc_lo, v201, s78
	s_wait_alu 0xfffd
	v_add_co_ci_u32_e64 v3, null, s79, v255, vcc_lo
	flat_load_b128 v[9:12], v[2:3]
	s_wait_loadcnt_dscnt 0x0
	ds_store_2addr_b64 v202, v[9:10], v[11:12] offset1:1
.LBB54_112:                             ;   Parent Loop BB54_4 Depth=1
                                        ; =>  This Inner Loop Header: Depth=2
	s_wait_alu 0xfffe
	s_or_b32 exec_lo, exec_lo, s22
	s_cmp_eq_u32 s77, 0
	v_add_co_u32 v2, vcc_lo, v219, v210
	s_cselect_b32 s67, -1, 0
	s_cmp_lg_u32 s77, 0
	s_wait_alu 0xfffd
	v_add_co_ci_u32_e64 v3, null, v220, v211, vcc_lo
	s_cselect_b32 s22, -1, 0
	s_wait_dscnt 0x0
	s_wait_alu 0xfffe
	s_and_b32 vcc_lo, exec_lo, s22
	s_barrier_signal -1
	s_barrier_wait -1
	global_inv scope:SCOPE_SE
	s_wait_alu 0xfffe
	s_cbranch_vccz .LBB54_120
; %bb.113:                              ;   in Loop: Header=BB54_112 Depth=2
	v_mov_b32_e32 v9, 0
	v_dual_mov_b32 v10, 0 :: v_dual_mov_b32 v13, 0
	v_dual_mov_b32 v15, 0 :: v_dual_mov_b32 v14, 0
	v_mov_b32_e32 v16, 0
	s_mov_b32 s78, exec_lo
	v_cmpx_gt_i32_e64 s77, v200
	s_cbranch_execz .LBB54_115
; %bb.114:                              ;   in Loop: Header=BB54_112 Depth=2
	flat_load_b128 v[13:16], v[2:3]
.LBB54_115:                             ;   in Loop: Header=BB54_112 Depth=2
	s_wait_alu 0xfffe
	s_or_b32 exec_lo, exec_lo, s78
	v_mov_b32_e32 v11, 0
	v_or_b32_e32 v4, 1, v200
	v_mov_b32_e32 v12, 0
	s_mov_b32 s78, exec_lo
	s_delay_alu instid0(VALU_DEP_2)
	v_cmpx_gt_i32_e64 s77, v4
	s_cbranch_execz .LBB54_117
; %bb.116:                              ;   in Loop: Header=BB54_112 Depth=2
	v_add_co_u32 v9, vcc_lo, v215, v210
	s_wait_alu 0xfffd
	v_add_co_ci_u32_e64 v10, null, v216, v211, vcc_lo
	flat_load_b128 v[9:12], v[9:10]
.LBB54_117:                             ;   in Loop: Header=BB54_112 Depth=2
	s_wait_alu 0xfffe
	s_or_b32 exec_lo, exec_lo, s78
	v_mov_b32_e32 v17, 0
	v_dual_mov_b32 v18, 0 :: v_dual_mov_b32 v19, 0
	v_or_b32_e32 v4, 2, v200
	v_mov_b32_e32 v20, 0
	s_mov_b32 s78, exec_lo
	s_delay_alu instid0(VALU_DEP_2)
	v_cmpx_gt_i32_e64 s77, v4
	s_cbranch_execz .LBB54_119
; %bb.118:                              ;   in Loop: Header=BB54_112 Depth=2
	v_add_co_u32 v17, vcc_lo, v223, v210
	s_wait_alu 0xfffd
	v_add_co_ci_u32_e64 v18, null, v224, v211, vcc_lo
	flat_load_b128 v[17:20], v[17:18]
.LBB54_119:                             ;   in Loop: Header=BB54_112 Depth=2
	s_wait_alu 0xfffe
	s_or_b32 exec_lo, exec_lo, s78
	v_or_b32_e32 v4, 3, v200
	s_delay_alu instid0(VALU_DEP_1)
	v_cmp_gt_i32_e64 s78, s77, v4
	s_branch .LBB54_122
.LBB54_120:                             ;   in Loop: Header=BB54_112 Depth=2
	s_mov_b32 s78, 0
                                        ; implicit-def: $vgpr19_vgpr20
                                        ; implicit-def: $vgpr11_vgpr12
                                        ; implicit-def: $vgpr15_vgpr16
	s_cbranch_execz .LBB54_122
; %bb.121:                              ;   in Loop: Header=BB54_112 Depth=2
	s_wait_loadcnt_dscnt 0x0
	v_add_co_u32 v9, vcc_lo, v215, v210
	s_wait_alu 0xfffd
	v_add_co_ci_u32_e64 v10, null, v216, v211, vcc_lo
	v_add_co_u32 v17, vcc_lo, v209, v210
	s_wait_alu 0xfffd
	v_add_co_ci_u32_e64 v18, null, v212, v211, vcc_lo
	flat_load_b128 v[13:16], v[2:3]
	flat_load_b128 v[9:12], v[9:10]
	flat_load_b128 v[17:20], v[17:18] offset:-8
	s_wait_alu 0xfffe
	s_or_b32 s78, s78, exec_lo
.LBB54_122:                             ;   in Loop: Header=BB54_112 Depth=2
	v_mov_b32_e32 v21, 0
	v_dual_mov_b32 v22, 0 :: v_dual_mov_b32 v23, 0
	v_mov_b32_e32 v24, 0
	s_wait_alu 0xfffe
	s_and_saveexec_b32 s79, s78
	s_cbranch_execz .LBB54_124
; %bb.123:                              ;   in Loop: Header=BB54_112 Depth=2
	v_add_co_u32 v2, vcc_lo, v227, v210
	s_wait_alu 0xfffd
	v_add_co_ci_u32_e64 v3, null, v228, v211, vcc_lo
	flat_load_b128 v[21:24], v[2:3]
.LBB54_124:                             ;   in Loop: Header=BB54_112 Depth=2
	s_wait_alu 0xfffe
	s_or_b32 exec_lo, exec_lo, s79
	ds_load_b128 v[29:32], v187
	ds_load_b128 v[25:28], v0
	v_cndmask_b32_e64 v4, 0, 1, s22
	s_wait_loadcnt_dscnt 0x1
	v_mul_f64_e32 v[2:3], v[15:16], v[31:32]
	v_mul_f64_e32 v[33:34], v[15:16], v[29:30]
	v_mul_f64_e32 v[35:36], v[11:12], v[31:32]
	v_mul_f64_e32 v[37:38], v[11:12], v[29:30]
	v_mul_f64_e32 v[39:40], v[19:20], v[31:32]
	v_mul_f64_e32 v[51:52], v[19:20], v[29:30]
	v_mul_f64_e32 v[53:54], v[23:24], v[31:32]
	v_mul_f64_e32 v[55:56], v[23:24], v[29:30]
	v_fma_f64 v[41:42], v[13:14], v[29:30], v[2:3]
	v_fma_f64 v[43:44], v[13:14], v[31:32], -v[33:34]
	v_fma_f64 v[45:46], v[9:10], v[29:30], v[35:36]
	v_fma_f64 v[47:48], v[9:10], v[31:32], -v[37:38]
	;; [unrolled: 2-line block ×4, first 2 shown]
	ds_load_b128 v[37:40], v0 offset:16
	ds_load_b128 v[33:36], v0 offset:32
	;; [unrolled: 1-line block ×3, first 2 shown]
	v_add_co_u32 v2, vcc_lo, v239, v210
	s_wait_alu 0xfffd
	v_add_co_ci_u32_e64 v3, null, v240, v211, vcc_lo
	s_and_not1_b32 vcc_lo, exec_lo, s22
	ds_store_b128 v203, v[41:44]
	ds_store_b128 v203, v[45:48] offset:1072
	ds_store_b128 v203, v[49:52] offset:2144
	;; [unrolled: 1-line block ×3, first 2 shown]
	s_wait_dscnt 0x0
	s_barrier_signal -1
	s_barrier_wait -1
	global_inv scope:SCOPE_SE
	ds_load_b128 v[97:100], v204
	ds_load_b128 v[93:96], v204 offset:16
	ds_load_b128 v[89:92], v204 offset:32
	;; [unrolled: 1-line block ×3, first 2 shown]
	s_wait_loadcnt_dscnt 0x0
	s_barrier_signal -1
	s_barrier_wait -1
	global_inv scope:SCOPE_SE
	s_wait_alu 0xfffe
	s_cbranch_vccnz .LBB54_132
; %bb.125:                              ;   in Loop: Header=BB54_112 Depth=2
	v_mov_b32_e32 v41, 0
	v_mov_b32_e32 v45, 0
	;; [unrolled: 1-line block ×3, first 2 shown]
	v_dual_mov_b32 v42, 0 :: v_dual_add_nc_u32 v43, 16, v200
	v_mov_b32_e32 v46, 0
	v_mov_b32_e32 v48, 0
	s_mov_b32 s22, exec_lo
	s_delay_alu instid0(VALU_DEP_3)
	v_cmpx_gt_i32_e64 s77, v43
	s_cbranch_execz .LBB54_127
; %bb.126:                              ;   in Loop: Header=BB54_112 Depth=2
	flat_load_b128 v[45:48], v[2:3]
.LBB54_127:                             ;   in Loop: Header=BB54_112 Depth=2
	s_wait_alu 0xfffe
	s_or_b32 exec_lo, exec_lo, s22
	v_mov_b32_e32 v43, 0
	v_dual_mov_b32 v44, 0 :: v_dual_add_nc_u32 v49, 17, v200
	s_mov_b32 s22, exec_lo
	s_delay_alu instid0(VALU_DEP_1)
	v_cmpx_gt_i32_e64 s77, v49
	s_cbranch_execz .LBB54_129
; %bb.128:                              ;   in Loop: Header=BB54_112 Depth=2
	v_add_co_u32 v41, vcc_lo, v235, v210
	s_wait_alu 0xfffd
	v_add_co_ci_u32_e64 v42, null, v236, v211, vcc_lo
	flat_load_b128 v[41:44], v[41:42]
.LBB54_129:                             ;   in Loop: Header=BB54_112 Depth=2
	s_wait_alu 0xfffe
	s_or_b32 exec_lo, exec_lo, s22
	v_mov_b32_e32 v49, 0
	v_mov_b32_e32 v51, 0
	v_dual_mov_b32 v50, 0 :: v_dual_add_nc_u32 v53, 18, v200
	v_mov_b32_e32 v52, 0
	s_mov_b32 s22, exec_lo
	s_delay_alu instid0(VALU_DEP_2)
	v_cmpx_gt_i32_e64 s77, v53
	s_cbranch_execz .LBB54_131
; %bb.130:                              ;   in Loop: Header=BB54_112 Depth=2
	v_add_co_u32 v49, vcc_lo, v243, v210
	s_wait_alu 0xfffd
	v_add_co_ci_u32_e64 v50, null, v244, v211, vcc_lo
	flat_load_b128 v[49:52], v[49:50]
.LBB54_131:                             ;   in Loop: Header=BB54_112 Depth=2
	s_wait_alu 0xfffe
	s_or_b32 exec_lo, exec_lo, s22
	v_add_nc_u32_e32 v53, 19, v200
	s_delay_alu instid0(VALU_DEP_1)
	v_cmp_gt_i32_e64 s22, s77, v53
	s_branch .LBB54_134
.LBB54_132:                             ;   in Loop: Header=BB54_112 Depth=2
	s_mov_b32 s22, 0
                                        ; implicit-def: $vgpr51_vgpr52
                                        ; implicit-def: $vgpr43_vgpr44
                                        ; implicit-def: $vgpr47_vgpr48
	s_cbranch_execz .LBB54_134
; %bb.133:                              ;   in Loop: Header=BB54_112 Depth=2
	s_wait_loadcnt_dscnt 0x0
	v_add_co_u32 v41, vcc_lo, v235, v210
	s_wait_alu 0xfffd
	v_add_co_ci_u32_e64 v42, null, v236, v211, vcc_lo
	v_add_co_u32 v49, vcc_lo, v231, v210
	s_wait_alu 0xfffd
	v_add_co_ci_u32_e64 v50, null, v232, v211, vcc_lo
	flat_load_b128 v[45:48], v[2:3]
	flat_load_b128 v[41:44], v[41:42]
	flat_load_b128 v[49:52], v[49:50] offset:-8
	s_wait_alu 0xfffe
	s_or_b32 s22, s22, exec_lo
.LBB54_134:                             ;   in Loop: Header=BB54_112 Depth=2
	v_mov_b32_e32 v53, 0
	v_dual_mov_b32 v54, 0 :: v_dual_mov_b32 v55, 0
	v_mov_b32_e32 v56, 0
	s_wait_alu 0xfffe
	s_and_saveexec_b32 s78, s22
	s_cbranch_execz .LBB54_136
; %bb.135:                              ;   in Loop: Header=BB54_112 Depth=2
	v_add_co_u32 v2, vcc_lo, v247, v210
	s_wait_alu 0xfffd
	v_add_co_ci_u32_e64 v3, null, v248, v211, vcc_lo
	flat_load_b128 v[53:56], v[2:3]
.LBB54_136:                             ;   in Loop: Header=BB54_112 Depth=2
	s_wait_alu 0xfffe
	s_or_b32 exec_lo, exec_lo, s78
	ds_load_b128 v[61:64], v187
	ds_load_b128 v[57:60], v0 offset:256
	v_cmp_ne_u32_e32 vcc_lo, 1, v4
	s_and_b32 vcc_lo, exec_lo, vcc_lo
	s_wait_loadcnt_dscnt 0x1
	v_mul_f64_e32 v[2:3], v[47:48], v[63:64]
	v_mul_f64_e32 v[65:66], v[47:48], v[61:62]
	;; [unrolled: 1-line block ×8, first 2 shown]
	v_fma_f64 v[73:74], v[45:46], v[61:62], v[2:3]
	v_fma_f64 v[75:76], v[45:46], v[63:64], -v[65:66]
	v_fma_f64 v[77:78], v[41:42], v[61:62], v[67:68]
	v_fma_f64 v[79:80], v[41:42], v[63:64], -v[69:70]
	;; [unrolled: 2-line block ×4, first 2 shown]
	ds_load_b128 v[69:72], v0 offset:272
	ds_load_b128 v[65:68], v0 offset:288
	;; [unrolled: 1-line block ×3, first 2 shown]
	v_add_co_u32 v2, s22, v241, v210
	s_wait_alu 0xf1ff
	v_add_co_ci_u32_e64 v3, null, v242, v211, s22
	ds_store_b128 v203, v[73:76]
	ds_store_b128 v203, v[77:80] offset:1072
	ds_store_b128 v203, v[81:84] offset:2144
	;; [unrolled: 1-line block ×3, first 2 shown]
	s_wait_dscnt 0x0
	s_barrier_signal -1
	s_barrier_wait -1
	global_inv scope:SCOPE_SE
	ds_load_b128 v[145:148], v204
	ds_load_b128 v[141:144], v204 offset:16
	ds_load_b128 v[137:140], v204 offset:32
	;; [unrolled: 1-line block ×3, first 2 shown]
	s_wait_loadcnt_dscnt 0x0
	s_barrier_signal -1
	s_barrier_wait -1
	global_inv scope:SCOPE_SE
	s_wait_alu 0xfffe
	s_cbranch_vccnz .LBB54_144
; %bb.137:                              ;   in Loop: Header=BB54_112 Depth=2
	v_mov_b32_e32 v73, 0
	v_mov_b32_e32 v77, 0
	;; [unrolled: 1-line block ×3, first 2 shown]
	v_dual_mov_b32 v74, 0 :: v_dual_add_nc_u32 v75, 32, v200
	v_mov_b32_e32 v78, 0
	v_mov_b32_e32 v80, 0
	s_mov_b32 s22, exec_lo
	s_delay_alu instid0(VALU_DEP_3)
	v_cmpx_gt_i32_e64 s77, v75
	s_cbranch_execz .LBB54_139
; %bb.138:                              ;   in Loop: Header=BB54_112 Depth=2
	flat_load_b128 v[77:80], v[2:3] offset:-8
.LBB54_139:                             ;   in Loop: Header=BB54_112 Depth=2
	s_wait_alu 0xfffe
	s_or_b32 exec_lo, exec_lo, s22
	v_mov_b32_e32 v75, 0
	v_dual_mov_b32 v76, 0 :: v_dual_add_nc_u32 v81, 33, v200
	s_mov_b32 s22, exec_lo
	s_delay_alu instid0(VALU_DEP_1)
	v_cmpx_gt_i32_e64 s77, v81
	s_cbranch_execz .LBB54_141
; %bb.140:                              ;   in Loop: Header=BB54_112 Depth=2
	v_add_co_u32 v73, vcc_lo, v245, v210
	s_wait_alu 0xfffd
	v_add_co_ci_u32_e64 v74, null, v246, v211, vcc_lo
	flat_load_b128 v[73:76], v[73:74] offset:-8
.LBB54_141:                             ;   in Loop: Header=BB54_112 Depth=2
	s_wait_alu 0xfffe
	s_or_b32 exec_lo, exec_lo, s22
	v_mov_b32_e32 v81, 0
	v_mov_b32_e32 v83, 0
	v_dual_mov_b32 v82, 0 :: v_dual_add_nc_u32 v101, 34, v200
	v_mov_b32_e32 v84, 0
	s_mov_b32 s22, exec_lo
	s_delay_alu instid0(VALU_DEP_2)
	v_cmpx_gt_i32_e64 s77, v101
	s_cbranch_execz .LBB54_143
; %bb.142:                              ;   in Loop: Header=BB54_112 Depth=2
	v_add_co_u32 v81, vcc_lo, v237, v210
	s_wait_alu 0xfffd
	v_add_co_ci_u32_e64 v82, null, v238, v211, vcc_lo
	flat_load_b128 v[81:84], v[81:82] offset:-8
.LBB54_143:                             ;   in Loop: Header=BB54_112 Depth=2
	s_wait_alu 0xfffe
	s_or_b32 exec_lo, exec_lo, s22
	v_add_nc_u32_e32 v101, 35, v200
	s_delay_alu instid0(VALU_DEP_1)
	v_cmp_gt_i32_e64 s22, s77, v101
	s_branch .LBB54_146
.LBB54_144:                             ;   in Loop: Header=BB54_112 Depth=2
	s_mov_b32 s22, 0
                                        ; implicit-def: $vgpr83_vgpr84
                                        ; implicit-def: $vgpr75_vgpr76
                                        ; implicit-def: $vgpr79_vgpr80
	s_cbranch_execz .LBB54_146
; %bb.145:                              ;   in Loop: Header=BB54_112 Depth=2
	s_wait_loadcnt_dscnt 0x0
	v_add_co_u32 v73, vcc_lo, v245, v210
	s_wait_alu 0xfffd
	v_add_co_ci_u32_e64 v74, null, v246, v211, vcc_lo
	v_add_co_u32 v81, vcc_lo, v249, v210
	s_wait_alu 0xfffd
	v_add_co_ci_u32_e64 v82, null, v195, v211, vcc_lo
	flat_load_b128 v[77:80], v[2:3] offset:-8
	flat_load_b128 v[73:76], v[73:74] offset:-8
	;; [unrolled: 1-line block ×3, first 2 shown]
	s_wait_alu 0xfffe
	s_or_b32 s22, s22, exec_lo
.LBB54_146:                             ;   in Loop: Header=BB54_112 Depth=2
	v_mov_b32_e32 v101, 0
	v_dual_mov_b32 v102, 0 :: v_dual_mov_b32 v103, 0
	v_mov_b32_e32 v104, 0
	s_wait_alu 0xfffe
	s_and_saveexec_b32 s78, s22
	s_cbranch_execz .LBB54_148
; %bb.147:                              ;   in Loop: Header=BB54_112 Depth=2
	v_add_co_u32 v2, vcc_lo, v233, v210
	s_wait_alu 0xfffd
	v_add_co_ci_u32_e64 v3, null, v234, v211, vcc_lo
	flat_load_b128 v[101:104], v[2:3] offset:-8
.LBB54_148:                             ;   in Loop: Header=BB54_112 Depth=2
	s_wait_alu 0xfffe
	s_or_b32 exec_lo, exec_lo, s78
	ds_load_b128 v[109:112], v187
	ds_load_b128 v[105:108], v0 offset:512
	v_cmp_ne_u32_e32 vcc_lo, 1, v4
	s_and_b32 vcc_lo, exec_lo, vcc_lo
	s_wait_loadcnt_dscnt 0x1
	v_mul_f64_e32 v[2:3], v[79:80], v[111:112]
	v_mul_f64_e32 v[121:122], v[83:84], v[109:110]
	;; [unrolled: 1-line block ×5, first 2 shown]
	v_fma_f64 v[113:114], v[77:78], v[109:110], v[2:3]
	v_mul_f64_e32 v[2:3], v[83:84], v[111:112]
	v_fma_f64 v[127:128], v[81:82], v[111:112], -v[121:122]
	v_mul_f64_e32 v[121:122], v[103:104], v[109:110]
	v_fma_f64 v[115:116], v[77:78], v[111:112], -v[115:116]
	v_fma_f64 v[117:118], v[73:74], v[109:110], v[117:118]
	v_fma_f64 v[119:120], v[73:74], v[111:112], -v[119:120]
	ds_store_b128 v203, v[113:116]
	ds_store_b128 v203, v[117:120] offset:1072
	v_fma_f64 v[125:126], v[81:82], v[109:110], v[2:3]
	v_mul_f64_e32 v[2:3], v[103:104], v[111:112]
	v_fma_f64 v[131:132], v[101:102], v[111:112], -v[121:122]
	ds_load_b128 v[121:124], v0 offset:528
	ds_load_b128 v[113:116], v0 offset:544
	v_fma_f64 v[129:130], v[101:102], v[109:110], v[2:3]
	ds_store_b128 v203, v[125:128] offset:2144
	ds_load_b128 v[109:112], v0 offset:560
	v_add_co_u32 v2, s22, v221, v210
	s_wait_alu 0xf1ff
	v_add_co_ci_u32_e64 v3, null, v222, v211, s22
	ds_store_b128 v203, v[129:132] offset:3216
	s_wait_dscnt 0x0
	s_barrier_signal -1
	s_barrier_wait -1
	global_inv scope:SCOPE_SE
	ds_load_b128 v[169:172], v204
	ds_load_b128 v[165:168], v204 offset:16
	ds_load_b128 v[161:164], v204 offset:32
	;; [unrolled: 1-line block ×3, first 2 shown]
	s_wait_loadcnt_dscnt 0x0
	s_barrier_signal -1
	s_barrier_wait -1
	global_inv scope:SCOPE_SE
	s_wait_alu 0xfffe
	s_cbranch_vccnz .LBB54_156
; %bb.149:                              ;   in Loop: Header=BB54_112 Depth=2
	v_dual_mov_b32 v117, 0 :: v_dual_add_nc_u32 v4, 48, v200
	v_dual_mov_b32 v118, 0 :: v_dual_mov_b32 v125, 0
	v_dual_mov_b32 v126, 0 :: v_dual_mov_b32 v127, 0
	v_mov_b32_e32 v128, 0
	s_mov_b32 s22, exec_lo
	v_cmpx_gt_i32_e64 s77, v4
	s_cbranch_execz .LBB54_151
; %bb.150:                              ;   in Loop: Header=BB54_112 Depth=2
	flat_load_b128 v[125:128], v[2:3] offset:-8
.LBB54_151:                             ;   in Loop: Header=BB54_112 Depth=2
	s_wait_alu 0xfffe
	s_or_b32 exec_lo, exec_lo, s22
	v_dual_mov_b32 v119, 0 :: v_dual_add_nc_u32 v4, 49, v200
	v_mov_b32_e32 v120, 0
	s_mov_b32 s22, exec_lo
	s_delay_alu instid0(VALU_DEP_2)
	v_cmpx_gt_i32_e64 s77, v4
	s_cbranch_execz .LBB54_153
; %bb.152:                              ;   in Loop: Header=BB54_112 Depth=2
	v_add_co_u32 v117, vcc_lo, v225, v210
	s_wait_alu 0xfffd
	v_add_co_ci_u32_e64 v118, null, v226, v211, vcc_lo
	flat_load_b128 v[117:120], v[117:118] offset:-8
.LBB54_153:                             ;   in Loop: Header=BB54_112 Depth=2
	s_wait_alu 0xfffe
	s_or_b32 exec_lo, exec_lo, s22
	v_dual_mov_b32 v129, 0 :: v_dual_add_nc_u32 v4, 50, v200
	v_dual_mov_b32 v130, 0 :: v_dual_mov_b32 v131, 0
	v_mov_b32_e32 v132, 0
	s_mov_b32 s22, exec_lo
	s_delay_alu instid0(VALU_DEP_3)
	v_cmpx_gt_i32_e64 s77, v4
	s_cbranch_execz .LBB54_155
; %bb.154:                              ;   in Loop: Header=BB54_112 Depth=2
	v_add_co_u32 v129, vcc_lo, v217, v210
	s_wait_alu 0xfffd
	v_add_co_ci_u32_e64 v130, null, v218, v211, vcc_lo
	flat_load_b128 v[129:132], v[129:130] offset:-8
.LBB54_155:                             ;   in Loop: Header=BB54_112 Depth=2
	s_wait_alu 0xfffe
	s_or_b32 exec_lo, exec_lo, s22
	v_add_nc_u32_e32 v4, 51, v200
	s_delay_alu instid0(VALU_DEP_1)
	v_cmp_gt_i32_e64 s22, s77, v4
	s_branch .LBB54_158
.LBB54_156:                             ;   in Loop: Header=BB54_112 Depth=2
	s_mov_b32 s22, 0
                                        ; implicit-def: $vgpr131_vgpr132
                                        ; implicit-def: $vgpr119_vgpr120
                                        ; implicit-def: $vgpr127_vgpr128
	s_cbranch_execz .LBB54_158
; %bb.157:                              ;   in Loop: Header=BB54_112 Depth=2
	s_wait_loadcnt_dscnt 0x0
	v_add_co_u32 v117, vcc_lo, v225, v210
	s_wait_alu 0xfffd
	v_add_co_ci_u32_e64 v118, null, v226, v211, vcc_lo
	v_add_co_u32 v129, vcc_lo, v229, v210
	s_wait_alu 0xfffd
	v_add_co_ci_u32_e64 v130, null, v230, v211, vcc_lo
	flat_load_b128 v[125:128], v[2:3] offset:-8
	flat_load_b128 v[117:120], v[117:118] offset:-8
	flat_load_b128 v[129:132], v[129:130]
	s_wait_alu 0xfffe
	s_or_b32 s22, s22, exec_lo
.LBB54_158:                             ;   in Loop: Header=BB54_112 Depth=2
	v_mov_b32_e32 v149, 0
	v_dual_mov_b32 v150, 0 :: v_dual_mov_b32 v151, 0
	v_mov_b32_e32 v152, 0
	s_wait_alu 0xfffe
	s_and_saveexec_b32 s78, s22
	s_cbranch_execz .LBB54_160
; %bb.159:                              ;   in Loop: Header=BB54_112 Depth=2
	v_add_co_u32 v2, vcc_lo, v213, v210
	s_wait_alu 0xfffd
	v_add_co_ci_u32_e64 v3, null, v214, v211, vcc_lo
	flat_load_b128 v[149:152], v[2:3] offset:-8
.LBB54_160:                             ;   in Loop: Header=BB54_112 Depth=2
	s_wait_alu 0xfffe
	s_or_b32 exec_lo, exec_lo, s78
	ds_load_b128 v[176:179], v187
	ds_load_b128 v[153:156], v0 offset:768
	v_cmp_gt_i32_e32 vcc_lo, s77, v173
	s_or_b32 s22, s67, vcc_lo
	s_wait_alu 0xfffe
	s_and_b32 s67, s21, s22
	s_wait_loadcnt_dscnt 0x1
	v_mul_f64_e32 v[2:3], v[127:128], v[178:179]
	v_mul_f64_e32 v[180:181], v[127:128], v[176:177]
	;; [unrolled: 1-line block ×5, first 2 shown]
	v_fma_f64 v[188:189], v[125:126], v[176:177], v[2:3]
	v_mul_f64_e32 v[2:3], v[119:120], v[178:179]
	v_fma_f64 v[190:191], v[125:126], v[178:179], -v[180:181]
	v_fma_f64 v[182:183], v[117:118], v[178:179], -v[182:183]
	;; [unrolled: 1-line block ×3, first 2 shown]
	s_delay_alu instid0(VALU_DEP_4) | instskip(SKIP_1) | instid1(VALU_DEP_1)
	v_fma_f64 v[180:181], v[117:118], v[176:177], v[2:3]
	v_mul_f64_e32 v[2:3], v[131:132], v[178:179]
	v_fma_f64 v[251:252], v[129:130], v[176:177], v[2:3]
	v_mul_f64_e32 v[2:3], v[151:152], v[178:179]
	v_fma_f64 v[178:179], v[149:150], v[178:179], -v[207:208]
	s_delay_alu instid0(VALU_DEP_2)
	v_fma_f64 v[176:177], v[149:150], v[176:177], v[2:3]
	v_add_f64_e32 v[2:3], 0, v[169:170]
	v_add_f64_e32 v[169:170], 0, v[171:172]
	ds_store_b128 v203, v[188:191]
	ds_store_b128 v203, v[180:183] offset:1072
	ds_store_b128 v203, v[251:254] offset:2144
	ds_store_b128 v203, v[176:179] offset:3216
	v_add_f64_e32 v[2:3], v[2:3], v[165:166]
	v_add_f64_e32 v[165:166], v[169:170], v[167:168]
	s_delay_alu instid0(VALU_DEP_2) | instskip(NEXT) | instid1(VALU_DEP_2)
	v_add_f64_e32 v[2:3], v[2:3], v[161:162]
	v_add_f64_e32 v[161:162], v[165:166], v[163:164]
	s_delay_alu instid0(VALU_DEP_2) | instskip(SKIP_2) | instid1(VALU_DEP_4)
	v_add_f64_e32 v[157:158], v[2:3], v[157:158]
	v_add_f64_e32 v[2:3], 0, v[97:98]
	;; [unrolled: 1-line block ×4, first 2 shown]
	s_delay_alu instid0(VALU_DEP_3) | instskip(NEXT) | instid1(VALU_DEP_3)
	v_add_f64_e32 v[2:3], v[2:3], v[93:94]
	v_add_f64_e32 v[93:94], v[97:98], v[95:96]
	s_delay_alu instid0(VALU_DEP_2) | instskip(NEXT) | instid1(VALU_DEP_2)
	v_add_f64_e32 v[2:3], v[2:3], v[89:90]
	v_add_f64_e32 v[89:90], v[93:94], v[91:92]
	s_delay_alu instid0(VALU_DEP_2) | instskip(SKIP_2) | instid1(VALU_DEP_4)
	v_add_f64_e32 v[97:98], v[2:3], v[85:86]
	v_add_f64_e32 v[85:86], 0, v[147:148]
	;; [unrolled: 1-line block ×4, first 2 shown]
	s_delay_alu instid0(VALU_DEP_3) | instskip(NEXT) | instid1(VALU_DEP_3)
	v_add_f64_e32 v[85:86], v[85:86], v[143:144]
	v_add_f64_e32 v[2:3], v[2:3], v[141:142]
	s_delay_alu instid0(VALU_DEP_2) | instskip(NEXT) | instid1(VALU_DEP_2)
	v_add_f64_e32 v[85:86], v[85:86], v[139:140]
	v_add_f64_e32 v[2:3], v[2:3], v[137:138]
	s_delay_alu instid0(VALU_DEP_2)
	v_add_f64_e32 v[135:136], v[85:86], v[135:136]
	ds_load_b128 v[93:96], v0 offset:784
	ds_load_b128 v[89:92], v0 offset:800
	;; [unrolled: 1-line block ×3, first 2 shown]
	s_wait_dscnt 0x0
	s_barrier_signal -1
	s_barrier_wait -1
	global_inv scope:SCOPE_SE
	ds_load_b128 v[137:140], v204
	ds_load_b128 v[141:144], v204 offset:16
	v_add_f64_e32 v[133:134], v[2:3], v[133:134]
	s_wait_dscnt 0x1
	v_add_f64_e32 v[2:3], 0, v[137:138]
	v_add_f64_e32 v[137:138], 0, v[139:140]
	s_wait_dscnt 0x0
	s_delay_alu instid0(VALU_DEP_2) | instskip(NEXT) | instid1(VALU_DEP_2)
	v_add_f64_e32 v[2:3], v[2:3], v[141:142]
	v_add_f64_e32 v[145:146], v[137:138], v[143:144]
	ds_load_b128 v[137:140], v204 offset:32
	ds_load_b128 v[141:144], v204 offset:48
	s_wait_loadcnt_dscnt 0x0
	s_barrier_signal -1
	s_barrier_wait -1
	global_inv scope:SCOPE_SE
	ds_store_b128 v250, v[97:100]
	ds_store_b128 v250, v[133:136] offset:256
	ds_store_b128 v250, v[157:160] offset:512
	v_add_f64_e32 v[2:3], v[2:3], v[137:138]
	v_add_f64_e32 v[139:140], v[145:146], v[139:140]
	s_delay_alu instid0(VALU_DEP_2) | instskip(NEXT) | instid1(VALU_DEP_2)
	v_add_f64_e32 v[137:138], v[2:3], v[141:142]
	v_add_f64_e32 v[139:140], v[139:140], v[143:144]
	ds_store_b128 v250, v[137:140] offset:768
	s_wait_loadcnt_dscnt 0x0
	s_barrier_signal -1
	s_barrier_wait -1
	global_inv scope:SCOPE_SE
	s_wait_alu 0xfffe
	s_and_saveexec_b32 s22, s67
	s_cbranch_execz .LBB54_162
; %bb.161:                              ;   in Loop: Header=BB54_112 Depth=2
	ds_load_b128 v[97:100], v205
	ds_load_b128 v[133:136], v205 offset:16
	v_ashrrev_i32_e32 v185, 31, v184
	s_wait_dscnt 0x0
	v_add_f64_e32 v[2:3], v[133:134], v[97:98]
	v_add_f64_e32 v[137:138], v[135:136], v[99:100]
	ds_load_b128 v[97:100], v205 offset:32
	ds_load_b128 v[133:136], v205 offset:48
	s_wait_dscnt 0x1
	v_add_f64_e32 v[2:3], v[2:3], v[97:98]
	v_add_f64_e32 v[97:98], v[137:138], v[99:100]
	s_wait_dscnt 0x0
	s_delay_alu instid0(VALU_DEP_2) | instskip(NEXT) | instid1(VALU_DEP_2)
	v_add_f64_e32 v[2:3], v[2:3], v[133:134]
	v_add_f64_e32 v[137:138], v[97:98], v[135:136]
	ds_load_b128 v[97:100], v205 offset:64
	ds_load_b128 v[133:136], v205 offset:80
	s_wait_dscnt 0x1
	v_add_f64_e32 v[2:3], v[2:3], v[97:98]
	v_add_f64_e32 v[97:98], v[137:138], v[99:100]
	s_wait_dscnt 0x0
	s_delay_alu instid0(VALU_DEP_2) | instskip(NEXT) | instid1(VALU_DEP_2)
	;; [unrolled: 9-line block ×6, first 2 shown]
	v_add_f64_e32 v[2:3], v[2:3], v[133:134]
	v_add_f64_e32 v[137:138], v[97:98], v[135:136]
	ds_load_b128 v[97:100], v205 offset:224
	ds_load_b128 v[133:136], v206
	s_wait_dscnt 0x1
	v_add_f64_e32 v[2:3], v[2:3], v[97:98]
	v_add_f64_e32 v[99:100], v[137:138], v[99:100]
	s_wait_dscnt 0x0
	s_delay_alu instid0(VALU_DEP_2) | instskip(NEXT) | instid1(VALU_DEP_2)
	v_add_f64_e32 v[97:98], v[2:3], v[133:134]
	v_add_f64_e32 v[99:100], v[99:100], v[135:136]
	v_lshlrev_b64_e32 v[2:3], 4, v[184:185]
	s_delay_alu instid0(VALU_DEP_1) | instskip(SKIP_1) | instid1(VALU_DEP_2)
	v_add_co_u32 v2, vcc_lo, s64, v2
	s_wait_alu 0xfffd
	v_add_co_ci_u32_e64 v3, null, s65, v3, vcc_lo
	global_store_b128 v[2:3], v[97:100], off
.LBB54_162:                             ;   in Loop: Header=BB54_112 Depth=2
	s_wait_alu 0xfffe
	s_or_b32 exec_lo, exec_lo, s22
	v_mul_f64_e32 v[2:3], v[15:16], v[27:28]
	v_add_co_u32 v209, vcc_lo, v209, s54
	s_wait_alu 0xfffd
	v_add_co_ci_u32_e64 v212, null, s55, v212, vcc_lo
	v_add_co_u32 v213, vcc_lo, v213, s54
	s_wait_alu 0xfffd
	v_add_co_ci_u32_e64 v214, null, s55, v214, vcc_lo
	;; [unrolled: 3-line block ×9, first 2 shown]
	v_add_co_u32 v229, vcc_lo, v229, s54
	v_fma_f64 v[2:3], v[13:14], v[25:26], -v[2:3]
	v_mul_f64_e32 v[13:14], v[13:14], v[27:28]
	v_mul_f64_e32 v[27:28], v[43:44], v[71:72]
	s_wait_alu 0xfffd
	v_add_co_ci_u32_e64 v230, null, s55, v230, vcc_lo
	v_add_co_u32 v231, vcc_lo, v231, s54
	s_wait_alu 0xfffd
	v_add_co_ci_u32_e64 v232, null, s55, v232, vcc_lo
	v_add_co_u32 v233, vcc_lo, v233, s54
	;; [unrolled: 3-line block ×9, first 2 shown]
	v_fma_f64 v[13:14], v[15:16], v[25:26], v[13:14]
	v_mul_f64_e32 v[15:16], v[11:12], v[39:40]
	v_add_f64_e32 v[2:3], v[5:6], v[2:3]
	v_mul_f64_e32 v[25:26], v[45:46], v[59:60]
	v_fma_f64 v[27:28], v[41:42], v[69:70], -v[27:28]
	s_wait_alu 0xfffd
	v_add_co_ci_u32_e64 v248, null, s55, v248, vcc_lo
	v_add_co_u32 v249, vcc_lo, v249, s54
	v_add_nc_u32_e32 v184, 64, v184
	s_wait_alu 0xfffd
	v_add_co_ci_u32_e64 v195, null, s55, v195, vcc_lo
	s_add_co_i32 s22, s23, 1
	s_add_co_i32 s23, s23, 2
	;; [unrolled: 1-line block ×3, first 2 shown]
	s_wait_alu 0xfffe
	s_cmp_ge_u32 s23, s36
	s_wait_loadcnt 0x0
	s_wait_storecnt 0x0
	s_barrier_signal -1
	s_barrier_wait -1
	global_inv scope:SCOPE_SE
	v_add_f64_e32 v[4:5], v[7:8], v[13:14]
	v_fma_f64 v[15:16], v[9:10], v[37:38], -v[15:16]
	v_mul_f64_e32 v[9:10], v[9:10], v[39:40]
	v_fma_f64 v[25:26], v[47:48], v[57:58], v[25:26]
	v_mul_f64_e32 v[39:40], v[79:80], v[107:108]
	s_delay_alu instid0(VALU_DEP_4) | instskip(NEXT) | instid1(VALU_DEP_4)
	v_add_f64_e32 v[2:3], v[2:3], v[15:16]
	v_fma_f64 v[9:10], v[11:12], v[37:38], v[9:10]
	v_mul_f64_e32 v[11:12], v[19:20], v[35:36]
	v_mul_f64_e32 v[37:38], v[53:54], v[63:64]
	v_fma_f64 v[39:40], v[77:78], v[105:106], -v[39:40]
	s_delay_alu instid0(VALU_DEP_4) | instskip(NEXT) | instid1(VALU_DEP_4)
	v_add_f64_e32 v[4:5], v[4:5], v[9:10]
	v_fma_f64 v[11:12], v[17:18], v[33:34], -v[11:12]
	v_mul_f64_e32 v[17:18], v[17:18], v[35:36]
	v_mul_f64_e32 v[35:36], v[55:56], v[63:64]
	v_fma_f64 v[37:38], v[55:56], v[61:62], v[37:38]
	v_mul_f64_e32 v[55:56], v[127:128], v[155:156]
	v_mul_f64_e32 v[63:64], v[131:132], v[91:92]
	v_add_f64_e32 v[2:3], v[2:3], v[11:12]
	v_fma_f64 v[17:18], v[19:20], v[33:34], v[17:18]
	v_mul_f64_e32 v[19:20], v[23:24], v[31:32]
	v_mul_f64_e32 v[33:34], v[49:50], v[67:68]
	v_fma_f64 v[35:36], v[53:54], v[61:62], -v[35:36]
	v_mul_f64_e32 v[53:54], v[101:102], v[111:112]
	v_fma_f64 v[55:56], v[125:126], v[153:154], -v[55:56]
	;; [unrolled: 2-line block ×3, first 2 shown]
	v_add_f64_e32 v[4:5], v[4:5], v[17:18]
	v_fma_f64 v[19:20], v[21:22], v[29:30], -v[19:20]
	v_mul_f64_e32 v[21:22], v[21:22], v[31:32]
	v_mul_f64_e32 v[31:32], v[51:52], v[67:68]
	v_fma_f64 v[33:34], v[51:52], v[65:66], v[33:34]
	v_mul_f64_e32 v[51:52], v[103:104], v[111:112]
	v_fma_f64 v[53:54], v[103:104], v[109:110], v[53:54]
	v_fma_f64 v[61:62], v[119:120], v[93:94], v[61:62]
	v_mul_f64_e32 v[67:68], v[151:152], v[87:88]
	v_add_f64_e32 v[2:3], v[2:3], v[19:20]
	v_fma_f64 v[21:22], v[23:24], v[29:30], v[21:22]
	v_mul_f64_e32 v[23:24], v[47:48], v[59:60]
	v_mul_f64_e32 v[29:30], v[41:42], v[71:72]
	v_fma_f64 v[31:32], v[49:50], v[65:66], -v[31:32]
	v_mul_f64_e32 v[41:42], v[77:78], v[107:108]
	v_mul_f64_e32 v[47:48], v[83:84], v[115:116]
	;; [unrolled: 1-line block ×3, first 2 shown]
	v_fma_f64 v[51:52], v[101:102], v[109:110], -v[51:52]
	v_mul_f64_e32 v[59:60], v[119:120], v[95:96]
	v_mul_f64_e32 v[65:66], v[129:130], v[91:92]
	v_fma_f64 v[67:68], v[149:150], v[85:86], -v[67:68]
	v_add_f64_e32 v[4:5], v[4:5], v[21:22]
	v_fma_f64 v[23:24], v[45:46], v[57:58], -v[23:24]
	v_fma_f64 v[29:30], v[43:44], v[69:70], v[29:30]
	v_mul_f64_e32 v[43:44], v[75:76], v[123:124]
	v_fma_f64 v[41:42], v[79:80], v[105:106], v[41:42]
	v_mul_f64_e32 v[45:46], v[73:74], v[123:124]
	v_fma_f64 v[47:48], v[81:82], v[113:114], -v[47:48]
	v_fma_f64 v[49:50], v[83:84], v[113:114], v[49:50]
	v_mul_f64_e32 v[57:58], v[125:126], v[155:156]
	v_fma_f64 v[59:60], v[117:118], v[93:94], -v[59:60]
	v_fma_f64 v[65:66], v[131:132], v[89:90], v[65:66]
	v_mul_f64_e32 v[69:70], v[149:150], v[87:88]
	v_add_f64_e32 v[4:5], v[4:5], v[25:26]
	v_add_f64_e32 v[2:3], v[2:3], v[23:24]
	v_fma_f64 v[43:44], v[73:74], v[121:122], -v[43:44]
	v_fma_f64 v[45:46], v[75:76], v[121:122], v[45:46]
	v_fma_f64 v[57:58], v[127:128], v[153:154], v[57:58]
	;; [unrolled: 1-line block ×3, first 2 shown]
	v_add_f64_e32 v[4:5], v[4:5], v[29:30]
	v_add_f64_e32 v[2:3], v[2:3], v[27:28]
	s_delay_alu instid0(VALU_DEP_2) | instskip(NEXT) | instid1(VALU_DEP_2)
	v_add_f64_e32 v[4:5], v[4:5], v[33:34]
	v_add_f64_e32 v[2:3], v[2:3], v[31:32]
	s_delay_alu instid0(VALU_DEP_2) | instskip(NEXT) | instid1(VALU_DEP_2)
	v_add_f64_e32 v[4:5], v[4:5], v[37:38]
	v_add_f64_e32 v[2:3], v[2:3], v[35:36]
	s_delay_alu instid0(VALU_DEP_2) | instskip(NEXT) | instid1(VALU_DEP_2)
	v_add_f64_e32 v[4:5], v[4:5], v[41:42]
	v_add_f64_e32 v[2:3], v[2:3], v[39:40]
	s_delay_alu instid0(VALU_DEP_2) | instskip(NEXT) | instid1(VALU_DEP_2)
	v_add_f64_e32 v[4:5], v[4:5], v[45:46]
	v_add_f64_e32 v[2:3], v[2:3], v[43:44]
	s_delay_alu instid0(VALU_DEP_2) | instskip(NEXT) | instid1(VALU_DEP_2)
	v_add_f64_e32 v[4:5], v[4:5], v[49:50]
	v_add_f64_e32 v[2:3], v[2:3], v[47:48]
	s_delay_alu instid0(VALU_DEP_2) | instskip(NEXT) | instid1(VALU_DEP_2)
	v_add_f64_e32 v[4:5], v[4:5], v[53:54]
	v_add_f64_e32 v[2:3], v[2:3], v[51:52]
	s_delay_alu instid0(VALU_DEP_2) | instskip(NEXT) | instid1(VALU_DEP_2)
	v_add_f64_e32 v[4:5], v[4:5], v[57:58]
	v_add_f64_e32 v[2:3], v[2:3], v[55:56]
	s_delay_alu instid0(VALU_DEP_2) | instskip(NEXT) | instid1(VALU_DEP_2)
	v_add_f64_e32 v[4:5], v[4:5], v[61:62]
	v_add_f64_e32 v[2:3], v[2:3], v[59:60]
	s_delay_alu instid0(VALU_DEP_2) | instskip(NEXT) | instid1(VALU_DEP_2)
	v_add_f64_e32 v[7:8], v[4:5], v[65:66]
	v_add_f64_e32 v[2:3], v[2:3], v[63:64]
	s_delay_alu instid0(VALU_DEP_2) | instskip(NEXT) | instid1(VALU_DEP_2)
	v_add_f64_e32 v[7:8], v[7:8], v[69:70]
	v_add_f64_e32 v[5:6], v[2:3], v[67:68]
	s_cbranch_scc1 .LBB54_164
; %bb.163:                              ;   in Loop: Header=BB54_112 Depth=2
	s_mov_b32 s23, s22
	s_wait_alu 0xfffe
	s_cmp_eq_u32 s73, s23
	s_cselect_b32 s77, s37, 0
	s_and_saveexec_b32 s22, s0
	s_cbranch_execnz .LBB54_108
	s_branch .LBB54_112
.LBB54_164:                             ;   in Loop: Header=BB54_4 Depth=1
	scratch_load_b32 v2, off, off offset:8  ; 4-byte Folded Reload
	s_wait_loadcnt 0x0
	ds_store_b128 v2, v[5:8]
	s_wait_dscnt 0x0
	s_barrier_signal -1
	s_barrier_wait -1
	global_inv scope:SCOPE_SE
	s_and_saveexec_b32 s22, s75
	s_cbranch_execz .LBB54_2
; %bb.165:                              ;   in Loop: Header=BB54_4 Depth=1
	v_lshlrev_b32_e32 v14, 4, v173
	ds_load_b128 v[2:5], v14 offset:1072
	ds_load_b128 v[6:9], v14
	s_wait_dscnt 0x0
	v_add_f64_e32 v[10:11], v[2:3], v[6:7]
	v_add_f64_e32 v[12:13], v[4:5], v[8:9]
	ds_load_b128 v[2:5], v14 offset:2144
	ds_load_b128 v[6:9], v14 offset:3216
	s_wait_dscnt 0x1
	v_add_f64_e32 v[2:3], v[10:11], v[2:3]
	v_add_f64_e32 v[4:5], v[12:13], v[4:5]
	s_wait_dscnt 0x0
	s_delay_alu instid0(VALU_DEP_2)
	v_add_f64_e32 v[2:3], v[2:3], v[6:7]
	scratch_load_b64 v[6:7], off, off offset:196 ; 8-byte Folded Reload
	v_add_f64_e32 v[4:5], v[4:5], v[8:9]
	s_wait_loadcnt 0x0
	s_wait_alu 0xfffe
	v_add_co_u32 v6, vcc_lo, s64, v6
	s_wait_alu 0xfffd
	v_add_co_ci_u32_e64 v7, null, s65, v7, vcc_lo
	global_store_b128 v[6:7], v[2:5], off
	s_branch .LBB54_2
.LBB54_166:                             ;   in Loop: Header=BB54_4 Depth=1
	ds_load_b128 v[2:5], v194
	v_add_nc_u32_e32 v6, 16, v193
	s_mov_b32 s22, exec_lo
	s_wait_dscnt 0x0
	v_xor_b32_e32 v5, 0x80000000, v5
	ds_store_b64 v6, v[2:3]
	s_wait_alu 0xfffe
	s_or_saveexec_b32 s23, s23
	v_add_nc_u32_e32 v2, 16, v193
	s_wait_alu 0xfffe
	s_xor_b32 exec_lo, exec_lo, s23
	s_cbranch_execz .LBB54_34
.LBB54_167:                             ;   in Loop: Header=BB54_4 Depth=1
	v_mov_b32_e32 v4, 0
	v_dual_mov_b32 v5, 0 :: v_dual_mov_b32 v2, v192
	s_and_not1_b32 s22, s22, exec_lo
	s_and_b32 s64, s9, exec_lo
	s_wait_alu 0xfffe
	s_or_b32 s22, s22, s64
	s_or_b32 exec_lo, exec_lo, s23
	s_wait_alu 0xfffe
	s_and_saveexec_b32 s23, s22
	s_cbranch_execnz .LBB54_35
	s_branch .LBB54_36
.LBB54_168:                             ;   in Loop: Header=BB54_4 Depth=1
	ds_load_b128 v[9:12], v194
	v_add_nc_u32_e32 v2, 16, v193
	s_mov_b32 s22, exec_lo
	s_wait_dscnt 0x0
	v_xor_b32_e32 v12, 0x80000000, v12
	ds_store_b64 v2, v[9:10]
	s_wait_alu 0xfffe
	s_or_saveexec_b32 s23, s23
	v_add_nc_u32_e32 v2, 16, v193
	s_wait_alu 0xfffe
	s_xor_b32 exec_lo, exec_lo, s23
	s_cbranch_execz .LBB54_72
.LBB54_169:                             ;   in Loop: Header=BB54_4 Depth=1
	v_dual_mov_b32 v11, 0 :: v_dual_mov_b32 v2, v192
	v_mov_b32_e32 v12, 0
	s_and_not1_b32 s22, s22, exec_lo
	s_and_b32 s64, s9, exec_lo
	s_wait_alu 0xfffe
	s_or_b32 s22, s22, s64
	s_or_b32 exec_lo, exec_lo, s23
	s_wait_alu 0xfffe
	s_and_saveexec_b32 s23, s22
	s_cbranch_execnz .LBB54_73
	s_branch .LBB54_74
.LBB54_170:                             ;   in Loop: Header=BB54_4 Depth=1
	flat_load_b128 v[9:12], v[7:8]
	s_wait_loadcnt_dscnt 0x0
	ds_store_2addr_b64 v186, v[9:10], v[11:12] offset1:1
	s_or_b32 exec_lo, exec_lo, s22
	s_and_saveexec_b32 s22, s3
	s_wait_alu 0xfffe
	s_xor_b32 s22, exec_lo, s22
	s_cbranch_execz .LBB54_17
.LBB54_171:                             ;   in Loop: Header=BB54_4 Depth=1
	v_dual_mov_b32 v2, v1 :: v_dual_mov_b32 v3, v1
	v_dual_mov_b32 v4, v1 :: v_dual_add_nc_u32 v9, 0x1080, v186
	ds_store_b128 v9, v[1:4]
	s_wait_alu 0xfffe
	s_and_not1_saveexec_b32 s22, s22
	s_cbranch_execz .LBB54_18
.LBB54_172:                             ;   in Loop: Header=BB54_4 Depth=1
	s_lshl_b64 s[64:65], s[42:43], 4
	s_wait_alu 0xfffe
	v_add_co_u32 v2, vcc_lo, v7, s64
	s_wait_alu 0xfffd
	v_add_co_ci_u32_e64 v3, null, s65, v8, vcc_lo
	flat_load_b128 v[9:12], v[2:3]
	v_add_nc_u32_e32 v2, 0x1080, v186
	s_wait_loadcnt_dscnt 0x0
	ds_store_2addr_b64 v2, v[9:10], v[11:12] offset1:1
	s_or_b32 exec_lo, exec_lo, s22
	s_and_saveexec_b32 s22, s4
	s_wait_alu 0xfffe
	s_xor_b32 s22, exec_lo, s22
	s_cbranch_execz .LBB54_19
.LBB54_173:                             ;   in Loop: Header=BB54_4 Depth=1
	v_dual_mov_b32 v2, v1 :: v_dual_mov_b32 v3, v1
	v_dual_mov_b32 v4, v1 :: v_dual_add_nc_u32 v9, 0x2100, v186
	ds_store_b128 v9, v[1:4]
	s_wait_alu 0xfffe
	s_and_not1_saveexec_b32 s22, s22
	s_cbranch_execz .LBB54_20
.LBB54_174:                             ;   in Loop: Header=BB54_4 Depth=1
	v_add_co_u32 v2, vcc_lo, v7, s56
	s_wait_alu 0xfffd
	v_add_co_ci_u32_e64 v3, null, s57, v8, vcc_lo
	flat_load_b128 v[9:12], v[2:3]
	v_add_nc_u32_e32 v2, 0x2100, v186
	s_wait_loadcnt_dscnt 0x0
	ds_store_2addr_b64 v2, v[9:10], v[11:12] offset1:1
	s_wait_alu 0xfffe
	s_or_b32 exec_lo, exec_lo, s22
	s_and_saveexec_b32 s22, s5
	s_wait_alu 0xfffe
	s_xor_b32 s22, exec_lo, s22
	s_cbranch_execz .LBB54_21
.LBB54_175:                             ;   in Loop: Header=BB54_4 Depth=1
	v_dual_mov_b32 v2, v1 :: v_dual_mov_b32 v3, v1
	v_dual_mov_b32 v4, v1 :: v_dual_add_nc_u32 v9, 0x3180, v186
	ds_store_b128 v9, v[1:4]
	s_wait_alu 0xfffe
	s_and_not1_saveexec_b32 s22, s22
	s_cbranch_execnz .LBB54_22
	s_branch .LBB54_23
.LBB54_176:                             ;   in Loop: Header=BB54_4 Depth=1
	flat_load_b128 v[17:20], v[11:12]
	s_wait_loadcnt_dscnt 0x0
	ds_store_2addr_b64 v186, v[17:18], v[19:20] offset1:1
	s_or_b32 exec_lo, exec_lo, s22
	s_and_saveexec_b32 s22, s17
	s_wait_alu 0xfffe
	s_xor_b32 s22, exec_lo, s22
	s_cbranch_execz .LBB54_55
.LBB54_177:                             ;   in Loop: Header=BB54_4 Depth=1
	v_dual_mov_b32 v2, v1 :: v_dual_mov_b32 v3, v1
	v_dual_mov_b32 v4, v1 :: v_dual_add_nc_u32 v13, 0x1080, v186
	ds_store_b128 v13, v[1:4]
	s_wait_alu 0xfffe
	s_and_not1_saveexec_b32 s22, s22
	s_cbranch_execz .LBB54_56
.LBB54_178:                             ;   in Loop: Header=BB54_4 Depth=1
	s_lshl_b64 s[64:65], s[42:43], 4
	s_wait_alu 0xfffe
	v_add_co_u32 v2, vcc_lo, v11, s64
	s_wait_alu 0xfffd
	v_add_co_ci_u32_e64 v3, null, s65, v12, vcc_lo
	flat_load_b128 v[17:20], v[2:3]
	v_add_nc_u32_e32 v2, 0x1080, v186
	s_wait_loadcnt_dscnt 0x0
	ds_store_2addr_b64 v2, v[17:18], v[19:20] offset1:1
	s_or_b32 exec_lo, exec_lo, s22
	s_and_saveexec_b32 s22, s18
	s_wait_alu 0xfffe
	s_xor_b32 s22, exec_lo, s22
	s_cbranch_execz .LBB54_57
.LBB54_179:                             ;   in Loop: Header=BB54_4 Depth=1
	v_dual_mov_b32 v2, v1 :: v_dual_mov_b32 v3, v1
	v_dual_mov_b32 v4, v1 :: v_dual_add_nc_u32 v13, 0x2100, v186
	ds_store_b128 v13, v[1:4]
	s_wait_alu 0xfffe
	s_and_not1_saveexec_b32 s22, s22
	s_cbranch_execz .LBB54_58
.LBB54_180:                             ;   in Loop: Header=BB54_4 Depth=1
	v_add_co_u32 v2, vcc_lo, v11, s56
	s_wait_alu 0xfffd
	v_add_co_ci_u32_e64 v3, null, s57, v12, vcc_lo
	flat_load_b128 v[17:20], v[2:3]
	v_add_nc_u32_e32 v2, 0x2100, v186
	s_wait_loadcnt_dscnt 0x0
	ds_store_2addr_b64 v2, v[17:18], v[19:20] offset1:1
	s_wait_alu 0xfffe
	s_or_b32 exec_lo, exec_lo, s22
	s_and_saveexec_b32 s22, s19
	s_wait_alu 0xfffe
	s_xor_b32 s22, exec_lo, s22
	s_cbranch_execz .LBB54_59
.LBB54_181:                             ;   in Loop: Header=BB54_4 Depth=1
	v_dual_mov_b32 v2, v1 :: v_dual_mov_b32 v3, v1
	v_dual_mov_b32 v4, v1 :: v_dual_add_nc_u32 v13, 0x3180, v186
	ds_store_b128 v13, v[1:4]
	s_wait_alu 0xfffe
	s_and_not1_saveexec_b32 s22, s22
	s_cbranch_execnz .LBB54_60
	s_branch .LBB54_61
.LBB54_182:                             ;   in Loop: Header=BB54_4 Depth=1
	flat_load_b128 v[15:18], v[11:12]
	s_wait_loadcnt_dscnt 0x0
	ds_store_2addr_b64 v186, v[15:16], v[17:18] offset1:1
	s_or_b32 exec_lo, exec_lo, s22
	s_and_saveexec_b32 s22, s17
	s_wait_alu 0xfffe
	s_xor_b32 s22, exec_lo, s22
	s_cbranch_execz .LBB54_93
.LBB54_183:                             ;   in Loop: Header=BB54_4 Depth=1
	v_dual_mov_b32 v2, v1 :: v_dual_mov_b32 v3, v1
	v_dual_mov_b32 v4, v1 :: v_dual_add_nc_u32 v15, 0x1080, v186
	ds_store_b128 v15, v[1:4]
	s_wait_alu 0xfffe
	s_and_not1_saveexec_b32 s22, s22
	s_cbranch_execz .LBB54_94
.LBB54_184:                             ;   in Loop: Header=BB54_4 Depth=1
	s_lshl_b64 s[64:65], s[42:43], 4
	s_wait_alu 0xfffe
	v_add_co_u32 v2, vcc_lo, v11, s64
	s_wait_alu 0xfffd
	v_add_co_ci_u32_e64 v3, null, s65, v12, vcc_lo
	flat_load_b128 v[15:18], v[2:3]
	v_add_nc_u32_e32 v2, 0x1080, v186
	s_wait_loadcnt_dscnt 0x0
	ds_store_2addr_b64 v2, v[15:16], v[17:18] offset1:1
	s_or_b32 exec_lo, exec_lo, s22
	s_and_saveexec_b32 s22, s18
	s_wait_alu 0xfffe
	s_xor_b32 s22, exec_lo, s22
	s_cbranch_execz .LBB54_95
.LBB54_185:                             ;   in Loop: Header=BB54_4 Depth=1
	v_dual_mov_b32 v2, v1 :: v_dual_mov_b32 v3, v1
	v_dual_mov_b32 v4, v1 :: v_dual_add_nc_u32 v15, 0x2100, v186
	ds_store_b128 v15, v[1:4]
	s_wait_alu 0xfffe
	s_and_not1_saveexec_b32 s22, s22
	s_cbranch_execz .LBB54_96
.LBB54_186:                             ;   in Loop: Header=BB54_4 Depth=1
	v_add_co_u32 v2, vcc_lo, v11, s56
	s_wait_alu 0xfffd
	v_add_co_ci_u32_e64 v3, null, s57, v12, vcc_lo
	flat_load_b128 v[15:18], v[2:3]
	v_add_nc_u32_e32 v2, 0x2100, v186
	s_wait_loadcnt_dscnt 0x0
	ds_store_2addr_b64 v2, v[15:16], v[17:18] offset1:1
	s_wait_alu 0xfffe
	s_or_b32 exec_lo, exec_lo, s22
	s_and_saveexec_b32 s22, s19
	s_wait_alu 0xfffe
	s_xor_b32 s22, exec_lo, s22
	s_cbranch_execz .LBB54_97
.LBB54_187:                             ;   in Loop: Header=BB54_4 Depth=1
	v_dual_mov_b32 v2, v1 :: v_dual_mov_b32 v3, v1
	v_dual_mov_b32 v4, v1 :: v_dual_add_nc_u32 v15, 0x3180, v186
	ds_store_b128 v15, v[1:4]
	s_wait_alu 0xfffe
	s_and_not1_saveexec_b32 s22, s22
	s_cbranch_execnz .LBB54_98
	s_branch .LBB54_99
.LBB54_188:
	s_nop 0
	s_sendmsg sendmsg(MSG_DEALLOC_VGPRS)
	s_endpgm
	.section	.rodata,"a",@progbits
	.p2align	6, 0x0
	.amdhsa_kernel _ZL26rocblas_hemvn_kernel_upperILb1ELi64ELi4ELi33ELi32ELi16Ei19rocblas_complex_numIdEPKPKS1_PS1_EviT6_lT7_lT5_lS8_lS9_lS7_lT8_i
		.amdhsa_group_segment_fixed_size 19200
		.amdhsa_private_segment_fixed_size 208
		.amdhsa_kernarg_size 392
		.amdhsa_user_sgpr_count 2
		.amdhsa_user_sgpr_dispatch_ptr 0
		.amdhsa_user_sgpr_queue_ptr 0
		.amdhsa_user_sgpr_kernarg_segment_ptr 1
		.amdhsa_user_sgpr_dispatch_id 0
		.amdhsa_user_sgpr_private_segment_size 0
		.amdhsa_wavefront_size32 1
		.amdhsa_uses_dynamic_stack 0
		.amdhsa_enable_private_segment 1
		.amdhsa_system_sgpr_workgroup_id_x 1
		.amdhsa_system_sgpr_workgroup_id_y 0
		.amdhsa_system_sgpr_workgroup_id_z 1
		.amdhsa_system_sgpr_workgroup_info 0
		.amdhsa_system_vgpr_workitem_id 1
		.amdhsa_next_free_vgpr 256
		.amdhsa_next_free_sgpr 90
		.amdhsa_reserve_vcc 1
		.amdhsa_float_round_mode_32 0
		.amdhsa_float_round_mode_16_64 0
		.amdhsa_float_denorm_mode_32 3
		.amdhsa_float_denorm_mode_16_64 3
		.amdhsa_fp16_overflow 0
		.amdhsa_workgroup_processor_mode 1
		.amdhsa_memory_ordered 1
		.amdhsa_forward_progress 1
		.amdhsa_inst_pref_size 115
		.amdhsa_round_robin_scheduling 0
		.amdhsa_exception_fp_ieee_invalid_op 0
		.amdhsa_exception_fp_denorm_src 0
		.amdhsa_exception_fp_ieee_div_zero 0
		.amdhsa_exception_fp_ieee_overflow 0
		.amdhsa_exception_fp_ieee_underflow 0
		.amdhsa_exception_fp_ieee_inexact 0
		.amdhsa_exception_int_div_zero 0
	.end_amdhsa_kernel
	.section	.text._ZL26rocblas_hemvn_kernel_upperILb1ELi64ELi4ELi33ELi32ELi16Ei19rocblas_complex_numIdEPKPKS1_PS1_EviT6_lT7_lT5_lS8_lS9_lS7_lT8_i,"axG",@progbits,_ZL26rocblas_hemvn_kernel_upperILb1ELi64ELi4ELi33ELi32ELi16Ei19rocblas_complex_numIdEPKPKS1_PS1_EviT6_lT7_lT5_lS8_lS9_lS7_lT8_i,comdat
.Lfunc_end54:
	.size	_ZL26rocblas_hemvn_kernel_upperILb1ELi64ELi4ELi33ELi32ELi16Ei19rocblas_complex_numIdEPKPKS1_PS1_EviT6_lT7_lT5_lS8_lS9_lS7_lT8_i, .Lfunc_end54-_ZL26rocblas_hemvn_kernel_upperILb1ELi64ELi4ELi33ELi32ELi16Ei19rocblas_complex_numIdEPKPKS1_PS1_EviT6_lT7_lT5_lS8_lS9_lS7_lT8_i
                                        ; -- End function
	.set _ZL26rocblas_hemvn_kernel_upperILb1ELi64ELi4ELi33ELi32ELi16Ei19rocblas_complex_numIdEPKPKS1_PS1_EviT6_lT7_lT5_lS8_lS9_lS7_lT8_i.num_vgpr, 256
	.set _ZL26rocblas_hemvn_kernel_upperILb1ELi64ELi4ELi33ELi32ELi16Ei19rocblas_complex_numIdEPKPKS1_PS1_EviT6_lT7_lT5_lS8_lS9_lS7_lT8_i.num_agpr, 0
	.set _ZL26rocblas_hemvn_kernel_upperILb1ELi64ELi4ELi33ELi32ELi16Ei19rocblas_complex_numIdEPKPKS1_PS1_EviT6_lT7_lT5_lS8_lS9_lS7_lT8_i.numbered_sgpr, 90
	.set _ZL26rocblas_hemvn_kernel_upperILb1ELi64ELi4ELi33ELi32ELi16Ei19rocblas_complex_numIdEPKPKS1_PS1_EviT6_lT7_lT5_lS8_lS9_lS7_lT8_i.num_named_barrier, 0
	.set _ZL26rocblas_hemvn_kernel_upperILb1ELi64ELi4ELi33ELi32ELi16Ei19rocblas_complex_numIdEPKPKS1_PS1_EviT6_lT7_lT5_lS8_lS9_lS7_lT8_i.private_seg_size, 208
	.set _ZL26rocblas_hemvn_kernel_upperILb1ELi64ELi4ELi33ELi32ELi16Ei19rocblas_complex_numIdEPKPKS1_PS1_EviT6_lT7_lT5_lS8_lS9_lS7_lT8_i.uses_vcc, 1
	.set _ZL26rocblas_hemvn_kernel_upperILb1ELi64ELi4ELi33ELi32ELi16Ei19rocblas_complex_numIdEPKPKS1_PS1_EviT6_lT7_lT5_lS8_lS9_lS7_lT8_i.uses_flat_scratch, 1
	.set _ZL26rocblas_hemvn_kernel_upperILb1ELi64ELi4ELi33ELi32ELi16Ei19rocblas_complex_numIdEPKPKS1_PS1_EviT6_lT7_lT5_lS8_lS9_lS7_lT8_i.has_dyn_sized_stack, 0
	.set _ZL26rocblas_hemvn_kernel_upperILb1ELi64ELi4ELi33ELi32ELi16Ei19rocblas_complex_numIdEPKPKS1_PS1_EviT6_lT7_lT5_lS8_lS9_lS7_lT8_i.has_recursion, 0
	.set _ZL26rocblas_hemvn_kernel_upperILb1ELi64ELi4ELi33ELi32ELi16Ei19rocblas_complex_numIdEPKPKS1_PS1_EviT6_lT7_lT5_lS8_lS9_lS7_lT8_i.has_indirect_call, 0
	.section	.AMDGPU.csdata,"",@progbits
; Kernel info:
; codeLenInByte = 14720
; TotalNumSgprs: 92
; NumVgprs: 256
; ScratchSize: 208
; MemoryBound: 1
; FloatMode: 240
; IeeeMode: 1
; LDSByteSize: 19200 bytes/workgroup (compile time only)
; SGPRBlocks: 0
; VGPRBlocks: 31
; NumSGPRsForWavesPerEU: 92
; NumVGPRsForWavesPerEU: 256
; Occupancy: 5
; WaveLimiterHint : 1
; COMPUTE_PGM_RSRC2:SCRATCH_EN: 1
; COMPUTE_PGM_RSRC2:USER_SGPR: 2
; COMPUTE_PGM_RSRC2:TRAP_HANDLER: 0
; COMPUTE_PGM_RSRC2:TGID_X_EN: 1
; COMPUTE_PGM_RSRC2:TGID_Y_EN: 0
; COMPUTE_PGM_RSRC2:TGID_Z_EN: 1
; COMPUTE_PGM_RSRC2:TIDIG_COMP_CNT: 1
	.section	.text._ZL36rocblas_hemvn_kernel_upper_block_sumILi64Ei19rocblas_complex_numIdEPKPS1_S1_EviT1_lS5_lT2_lT0_lPT3_i,"axG",@progbits,_ZL36rocblas_hemvn_kernel_upper_block_sumILi64Ei19rocblas_complex_numIdEPKPS1_S1_EviT1_lS5_lT2_lT0_lPT3_i,comdat
	.globl	_ZL36rocblas_hemvn_kernel_upper_block_sumILi64Ei19rocblas_complex_numIdEPKPS1_S1_EviT1_lS5_lT2_lT0_lPT3_i ; -- Begin function _ZL36rocblas_hemvn_kernel_upper_block_sumILi64Ei19rocblas_complex_numIdEPKPS1_S1_EviT1_lS5_lT2_lT0_lPT3_i
	.p2align	8
	.type	_ZL36rocblas_hemvn_kernel_upper_block_sumILi64Ei19rocblas_complex_numIdEPKPS1_S1_EviT1_lS5_lT2_lT0_lPT3_i,@function
_ZL36rocblas_hemvn_kernel_upper_block_sumILi64Ei19rocblas_complex_numIdEPKPS1_S1_EviT1_lS5_lT2_lT0_lPT3_i: ; @_ZL36rocblas_hemvn_kernel_upper_block_sumILi64Ei19rocblas_complex_numIdEPKPS1_S1_EviT1_lS5_lT2_lT0_lPT3_i
; %bb.0:
	s_load_b32 s22, s[0:1], 0x60
	s_lshr_b32 s2, ttmp7, 16
	s_wait_kmcnt 0x0
	s_cmp_ge_u32 s2, s22
	s_cbranch_scc1 .LBB55_24
; %bb.1:
	s_clause 0x5
	s_load_b128 s[4:7], s[0:1], 0x8
	s_load_b128 s[8:11], s[0:1], 0x20
	s_load_b32 s16, s[0:1], 0x48
	s_load_b32 s18, s[0:1], 0x0
	s_load_b64 s[20:21], s[0:1], 0x58
	s_load_b128 s[12:15], s[0:1], 0x38
	v_lshl_or_b32 v0, ttmp9, 6, v0
	s_delay_alu instid0(VALU_DEP_1) | instskip(NEXT) | instid1(VALU_DEP_1)
	v_ashrrev_i32_e32 v1, 31, v0
	v_lshlrev_b64_e32 v[1:2], 4, v[0:1]
	s_wait_kmcnt 0x0
	v_cmp_neq_f64_e64 s3, s[4:5], 0
	v_cmp_neq_f64_e64 s23, s[6:7], 0
	;; [unrolled: 1-line block ×4, first 2 shown]
	v_cmp_neq_f64_e64 s25, s[8:9], 1.0
	v_mul_lo_u32 v6, s16, v0
	s_add_nc_u64 s[16:17], s[0:1], 0x68
	v_cmp_gt_i32_e64 s0, s18, v0
	v_add_co_u32 v0, vcc_lo, s20, v1
	s_delay_alu instid0(VALU_DEP_1)
	v_add_co_ci_u32_e64 v1, null, s21, v2, vcc_lo
	s_ashr_i32 s19, s18, 31
	v_ashrrev_i32_e32 v7, 31, v6
	v_add_co_u32 v4, vcc_lo, v0, 8
	s_wait_alu 0xfffd
	v_add_co_ci_u32_e64 v5, null, 0, v1, vcc_lo
	s_delay_alu instid0(VALU_DEP_3)
	v_lshlrev_b64_e32 v[6:7], 4, v[6:7]
	s_or_b32 s3, s3, s23
	s_or_b32 s20, s24, s26
	s_xor_b32 s1, s3, -1
	s_wait_alu 0xfffe
	s_xor_b32 s23, s20, -1
	s_cmp_gt_i32 ttmp9, -1
	v_cndmask_b32_e64 v10, 0, 1, s20
	s_cselect_b32 s24, -1, 0
	s_or_b32 s3, s3, s25
	s_add_co_i32 s25, ttmp9, 1
	s_or_b32 s26, s3, s26
	s_lshl_b64 s[18:19], s[18:19], 4
	s_mov_b32 s3, 0
	s_lshl_b64 s[14:15], s[14:15], 4
	s_branch .LBB55_4
.LBB55_2:                               ;   in Loop: Header=BB55_4 Depth=1
	s_or_b32 exec_lo, exec_lo, s28
.LBB55_3:                               ;   in Loop: Header=BB55_4 Depth=1
	s_add_co_i32 s2, s2, 0x10000
	s_wait_alu 0xfffe
	s_cmp_lt_u32 s2, s22
	s_cbranch_scc0 .LBB55_24
.LBB55_4:                               ; =>This Loop Header: Depth=1
                                        ;     Child Loop BB55_15 Depth 2
	s_and_not1_b32 vcc_lo, exec_lo, s26
	s_wait_alu 0xfffe
	s_cbranch_vccnz .LBB55_3
; %bb.5:                                ;   in Loop: Header=BB55_4 Depth=1
	s_lshl_b64 s[20:21], s[2:3], 3
	s_and_not1_b32 vcc_lo, exec_lo, s1
	s_wait_alu 0xfffe
	s_add_nc_u64 s[20:21], s[12:13], s[20:21]
	s_load_b64 s[20:21], s[20:21], 0x0
	s_wait_kmcnt 0x0
	s_add_nc_u64 s[20:21], s[20:21], s[14:15]
	s_cbranch_vccnz .LBB55_10
; %bb.6:                                ;   in Loop: Header=BB55_4 Depth=1
	s_mov_b32 s28, 0
	s_mov_b32 s27, 0
                                        ; implicit-def: $vgpr2_vgpr3
	s_and_saveexec_b32 s29, s0
	s_cbranch_execz .LBB55_11
; %bb.7:                                ;   in Loop: Header=BB55_4 Depth=1
	v_cmp_ne_u32_e32 vcc_lo, 1, v10
	v_mov_b32_e32 v2, 0
	v_dual_mov_b32 v3, 0 :: v_dual_mov_b32 v0, 0
	v_mov_b32_e32 v1, 0
	s_cbranch_vccnz .LBB55_9
; %bb.8:                                ;   in Loop: Header=BB55_4 Depth=1
	s_wait_alu 0xfffe
	v_add_co_u32 v0, vcc_lo, s20, v6
	s_wait_alu 0xfffd
	v_add_co_ci_u32_e64 v1, null, s21, v7, vcc_lo
	flat_load_b128 v[11:14], v[0:1]
	s_wait_loadcnt_dscnt 0x0
	v_mul_f64_e32 v[0:1], s[10:11], v[13:14]
	v_mul_f64_e32 v[2:3], s[8:9], v[13:14]
	s_delay_alu instid0(VALU_DEP_2) | instskip(NEXT) | instid1(VALU_DEP_2)
	v_fma_f64 v[0:1], s[8:9], v[11:12], -v[0:1]
	v_fma_f64 v[2:3], s[10:11], v[11:12], v[2:3]
.LBB55_9:                               ;   in Loop: Header=BB55_4 Depth=1
	s_mov_b32 s27, exec_lo
	s_or_b32 exec_lo, exec_lo, s29
	s_delay_alu instid0(SALU_CYCLE_1)
	s_and_b32 vcc_lo, exec_lo, s28
	s_wait_alu 0xfffe
	s_cbranch_vccnz .LBB55_12
	s_branch .LBB55_22
.LBB55_10:                              ;   in Loop: Header=BB55_4 Depth=1
	s_mov_b32 s27, 0
                                        ; implicit-def: $vgpr2_vgpr3
	s_cbranch_execnz .LBB55_12
	s_branch .LBB55_22
.LBB55_11:                              ;   in Loop: Header=BB55_4 Depth=1
	s_or_b32 exec_lo, exec_lo, s29
	s_delay_alu instid0(SALU_CYCLE_1)
	s_and_b32 vcc_lo, exec_lo, s28
	s_wait_alu 0xfffe
	s_cbranch_vccz .LBB55_22
.LBB55_12:                              ;   in Loop: Header=BB55_4 Depth=1
                                        ; implicit-def: $vgpr2_vgpr3
	s_and_saveexec_b32 s28, s0
	s_cbranch_execz .LBB55_21
; %bb.13:                               ;   in Loop: Header=BB55_4 Depth=1
	v_mov_b32_e32 v0, 0
	v_dual_mov_b32 v1, 0 :: v_dual_mov_b32 v2, 0
	v_mov_b32_e32 v3, 0
	s_and_not1_b32 vcc_lo, exec_lo, s24
	s_wait_alu 0xfffe
	s_cbranch_vccnz .LBB55_16
; %bb.14:                               ;   in Loop: Header=BB55_4 Depth=1
	s_load_b32 s30, s[16:17], 0x0
	s_mov_b32 s31, s3
	v_mov_b32_e32 v2, 0
	s_mov_b32 s29, s25
	v_mov_b32_e32 v3, 0
	s_wait_kmcnt 0x0
	s_wait_alu 0xfffe
	s_mul_u64 s[30:31], s[18:19], s[30:31]
	s_wait_alu 0xfffe
	v_mad_co_u64_u32 v[8:9], null, s30, s2, v[4:5]
	s_delay_alu instid0(VALU_DEP_1) | instskip(NEXT) | instid1(VALU_DEP_1)
	v_mov_b32_e32 v0, v9
	v_mad_co_u64_u32 v[11:12], null, s31, s2, v[0:1]
	v_mov_b32_e32 v0, 0
	v_mov_b32_e32 v1, 0
	s_delay_alu instid0(VALU_DEP_3)
	v_mov_b32_e32 v9, v11
.LBB55_15:                              ;   Parent Loop BB55_4 Depth=1
                                        ; =>  This Inner Loop Header: Depth=2
	global_load_b128 v[11:14], v[8:9], off offset:-8
	v_add_co_u32 v8, vcc_lo, v8, s18
	s_wait_alu 0xfffd
	v_add_co_ci_u32_e64 v9, null, s19, v9, vcc_lo
	s_add_co_i32 s29, s29, -1
	s_delay_alu instid0(SALU_CYCLE_1)
	s_cmp_eq_u32 s29, 0
	s_wait_loadcnt 0x0
	v_add_f64_e32 v[2:3], v[2:3], v[11:12]
	v_add_f64_e32 v[0:1], v[0:1], v[13:14]
	s_cbranch_scc0 .LBB55_15
.LBB55_16:                              ;   in Loop: Header=BB55_4 Depth=1
	s_delay_alu instid0(VALU_DEP_1) | instskip(SKIP_3) | instid1(VALU_DEP_2)
	v_mul_f64_e32 v[8:9], s[6:7], v[0:1]
	v_mul_f64_e32 v[11:12], s[4:5], v[0:1]
	s_and_b32 vcc_lo, exec_lo, s23
	s_mov_b32 s29, -1
	v_fma_f64 v[0:1], s[4:5], v[2:3], -v[8:9]
	s_delay_alu instid0(VALU_DEP_2)
	v_fma_f64 v[2:3], s[6:7], v[2:3], v[11:12]
	s_wait_alu 0xfffe
	s_cbranch_vccz .LBB55_18
; %bb.17:                               ;   in Loop: Header=BB55_4 Depth=1
	s_mov_b32 s29, 0
.LBB55_18:                              ;   in Loop: Header=BB55_4 Depth=1
	s_delay_alu instid0(SALU_CYCLE_1)
	s_and_not1_b32 vcc_lo, exec_lo, s29
	s_wait_alu 0xfffe
	s_cbranch_vccnz .LBB55_20
; %bb.19:                               ;   in Loop: Header=BB55_4 Depth=1
	v_add_co_u32 v8, vcc_lo, s20, v6
	s_wait_alu 0xfffd
	v_add_co_ci_u32_e64 v9, null, s21, v7, vcc_lo
	flat_load_b128 v[11:14], v[8:9]
	s_wait_loadcnt_dscnt 0x0
	v_mul_f64_e32 v[8:9], s[10:11], v[13:14]
	v_mul_f64_e32 v[13:14], s[8:9], v[13:14]
	s_delay_alu instid0(VALU_DEP_2) | instskip(NEXT) | instid1(VALU_DEP_2)
	v_fma_f64 v[8:9], s[8:9], v[11:12], -v[8:9]
	v_fma_f64 v[11:12], s[10:11], v[11:12], v[13:14]
	s_delay_alu instid0(VALU_DEP_2) | instskip(NEXT) | instid1(VALU_DEP_2)
	v_add_f64_e32 v[0:1], v[0:1], v[8:9]
	v_add_f64_e32 v[2:3], v[2:3], v[11:12]
.LBB55_20:                              ;   in Loop: Header=BB55_4 Depth=1
	s_or_b32 s27, s27, exec_lo
.LBB55_21:                              ;   in Loop: Header=BB55_4 Depth=1
	s_or_b32 exec_lo, exec_lo, s28
.LBB55_22:                              ;   in Loop: Header=BB55_4 Depth=1
	s_and_saveexec_b32 s28, s27
	s_cbranch_execz .LBB55_2
; %bb.23:                               ;   in Loop: Header=BB55_4 Depth=1
	s_wait_alu 0xfffe
	v_add_co_u32 v8, vcc_lo, s20, v6
	s_wait_alu 0xfffd
	v_add_co_ci_u32_e64 v9, null, s21, v7, vcc_lo
	flat_store_b128 v[8:9], v[0:3]
	s_branch .LBB55_2
.LBB55_24:
	s_endpgm
	.section	.rodata,"a",@progbits
	.p2align	6, 0x0
	.amdhsa_kernel _ZL36rocblas_hemvn_kernel_upper_block_sumILi64Ei19rocblas_complex_numIdEPKPS1_S1_EviT1_lS5_lT2_lT0_lPT3_i
		.amdhsa_group_segment_fixed_size 0
		.amdhsa_private_segment_fixed_size 0
		.amdhsa_kernarg_size 360
		.amdhsa_user_sgpr_count 2
		.amdhsa_user_sgpr_dispatch_ptr 0
		.amdhsa_user_sgpr_queue_ptr 0
		.amdhsa_user_sgpr_kernarg_segment_ptr 1
		.amdhsa_user_sgpr_dispatch_id 0
		.amdhsa_user_sgpr_private_segment_size 0
		.amdhsa_wavefront_size32 1
		.amdhsa_uses_dynamic_stack 0
		.amdhsa_enable_private_segment 0
		.amdhsa_system_sgpr_workgroup_id_x 1
		.amdhsa_system_sgpr_workgroup_id_y 0
		.amdhsa_system_sgpr_workgroup_id_z 1
		.amdhsa_system_sgpr_workgroup_info 0
		.amdhsa_system_vgpr_workitem_id 0
		.amdhsa_next_free_vgpr 15
		.amdhsa_next_free_sgpr 32
		.amdhsa_reserve_vcc 1
		.amdhsa_float_round_mode_32 0
		.amdhsa_float_round_mode_16_64 0
		.amdhsa_float_denorm_mode_32 3
		.amdhsa_float_denorm_mode_16_64 3
		.amdhsa_fp16_overflow 0
		.amdhsa_workgroup_processor_mode 1
		.amdhsa_memory_ordered 1
		.amdhsa_forward_progress 1
		.amdhsa_inst_pref_size 8
		.amdhsa_round_robin_scheduling 0
		.amdhsa_exception_fp_ieee_invalid_op 0
		.amdhsa_exception_fp_denorm_src 0
		.amdhsa_exception_fp_ieee_div_zero 0
		.amdhsa_exception_fp_ieee_overflow 0
		.amdhsa_exception_fp_ieee_underflow 0
		.amdhsa_exception_fp_ieee_inexact 0
		.amdhsa_exception_int_div_zero 0
	.end_amdhsa_kernel
	.section	.text._ZL36rocblas_hemvn_kernel_upper_block_sumILi64Ei19rocblas_complex_numIdEPKPS1_S1_EviT1_lS5_lT2_lT0_lPT3_i,"axG",@progbits,_ZL36rocblas_hemvn_kernel_upper_block_sumILi64Ei19rocblas_complex_numIdEPKPS1_S1_EviT1_lS5_lT2_lT0_lPT3_i,comdat
.Lfunc_end55:
	.size	_ZL36rocblas_hemvn_kernel_upper_block_sumILi64Ei19rocblas_complex_numIdEPKPS1_S1_EviT1_lS5_lT2_lT0_lPT3_i, .Lfunc_end55-_ZL36rocblas_hemvn_kernel_upper_block_sumILi64Ei19rocblas_complex_numIdEPKPS1_S1_EviT1_lS5_lT2_lT0_lPT3_i
                                        ; -- End function
	.set _ZL36rocblas_hemvn_kernel_upper_block_sumILi64Ei19rocblas_complex_numIdEPKPS1_S1_EviT1_lS5_lT2_lT0_lPT3_i.num_vgpr, 15
	.set _ZL36rocblas_hemvn_kernel_upper_block_sumILi64Ei19rocblas_complex_numIdEPKPS1_S1_EviT1_lS5_lT2_lT0_lPT3_i.num_agpr, 0
	.set _ZL36rocblas_hemvn_kernel_upper_block_sumILi64Ei19rocblas_complex_numIdEPKPS1_S1_EviT1_lS5_lT2_lT0_lPT3_i.numbered_sgpr, 32
	.set _ZL36rocblas_hemvn_kernel_upper_block_sumILi64Ei19rocblas_complex_numIdEPKPS1_S1_EviT1_lS5_lT2_lT0_lPT3_i.num_named_barrier, 0
	.set _ZL36rocblas_hemvn_kernel_upper_block_sumILi64Ei19rocblas_complex_numIdEPKPS1_S1_EviT1_lS5_lT2_lT0_lPT3_i.private_seg_size, 0
	.set _ZL36rocblas_hemvn_kernel_upper_block_sumILi64Ei19rocblas_complex_numIdEPKPS1_S1_EviT1_lS5_lT2_lT0_lPT3_i.uses_vcc, 1
	.set _ZL36rocblas_hemvn_kernel_upper_block_sumILi64Ei19rocblas_complex_numIdEPKPS1_S1_EviT1_lS5_lT2_lT0_lPT3_i.uses_flat_scratch, 0
	.set _ZL36rocblas_hemvn_kernel_upper_block_sumILi64Ei19rocblas_complex_numIdEPKPS1_S1_EviT1_lS5_lT2_lT0_lPT3_i.has_dyn_sized_stack, 0
	.set _ZL36rocblas_hemvn_kernel_upper_block_sumILi64Ei19rocblas_complex_numIdEPKPS1_S1_EviT1_lS5_lT2_lT0_lPT3_i.has_recursion, 0
	.set _ZL36rocblas_hemvn_kernel_upper_block_sumILi64Ei19rocblas_complex_numIdEPKPS1_S1_EviT1_lS5_lT2_lT0_lPT3_i.has_indirect_call, 0
	.section	.AMDGPU.csdata,"",@progbits
; Kernel info:
; codeLenInByte = 904
; TotalNumSgprs: 34
; NumVgprs: 15
; ScratchSize: 0
; MemoryBound: 0
; FloatMode: 240
; IeeeMode: 1
; LDSByteSize: 0 bytes/workgroup (compile time only)
; SGPRBlocks: 0
; VGPRBlocks: 1
; NumSGPRsForWavesPerEU: 34
; NumVGPRsForWavesPerEU: 15
; Occupancy: 16
; WaveLimiterHint : 1
; COMPUTE_PGM_RSRC2:SCRATCH_EN: 0
; COMPUTE_PGM_RSRC2:USER_SGPR: 2
; COMPUTE_PGM_RSRC2:TRAP_HANDLER: 0
; COMPUTE_PGM_RSRC2:TGID_X_EN: 1
; COMPUTE_PGM_RSRC2:TGID_Y_EN: 0
; COMPUTE_PGM_RSRC2:TGID_Z_EN: 1
; COMPUTE_PGM_RSRC2:TIDIG_COMP_CNT: 0
	.section	.text._ZL26rocblas_hemvn_kernel_lowerILb1ELi64ELi4ELi33ELi32ELi16ElPK19rocblas_complex_numIdEPKS3_PS1_EviT6_lT7_lT5_lS8_lS9_lS7_lT8_i,"axG",@progbits,_ZL26rocblas_hemvn_kernel_lowerILb1ELi64ELi4ELi33ELi32ELi16ElPK19rocblas_complex_numIdEPKS3_PS1_EviT6_lT7_lT5_lS8_lS9_lS7_lT8_i,comdat
	.globl	_ZL26rocblas_hemvn_kernel_lowerILb1ELi64ELi4ELi33ELi32ELi16ElPK19rocblas_complex_numIdEPKS3_PS1_EviT6_lT7_lT5_lS8_lS9_lS7_lT8_i ; -- Begin function _ZL26rocblas_hemvn_kernel_lowerILb1ELi64ELi4ELi33ELi32ELi16ElPK19rocblas_complex_numIdEPKS3_PS1_EviT6_lT7_lT5_lS8_lS9_lS7_lT8_i
	.p2align	8
	.type	_ZL26rocblas_hemvn_kernel_lowerILb1ELi64ELi4ELi33ELi32ELi16ElPK19rocblas_complex_numIdEPKS3_PS1_EviT6_lT7_lT5_lS8_lS9_lS7_lT8_i,@function
_ZL26rocblas_hemvn_kernel_lowerILb1ELi64ELi4ELi33ELi32ELi16ElPK19rocblas_complex_numIdEPKS3_PS1_EviT6_lT7_lT5_lS8_lS9_lS7_lT8_i: ; @_ZL26rocblas_hemvn_kernel_lowerILb1ELi64ELi4ELi33ELi32ELi16ElPK19rocblas_complex_numIdEPKS3_PS1_EviT6_lT7_lT5_lS8_lS9_lS7_lT8_i
; %bb.0:
	s_clause 0x1
	s_load_b64 s[2:3], s[0:1], 0x84
	s_load_b32 s33, s[0:1], 0x70
	s_lshr_b32 s34, ttmp7, 16
	s_wait_kmcnt 0x0
	s_lshr_b32 s4, s2, 16
	s_and_b32 s2, s2, 0xffff
	s_and_b32 s3, s3, 0xffff
	s_mul_i32 s2, s4, s2
	s_delay_alu instid0(SALU_CYCLE_1) | instskip(NEXT) | instid1(SALU_CYCLE_1)
	s_mul_i32 s2, s2, s3
	s_cmp_lg_u32 s2, 0x100
	s_cselect_b32 s2, -1, 0
	s_cmp_ge_u32 s34, s33
	s_cselect_b32 s3, -1, 0
	s_delay_alu instid0(SALU_CYCLE_1) | instskip(NEXT) | instid1(SALU_CYCLE_1)
	s_or_b32 s2, s2, s3
	s_and_b32 vcc_lo, exec_lo, s2
	s_cbranch_vccnz .LBB56_137
; %bb.1:
	s_clause 0x1
	s_load_b32 s2, s[0:1], 0x0
	s_load_b64 s[44:45], s[0:1], 0x48
	s_add_nc_u64 s[4:5], s[0:1], 0x78
	s_load_b256 s[24:31], s[0:1], 0x8
	s_load_b32 s46, s[4:5], 0x0
	v_bfe_u32 v16, v0, 10, 10
	v_dual_mov_b32 v2, 0 :: v_dual_and_b32 v153, 0x3ff, v0
	s_clause 0x3
	s_load_b64 s[68:69], s[0:1], 0x28
	s_load_b128 s[36:39], s[0:1], 0x38
	s_load_b64 s[4:5], s[0:1], 0x68
	s_load_b128 s[40:43], s[0:1], 0x58
	v_lshlrev_b32_e32 v17, 6, v16
	v_and_b32_e32 v1, 31, v0
	s_lshl_b32 s70, ttmp9, 6
	s_mov_b32 s47, 0
	v_add_nc_u32_e32 v3, s70, v153
	v_add_nc_u32_e32 v18, v17, v153
	v_lshlrev_b32_e32 v19, 4, v1
	v_mul_u32_u24_e32 v25, 33, v1
	v_lshlrev_b32_e32 v154, 4, v153
	v_ashrrev_i32_e32 v4, 31, v3
	v_lshrrev_b32_e32 v14, 5, v18
	s_wait_kmcnt 0x0
	s_ashr_i32 s3, s2, 31
	s_mul_i32 s6, s2, ttmp9
	s_lshr_b32 s0, s3, 26
	s_add_co_i32 s1, s46, -1
	s_add_co_i32 s0, s2, s0
	v_lshlrev_b32_e32 v20, 2, v14
	s_and_not1_b32 s0, s0, 63
	v_lshl_or_b32 v21, v1, 9, v19
	s_sub_co_i32 s0, s2, s0
	s_cmp_eq_u32 ttmp9, s1
	v_lshlrev_b32_e32 v22, 6, v14
	s_cselect_b32 s48, s0, 0
	v_or_b32_e32 v23, 1, v20
	s_cmp_eq_u32 s48, 0
	v_cmp_eq_u32_e64 s8, v20, v1
	s_cselect_b32 s80, -1, 0
	s_cmp_lg_u32 s48, 0
	v_add_nc_u32_e32 v161, v21, v22
	s_cselect_b32 s1, -1, 0
	s_ashr_i32 s7, s6, 31
	v_or_b32_e32 v21, 2, v20
	s_lshl_b64 s[6:7], s[6:7], 4
	v_add_nc_u32_e32 v12, 8, v14
	s_add_nc_u64 s[52:53], s[4:5], s[6:7]
	v_cmp_ge_u32_e64 s7, v20, v1
	v_or_b32_e32 v20, 3, v20
	v_add_nc_u32_e32 v13, 16, v14
	v_mul_lo_u32 v9, s44, v4
	v_mul_lo_u32 v10, s45, v3
	v_mad_co_u64_u32 v[5:6], null, s44, v3, 0
	v_cmp_ge_u32_e64 s13, v20, v1
	v_cmp_eq_u32_e64 s14, v20, v1
	v_or_b32_e32 v20, 32, v1
	v_mad_co_u64_u32 v[7:8], null, s68, v14, v[1:2]
	v_cmp_ge_u32_e64 s11, v21, v1
	v_cmp_eq_u32_e64 s12, v21, v1
	s_delay_alu instid0(VALU_DEP_4)
	v_cmp_gt_i32_e64 s16, s48, v20
	v_lshlrev_b32_e32 v20, 2, v16
	v_lshlrev_b32_e32 v21, 4, v14
	;; [unrolled: 1-line block ×3, first 2 shown]
	s_sub_co_i32 s20, s48, 32
	v_cmp_le_i32_e64 s4, s48, v12
	v_cmp_le_i32_e64 s5, s48, v13
	;; [unrolled: 1-line block ×4, first 2 shown]
	v_mad_co_u64_u32 v[12:13], null, s68, v20, 0
	v_add_nc_u32_e32 v167, v164, v21
	v_add3_u32 v6, v6, v9, v10
	v_mad_co_u64_u32 v[9:10], null, s69, v14, v[8:9]
	v_cmp_le_i32_e32 vcc_lo, s48, v153
	s_mul_u64 s[50:51], s[46:47], s[2:3]
	v_sub_co_u32 v10, s3, 0, v1
	v_mad_u32_u24 v156, 0x210, v14, v19
	v_sub_co_ci_u32_e64 v11, null, 0, 0, s3
	v_add_nc_u32_e32 v15, 24, v14
	v_cmp_le_i32_e64 s3, s48, v14
	v_mul_u32_u24_e32 v24, 0x840, v14
	v_add_nc_u32_e32 v166, 0x4700, v22
	v_cmp_le_i32_e64 s17, s20, v14
	v_cmp_eq_u32_e64 s21, 1, v14
	v_mul_i32_i24_e32 v22, 0xffffffd0, v14
	v_mad_u32_u24 v168, v14, 48, v167
	v_mad_co_u64_u32 v[13:14], null, s69, v20, v[13:14]
	v_lshrrev_b32_e32 v20, 4, v18
	s_and_b32 s1, s1, vcc_lo
	v_sub_co_u32 v14, vcc_lo, 0, v7
	v_mov_b32_e32 v8, v9
	v_cmp_le_i32_e64 s6, s48, v15
	v_cmp_le_i32_e64 s20, s20, v15
	v_and_b32_e32 v25, 15, v0
	v_sub_co_ci_u32_e64 v15, null, 0, v9, vcc_lo
	v_and_b32_e32 v0, 48, v0
	v_lshlrev_b32_e32 v9, 6, v20
	v_cmp_ge_u32_e64 s9, v23, v1
	v_cmp_eq_u32_e64 s10, v23, v1
	v_mul_u32_u24_e32 v23, 0x210, v23
	v_add_nc_u32_e32 v170, 0x4300, v17
	v_lshlrev_b32_e32 v0, 4, v0
	v_or_b32_e32 v17, 0xf0, v154
	v_mad_u32_u24 v172, 0x430, v25, v9
	v_mul_i32_i24_e32 v9, 0xffffffd0, v20
	s_ashr_i32 s71, s70, 31
	v_cmp_eq_u32_e64 s0, 0, v16
	s_wait_alu 0xfffe
	s_mul_u64 s[22:23], s[44:45], s[70:71]
	s_mul_u64 s[54:55], s[68:69], s[70:71]
	s_lshl_b64 s[62:63], s[68:69], 5
	v_lshlrev_b64_e32 v[141:142], 4, v[5:6]
	v_lshlrev_b64_e32 v[143:144], 4, v[7:8]
	;; [unrolled: 1-line block ×6, first 2 shown]
	v_add_nc_u32_e32 v155, 0x4700, v154
	s_lshl_b64 s[56:57], s[68:69], 7
	v_add_nc_u32_e32 v157, 0x1080, v156
	s_lshl_b64 s[58:59], s[68:69], 8
	v_add_nc_u32_e32 v158, 0x2100, v156
	v_add_nc_u32_e32 v159, 0x3180, v156
	v_cmp_gt_i32_e64 s2, s48, v1
	s_ashr_i32 s49, s48, 31
	v_mad_u32_u24 v160, 0x210, v1, v19
	v_add_nc_u32_e32 v162, 16, v161
	v_add_nc_u32_e32 v163, 32, v161
	;; [unrolled: 1-line block ×3, first 2 shown]
	v_cmp_gt_u32_e64 s15, 32, v18
	s_xor_b32 s35, s1, -1
	s_sub_nc_u64 s[74:75], 0, s[22:23]
	v_add_nc_u32_e32 v169, 0x4300, v154
	v_mad_u32_u24 v171, 0x10c0, v16, v154
	v_cmp_gt_u32_e64 s22, 64, v18
	v_mad_u32_u24 v173, 0x430, v25, v0
	v_mad_u32_u24 v174, 0x430, v25, v17
	;; [unrolled: 1-line block ×3, first 2 shown]
	v_add_nc_u32_e32 v176, 0x4700, v21
	v_add_nc_u32_e32 v177, v19, v24
	;; [unrolled: 1-line block ×5, first 2 shown]
	v_lshlrev_b32_e32 v181, 4, v1
	s_sub_nc_u64 s[72:73], 0, s[62:63]
	s_cmp_gt_i32 ttmp9, 0
	s_sub_nc_u64 s[76:77], 0, s[54:55]
	s_mul_u64 s[60:61], s[68:69], 0x180
	s_cselect_b32 s81, -1, 0
	s_and_b32 s82, s0, s35
	s_wait_alu 0xfffe
	s_sub_nc_u64 s[64:65], 0, s[48:49]
	s_lshl_b64 s[66:67], s[68:69], 4
	s_mul_u64 s[68:69], s[68:69], 0xd0
	s_lshl_b64 s[38:39], s[38:39], 4
	s_lshl_b64 s[30:31], s[30:31], 4
	s_lshl_b64 s[70:71], s[70:71], 4
	s_lshl_b64 s[72:73], s[72:73], 4
	s_lshl_b64 s[74:75], s[74:75], 4
	s_lshl_b64 s[76:77], s[76:77], 4
	s_branch .LBB56_4
.LBB56_2:                               ;   in Loop: Header=BB56_4 Depth=1
	s_or_b32 exec_lo, exec_lo, s23
.LBB56_3:                               ;   in Loop: Header=BB56_4 Depth=1
	s_add_co_i32 s34, s34, 0x10000
	s_delay_alu instid0(SALU_CYCLE_1)
	s_cmp_lt_u32 s34, s33
	s_cbranch_scc0 .LBB56_137
.LBB56_4:                               ; =>This Loop Header: Depth=1
                                        ;     Child Loop BB56_113 Depth 2
	s_mov_b32 s35, s47
	s_delay_alu instid0(SALU_CYCLE_1)
	s_mul_u64 s[78:79], s[26:27], s[34:35]
	s_wait_alu 0xfffe
	s_lshl_b64 s[78:79], s[78:79], 4
	s_wait_alu 0xfffe
	s_add_nc_u64 s[78:79], s[24:25], s[78:79]
	global_load_b128 v[3:6], v2, s[78:79]
	s_wait_loadcnt 0x0
	v_cmp_neq_f64_e32 vcc_lo, 0, v[3:4]
	v_cmp_neq_f64_e64 s23, 0, v[5:6]
	s_or_b32 s23, vcc_lo, s23
	s_delay_alu instid0(SALU_CYCLE_1)
	s_and_b32 vcc_lo, exec_lo, s23
	s_mov_b32 s23, -1
	s_wait_alu 0xfffe
	s_cbranch_vccz .LBB56_6
; %bb.5:                                ;   in Loop: Header=BB56_4 Depth=1
	s_and_not1_b32 vcc_lo, exec_lo, s23
	s_wait_alu 0xfffe
	s_cbranch_vccnz .LBB56_3
	s_branch .LBB56_7
.LBB56_6:                               ;   in Loop: Header=BB56_4 Depth=1
	s_mul_u64 s[78:79], s[42:43], s[34:35]
	s_wait_alu 0xfffe
	s_lshl_b64 s[78:79], s[78:79], 4
	s_wait_alu 0xfffe
	s_add_nc_u64 s[78:79], s[40:41], s[78:79]
	global_load_b128 v[3:6], v2, s[78:79]
	s_wait_loadcnt 0x0
	v_cmp_eq_f64_e32 vcc_lo, 1.0, v[3:4]
	v_cmp_eq_f64_e64 s23, 0, v[5:6]
	s_and_b32 s23, vcc_lo, s23
	s_delay_alu instid0(SALU_CYCLE_1)
	s_and_not1_b32 vcc_lo, exec_lo, s23
	s_cbranch_execnz .LBB56_3
.LBB56_7:                               ;   in Loop: Header=BB56_4 Depth=1
	s_lshl_b64 s[78:79], s[34:35], 3
	s_wait_alu 0xfffe
	s_add_nc_u64 s[84:85], s[36:37], s[78:79]
	s_add_nc_u64 s[78:79], s[28:29], s[78:79]
	s_clause 0x1
	global_load_b64 v[0:1], v2, s[84:85]
	global_load_b64 v[5:6], v2, s[78:79]
	s_wait_loadcnt 0x1
	v_add_co_u32 v0, vcc_lo, v0, s38
	s_wait_alu 0xfffd
	v_add_co_ci_u32_e64 v1, null, s39, v1, vcc_lo
	s_delay_alu instid0(VALU_DEP_2) | instskip(SKIP_1) | instid1(VALU_DEP_2)
	v_add_co_u32 v41, vcc_lo, v0, v141
	s_wait_alu 0xfffd
	v_add_co_ci_u32_e64 v42, null, v1, v142, vcc_lo
	s_and_saveexec_b32 s23, s0
	s_cbranch_execz .LBB56_12
; %bb.8:                                ;   in Loop: Header=BB56_4 Depth=1
	s_and_saveexec_b32 s46, s1
	s_wait_alu 0xfffe
	s_xor_b32 s46, exec_lo, s46
; %bb.9:                                ;   in Loop: Header=BB56_4 Depth=1
	v_dual_mov_b32 v1, v2 :: v_dual_mov_b32 v4, v2
	v_mov_b32_e32 v3, v2
	ds_store_b128 v155, v[1:4]
; %bb.10:                               ;   in Loop: Header=BB56_4 Depth=1
	s_wait_alu 0xfffe
	s_and_not1_saveexec_b32 s46, s46
	s_cbranch_execz .LBB56_12
; %bb.11:                               ;   in Loop: Header=BB56_4 Depth=1
	flat_load_b128 v[7:10], v[41:42]
	s_wait_loadcnt_dscnt 0x0
	ds_store_2addr_b64 v155, v[7:8], v[9:10] offset1:1
.LBB56_12:                              ;   in Loop: Header=BB56_4 Depth=1
	s_or_b32 exec_lo, exec_lo, s23
	s_wait_loadcnt 0x0
	v_add_co_u32 v0, vcc_lo, v5, s30
	s_wait_alu 0xfffd
	v_add_co_ci_u32_e64 v1, null, s31, v6, vcc_lo
	s_lshl_b64 s[78:79], s[54:55], 4
	v_add_co_u32 v0, vcc_lo, v0, s70
	s_wait_alu 0xfffd
	v_add_co_ci_u32_e64 v1, null, s71, v1, vcc_lo
	s_mov_b32 s23, -1
	v_add_co_u32 v0, vcc_lo, v0, v143
	s_wait_alu 0xfffd
	v_add_co_ci_u32_e64 v1, null, v1, v144, vcc_lo
	s_wait_alu 0xfffe
	s_delay_alu instid0(VALU_DEP_2) | instskip(SKIP_1) | instid1(VALU_DEP_2)
	v_add_co_u32 v9, vcc_lo, v0, s78
	s_wait_alu 0xfffd
	v_add_co_ci_u32_e64 v10, null, s79, v1, vcc_lo
	s_and_not1_b32 vcc_lo, exec_lo, s80
	s_wait_alu 0xfffe
	s_cbranch_vccnz .LBB56_14
; %bb.13:                               ;   in Loop: Header=BB56_4 Depth=1
	flat_load_b128 v[3:6], v[9:10]
	v_add_co_u32 v0, vcc_lo, v9, s56
	s_wait_alu 0xfffd
	v_add_co_ci_u32_e64 v1, null, s57, v10, vcc_lo
	s_mov_b32 s23, 0
	s_wait_loadcnt_dscnt 0x0
	ds_store_2addr_b64 v156, v[3:4], v[5:6] offset1:1
	flat_load_b128 v[3:6], v[0:1]
	v_add_co_u32 v0, vcc_lo, v0, s56
	s_wait_alu 0xfffd
	v_add_co_ci_u32_e64 v1, null, s57, v1, vcc_lo
	s_wait_loadcnt_dscnt 0x0
	ds_store_2addr_b64 v157, v[3:4], v[5:6] offset1:1
	flat_load_b128 v[3:6], v[0:1]
	v_add_co_u32 v0, vcc_lo, v0, s56
	s_wait_alu 0xfffd
	v_add_co_ci_u32_e64 v1, null, s57, v1, vcc_lo
	s_wait_loadcnt_dscnt 0x0
	ds_store_2addr_b64 v158, v[3:4], v[5:6] offset1:1
	flat_load_b128 v[3:6], v[0:1]
	s_wait_loadcnt_dscnt 0x0
	ds_store_2addr_b64 v159, v[3:4], v[5:6] offset1:1
.LBB56_14:                              ;   in Loop: Header=BB56_4 Depth=1
	s_and_not1_b32 vcc_lo, exec_lo, s23
	s_wait_alu 0xfffe
	s_cbranch_vccnz .LBB56_26
; %bb.15:                               ;   in Loop: Header=BB56_4 Depth=1
	s_and_saveexec_b32 s23, s3
	s_delay_alu instid0(SALU_CYCLE_1)
	s_xor_b32 s23, exec_lo, s23
; %bb.16:                               ;   in Loop: Header=BB56_4 Depth=1
	v_dual_mov_b32 v1, v2 :: v_dual_mov_b32 v4, v2
	v_mov_b32_e32 v3, v2
	ds_store_b128 v156, v[1:4]
; %bb.17:                               ;   in Loop: Header=BB56_4 Depth=1
	s_or_saveexec_b32 s23, s23
	v_add_co_u32 v0, vcc_lo, v9, v145
	s_wait_alu 0xfffd
	v_add_co_ci_u32_e64 v1, null, v10, v146, vcc_lo
	s_lshl_b64 s[78:79], s[48:49], 4
	s_wait_alu 0xfffe
	v_add_co_u32 v0, vcc_lo, v0, s78
	s_wait_alu 0xfffd
	v_add_co_ci_u32_e64 v1, null, s79, v1, vcc_lo
	s_delay_alu instid0(VALU_DEP_2) | instskip(SKIP_1) | instid1(VALU_DEP_2)
	v_add_co_u32 v0, vcc_lo, v0, -16
	s_wait_alu 0xfffd
	v_add_co_ci_u32_e64 v1, null, -1, v1, vcc_lo
	s_delay_alu instid0(VALU_DEP_2) | instskip(NEXT) | instid1(VALU_DEP_2)
	v_cndmask_b32_e64 v5, v0, v9, s2
	v_cndmask_b32_e64 v6, v1, v10, s2
	s_xor_b32 exec_lo, exec_lo, s23
	s_cbranch_execnz .LBB56_119
; %bb.18:                               ;   in Loop: Header=BB56_4 Depth=1
	s_or_b32 exec_lo, exec_lo, s23
	s_and_saveexec_b32 s23, s4
	s_delay_alu instid0(SALU_CYCLE_1)
	s_xor_b32 s23, exec_lo, s23
	s_cbranch_execnz .LBB56_120
.LBB56_19:                              ;   in Loop: Header=BB56_4 Depth=1
	s_and_not1_saveexec_b32 s23, s23
	s_cbranch_execnz .LBB56_121
.LBB56_20:                              ;   in Loop: Header=BB56_4 Depth=1
	s_or_b32 exec_lo, exec_lo, s23
	s_and_saveexec_b32 s23, s5
	s_delay_alu instid0(SALU_CYCLE_1)
	s_xor_b32 s23, exec_lo, s23
	s_cbranch_execnz .LBB56_122
.LBB56_21:                              ;   in Loop: Header=BB56_4 Depth=1
	s_and_not1_saveexec_b32 s23, s23
	s_cbranch_execnz .LBB56_123
.LBB56_22:                              ;   in Loop: Header=BB56_4 Depth=1
	s_or_b32 exec_lo, exec_lo, s23
	s_and_saveexec_b32 s23, s6
	s_delay_alu instid0(SALU_CYCLE_1)
	s_xor_b32 s23, exec_lo, s23
	s_cbranch_execnz .LBB56_124
.LBB56_23:                              ;   in Loop: Header=BB56_4 Depth=1
	s_and_not1_saveexec_b32 s23, s23
	s_cbranch_execz .LBB56_25
.LBB56_24:                              ;   in Loop: Header=BB56_4 Depth=1
	v_add_co_u32 v0, vcc_lo, v5, s60
	s_wait_alu 0xfffd
	v_add_co_ci_u32_e64 v1, null, s61, v6, vcc_lo
	flat_load_b128 v[11:14], v[0:1]
	s_wait_loadcnt_dscnt 0x0
	ds_store_2addr_b64 v159, v[11:12], v[13:14] offset1:1
.LBB56_25:                              ;   in Loop: Header=BB56_4 Depth=1
	s_or_b32 exec_lo, exec_lo, s23
	v_add_co_u32 v0, vcc_lo, v5, v181
	s_wait_alu 0xfffd
	v_add_co_ci_u32_e64 v1, null, 0, v6, vcc_lo
	s_lshl_b64 s[78:79], s[64:65], 4
	s_wait_alu 0xfffe
	v_add_co_u32 v0, vcc_lo, v0, s78
	s_wait_alu 0xfffd
	v_add_co_ci_u32_e64 v1, null, s79, v1, vcc_lo
	s_delay_alu instid0(VALU_DEP_2) | instskip(SKIP_1) | instid1(VALU_DEP_2)
	v_add_co_u32 v0, vcc_lo, v0, 16
	s_wait_alu 0xfffd
	v_add_co_ci_u32_e64 v1, null, 0, v1, vcc_lo
	s_delay_alu instid0(VALU_DEP_2) | instskip(NEXT) | instid1(VALU_DEP_2)
	v_cndmask_b32_e64 v9, v0, v9, s2
	v_cndmask_b32_e64 v10, v1, v10, s2
.LBB56_26:                              ;   in Loop: Header=BB56_4 Depth=1
	s_mov_b32 s23, 0
	s_wait_dscnt 0x0
	s_barrier_signal -1
	s_barrier_wait -1
	global_inv scope:SCOPE_SE
	s_and_saveexec_b32 s46, s7
	s_wait_alu 0xfffe
	s_xor_b32 s46, exec_lo, s46
; %bb.27:                               ;   in Loop: Header=BB56_4 Depth=1
	s_and_b32 s23, s8, exec_lo
; %bb.28:                               ;   in Loop: Header=BB56_4 Depth=1
	s_wait_alu 0xfffe
	s_or_saveexec_b32 s46, s46
	v_dual_mov_b32 v5, 0 :: v_dual_mov_b32 v0, v160
	v_mov_b32_e32 v6, 0
	s_wait_alu 0xfffe
	s_xor_b32 exec_lo, exec_lo, s46
	s_cbranch_execz .LBB56_30
; %bb.29:                               ;   in Loop: Header=BB56_4 Depth=1
	ds_load_b128 v[3:6], v177
	v_mov_b32_e32 v0, v161
	s_or_b32 s23, s23, exec_lo
	s_wait_dscnt 0x0
	v_xor_b32_e32 v6, 0x80000000, v6
	ds_store_b64 v161, v[3:4]
.LBB56_30:                              ;   in Loop: Header=BB56_4 Depth=1
	s_or_b32 exec_lo, exec_lo, s46
	s_and_saveexec_b32 s46, s23
; %bb.31:                               ;   in Loop: Header=BB56_4 Depth=1
	ds_store_b64 v0, v[5:6] offset:8
; %bb.32:                               ;   in Loop: Header=BB56_4 Depth=1
	s_wait_alu 0xfffe
	s_or_b32 exec_lo, exec_lo, s46
	s_mov_b32 s23, 0
	s_and_saveexec_b32 s46, s9
	s_wait_alu 0xfffe
	s_xor_b32 s46, exec_lo, s46
; %bb.33:                               ;   in Loop: Header=BB56_4 Depth=1
	s_and_b32 s23, s10, exec_lo
; %bb.34:                               ;   in Loop: Header=BB56_4 Depth=1
	s_wait_alu 0xfffe
	s_or_saveexec_b32 s46, s46
	v_dual_mov_b32 v5, 0 :: v_dual_mov_b32 v0, v160
	v_mov_b32_e32 v6, 0
	s_wait_alu 0xfffe
	s_xor_b32 exec_lo, exec_lo, s46
	s_cbranch_execz .LBB56_36
; %bb.35:                               ;   in Loop: Header=BB56_4 Depth=1
	ds_load_b128 v[3:6], v178
	v_mov_b32_e32 v0, v162
	s_or_b32 s23, s23, exec_lo
	s_wait_dscnt 0x0
	v_xor_b32_e32 v6, 0x80000000, v6
	ds_store_b64 v162, v[3:4]
.LBB56_36:                              ;   in Loop: Header=BB56_4 Depth=1
	s_or_b32 exec_lo, exec_lo, s46
	s_and_saveexec_b32 s46, s23
; %bb.37:                               ;   in Loop: Header=BB56_4 Depth=1
	ds_store_b64 v0, v[5:6] offset:8
; %bb.38:                               ;   in Loop: Header=BB56_4 Depth=1
	s_wait_alu 0xfffe
	s_or_b32 exec_lo, exec_lo, s46
	s_mov_b32 s23, 0
	s_and_saveexec_b32 s46, s11
	s_wait_alu 0xfffe
	s_xor_b32 s46, exec_lo, s46
; %bb.39:                               ;   in Loop: Header=BB56_4 Depth=1
	s_and_b32 s23, s12, exec_lo
; %bb.40:                               ;   in Loop: Header=BB56_4 Depth=1
	s_wait_alu 0xfffe
	s_or_saveexec_b32 s46, s46
	v_dual_mov_b32 v5, 0 :: v_dual_mov_b32 v0, v160
	v_mov_b32_e32 v6, 0
	s_wait_alu 0xfffe
	s_xor_b32 exec_lo, exec_lo, s46
	s_cbranch_execz .LBB56_42
; %bb.41:                               ;   in Loop: Header=BB56_4 Depth=1
	ds_load_b128 v[3:6], v178 offset:528
	v_mov_b32_e32 v0, v163
	s_or_b32 s23, s23, exec_lo
	s_wait_dscnt 0x0
	v_xor_b32_e32 v6, 0x80000000, v6
	ds_store_b64 v163, v[3:4]
.LBB56_42:                              ;   in Loop: Header=BB56_4 Depth=1
	s_or_b32 exec_lo, exec_lo, s46
	s_and_saveexec_b32 s46, s23
; %bb.43:                               ;   in Loop: Header=BB56_4 Depth=1
	ds_store_b64 v0, v[5:6] offset:8
; %bb.44:                               ;   in Loop: Header=BB56_4 Depth=1
	s_wait_alu 0xfffe
	s_or_b32 exec_lo, exec_lo, s46
	s_mov_b32 s23, 0
	s_and_saveexec_b32 s46, s13
	s_wait_alu 0xfffe
	s_xor_b32 s46, exec_lo, s46
; %bb.45:                               ;   in Loop: Header=BB56_4 Depth=1
	s_and_b32 s23, s14, exec_lo
; %bb.46:                               ;   in Loop: Header=BB56_4 Depth=1
	s_wait_alu 0xfffe
	s_or_saveexec_b32 s46, s46
	v_dual_mov_b32 v5, 0 :: v_dual_mov_b32 v0, v160
	v_mov_b32_e32 v6, 0
	s_wait_alu 0xfffe
	s_xor_b32 exec_lo, exec_lo, s46
	s_cbranch_execz .LBB56_48
; %bb.47:                               ;   in Loop: Header=BB56_4 Depth=1
	ds_load_b128 v[3:6], v178 offset:1056
	v_mov_b32_e32 v0, v165
	s_or_b32 s23, s23, exec_lo
	s_wait_dscnt 0x0
	v_xor_b32_e32 v6, 0x80000000, v6
	ds_store_b64 v165, v[3:4]
.LBB56_48:                              ;   in Loop: Header=BB56_4 Depth=1
	s_or_b32 exec_lo, exec_lo, s46
	s_and_saveexec_b32 s46, s23
; %bb.49:                               ;   in Loop: Header=BB56_4 Depth=1
	ds_store_b64 v0, v[5:6] offset:8
; %bb.50:                               ;   in Loop: Header=BB56_4 Depth=1
	s_wait_alu 0xfffe
	s_or_b32 exec_lo, exec_lo, s46
	s_wait_loadcnt_dscnt 0x0
	s_barrier_signal -1
	s_barrier_wait -1
	global_inv scope:SCOPE_SE
	ds_load_b128 v[3:6], v177
	ds_load_b128 v[11:14], v166
	ds_load_b128 v[15:18], v166 offset:16
	ds_load_b128 v[19:22], v178
	s_wait_dscnt 0x2
	v_mul_f64_e32 v[0:1], v[13:14], v[5:6]
	v_mul_f64_e32 v[5:6], v[11:12], v[5:6]
	s_wait_dscnt 0x0
	v_mul_f64_e32 v[7:8], v[17:18], v[21:22]
	v_mul_f64_e32 v[29:30], v[15:16], v[21:22]
	s_delay_alu instid0(VALU_DEP_4) | instskip(NEXT) | instid1(VALU_DEP_4)
	v_fma_f64 v[0:1], v[11:12], v[3:4], -v[0:1]
	v_fma_f64 v[31:32], v[13:14], v[3:4], v[5:6]
	ds_load_b128 v[3:6], v178 offset:528
	ds_load_b128 v[11:14], v166 offset:32
	;; [unrolled: 1-line block ×4, first 2 shown]
	v_fma_f64 v[7:8], v[15:16], v[19:20], -v[7:8]
	v_fma_f64 v[15:16], v[17:18], v[19:20], v[29:30]
	s_wait_loadcnt_dscnt 0x0
	s_barrier_signal -1
	s_barrier_wait -1
	global_inv scope:SCOPE_SE
	v_mul_f64_e32 v[33:34], v[13:14], v[5:6]
	v_mul_f64_e32 v[5:6], v[11:12], v[5:6]
	;; [unrolled: 1-line block ×4, first 2 shown]
	v_add_f64_e32 v[0:1], 0, v[0:1]
	v_add_f64_e32 v[17:18], 0, v[31:32]
	v_fma_f64 v[11:12], v[11:12], v[3:4], -v[33:34]
	v_fma_f64 v[3:4], v[13:14], v[3:4], v[5:6]
	v_fma_f64 v[13:14], v[23:24], v[25:26], v[27:28]
	v_add_f64_e32 v[0:1], v[0:1], v[7:8]
	v_add_f64_e32 v[5:6], v[17:18], v[15:16]
	v_fma_f64 v[7:8], v[21:22], v[25:26], -v[19:20]
	s_delay_alu instid0(VALU_DEP_3) | instskip(NEXT) | instid1(VALU_DEP_3)
	v_add_f64_e32 v[0:1], v[0:1], v[11:12]
	v_add_f64_e32 v[3:4], v[5:6], v[3:4]
	v_mov_b32_e32 v5, 0
	v_mov_b32_e32 v6, 0
	s_delay_alu instid0(VALU_DEP_4) | instskip(NEXT) | instid1(VALU_DEP_4)
	v_add_f64_e32 v[11:12], v[0:1], v[7:8]
	v_add_f64_e32 v[13:14], v[3:4], v[13:14]
	v_mov_b32_e32 v7, 0
	v_mov_b32_e32 v8, 0
	ds_store_b128 v167, v[11:14]
	s_wait_loadcnt_dscnt 0x0
	s_barrier_signal -1
	s_barrier_wait -1
	global_inv scope:SCOPE_SE
	s_and_saveexec_b32 s23, s15
	s_cbranch_execz .LBB56_52
; %bb.51:                               ;   in Loop: Header=BB56_4 Depth=1
	ds_load_b128 v[3:6], v164
	ds_load_b128 v[11:14], v164 offset:16
	s_wait_dscnt 0x0
	v_add_f64_e32 v[0:1], v[11:12], v[3:4]
	v_add_f64_e32 v[7:8], v[13:14], v[5:6]
	ds_load_b128 v[3:6], v164 offset:32
	ds_load_b128 v[11:14], v164 offset:48
	s_wait_dscnt 0x1
	v_add_f64_e32 v[0:1], v[0:1], v[3:4]
	v_add_f64_e32 v[3:4], v[7:8], v[5:6]
	s_wait_dscnt 0x0
	s_delay_alu instid0(VALU_DEP_2) | instskip(NEXT) | instid1(VALU_DEP_2)
	v_add_f64_e32 v[0:1], v[0:1], v[11:12]
	v_add_f64_e32 v[7:8], v[3:4], v[13:14]
	ds_load_b128 v[3:6], v164 offset:64
	ds_load_b128 v[11:14], v164 offset:80
	s_wait_dscnt 0x1
	v_add_f64_e32 v[0:1], v[0:1], v[3:4]
	v_add_f64_e32 v[3:4], v[7:8], v[5:6]
	s_wait_dscnt 0x0
	s_delay_alu instid0(VALU_DEP_2) | instskip(NEXT) | instid1(VALU_DEP_2)
	;; [unrolled: 9-line block ×3, first 2 shown]
	v_add_f64_e32 v[5:6], v[0:1], v[11:12]
	v_add_f64_e32 v[7:8], v[3:4], v[13:14]
.LBB56_52:                              ;   in Loop: Header=BB56_4 Depth=1
	s_or_b32 exec_lo, exec_lo, s23
	s_lshl_b64 s[78:79], s[62:63], 4
	s_mov_b32 s23, -1
	s_wait_alu 0xfffe
	v_add_co_u32 v0, vcc_lo, v9, s78
	s_wait_alu 0xfffd
	v_add_co_ci_u32_e64 v9, null, s79, v10, vcc_lo
	s_wait_loadcnt 0x0
	s_delay_alu instid0(VALU_DEP_2) | instskip(SKIP_1) | instid1(VALU_DEP_2)
	v_add_co_u32 v13, vcc_lo, 0x200, v0
	s_wait_alu 0xfffd
	v_add_co_ci_u32_e64 v14, null, 0, v9, vcc_lo
	s_and_not1_b32 vcc_lo, exec_lo, s80
	s_barrier_signal -1
	s_barrier_wait -1
	global_inv scope:SCOPE_SE
	s_wait_alu 0xfffe
	s_cbranch_vccnz .LBB56_54
; %bb.53:                               ;   in Loop: Header=BB56_4 Depth=1
	flat_load_b128 v[15:18], v[13:14]
	v_add_co_u32 v3, vcc_lo, v0, s56
	s_wait_alu 0xfffd
	v_add_co_ci_u32_e64 v4, null, s57, v9, vcc_lo
	s_mov_b32 s23, 0
	s_wait_loadcnt_dscnt 0x0
	ds_store_2addr_b64 v156, v[15:16], v[17:18] offset1:1
	flat_load_b128 v[15:18], v[3:4] offset:512
	v_add_co_u32 v3, vcc_lo, v3, s56
	s_wait_alu 0xfffd
	v_add_co_ci_u32_e64 v4, null, s57, v4, vcc_lo
	s_wait_loadcnt_dscnt 0x0
	ds_store_2addr_b64 v157, v[15:16], v[17:18] offset1:1
	flat_load_b128 v[15:18], v[3:4] offset:512
	v_add_co_u32 v3, vcc_lo, v3, s56
	s_wait_alu 0xfffd
	v_add_co_ci_u32_e64 v4, null, s57, v4, vcc_lo
	s_wait_loadcnt_dscnt 0x0
	ds_store_2addr_b64 v158, v[15:16], v[17:18] offset1:1
	flat_load_b128 v[15:18], v[3:4] offset:512
	s_wait_loadcnt_dscnt 0x0
	ds_store_2addr_b64 v159, v[15:16], v[17:18] offset1:1
.LBB56_54:                              ;   in Loop: Header=BB56_4 Depth=1
	s_and_not1_b32 vcc_lo, exec_lo, s23
	s_wait_alu 0xfffe
	s_cbranch_vccnz .LBB56_66
; %bb.55:                               ;   in Loop: Header=BB56_4 Depth=1
	s_and_saveexec_b32 s23, s17
	s_delay_alu instid0(SALU_CYCLE_1)
	s_xor_b32 s23, exec_lo, s23
; %bb.56:                               ;   in Loop: Header=BB56_4 Depth=1
	v_dual_mov_b32 v1, v2 :: v_dual_mov_b32 v4, v2
	v_mov_b32_e32 v3, v2
	ds_store_b128 v156, v[1:4]
; %bb.57:                               ;   in Loop: Header=BB56_4 Depth=1
	s_or_saveexec_b32 s23, s23
	v_add_co_u32 v0, vcc_lo, v0, v145
	s_wait_alu 0xfffd
	v_add_co_ci_u32_e64 v1, null, v9, v146, vcc_lo
	s_lshl_b64 s[78:79], s[48:49], 4
	s_wait_alu 0xfffe
	v_add_co_u32 v0, vcc_lo, v0, s78
	s_wait_alu 0xfffd
	v_add_co_ci_u32_e64 v1, null, s79, v1, vcc_lo
	s_delay_alu instid0(VALU_DEP_2) | instskip(SKIP_1) | instid1(VALU_DEP_2)
	v_add_co_u32 v0, vcc_lo, v0, -16
	s_wait_alu 0xfffd
	v_add_co_ci_u32_e64 v1, null, -1, v1, vcc_lo
	s_delay_alu instid0(VALU_DEP_2) | instskip(NEXT) | instid1(VALU_DEP_2)
	v_cndmask_b32_e64 v9, v0, v13, s16
	v_cndmask_b32_e64 v10, v1, v14, s16
	s_xor_b32 exec_lo, exec_lo, s23
	s_cbranch_execnz .LBB56_125
; %bb.58:                               ;   in Loop: Header=BB56_4 Depth=1
	s_or_b32 exec_lo, exec_lo, s23
	s_and_saveexec_b32 s23, s18
	s_delay_alu instid0(SALU_CYCLE_1)
	s_xor_b32 s23, exec_lo, s23
	s_cbranch_execnz .LBB56_126
.LBB56_59:                              ;   in Loop: Header=BB56_4 Depth=1
	s_and_not1_saveexec_b32 s23, s23
	s_cbranch_execnz .LBB56_127
.LBB56_60:                              ;   in Loop: Header=BB56_4 Depth=1
	s_or_b32 exec_lo, exec_lo, s23
	s_and_saveexec_b32 s23, s19
	s_delay_alu instid0(SALU_CYCLE_1)
	s_xor_b32 s23, exec_lo, s23
	s_cbranch_execnz .LBB56_128
.LBB56_61:                              ;   in Loop: Header=BB56_4 Depth=1
	s_and_not1_saveexec_b32 s23, s23
	s_cbranch_execnz .LBB56_129
.LBB56_62:                              ;   in Loop: Header=BB56_4 Depth=1
	s_or_b32 exec_lo, exec_lo, s23
	s_and_saveexec_b32 s23, s20
	s_delay_alu instid0(SALU_CYCLE_1)
	s_xor_b32 s23, exec_lo, s23
	s_cbranch_execnz .LBB56_130
.LBB56_63:                              ;   in Loop: Header=BB56_4 Depth=1
	s_and_not1_saveexec_b32 s23, s23
	s_cbranch_execz .LBB56_65
.LBB56_64:                              ;   in Loop: Header=BB56_4 Depth=1
	v_add_co_u32 v0, vcc_lo, v9, s60
	s_wait_alu 0xfffd
	v_add_co_ci_u32_e64 v1, null, s61, v10, vcc_lo
	flat_load_b128 v[15:18], v[0:1]
	s_wait_loadcnt_dscnt 0x0
	ds_store_2addr_b64 v159, v[15:16], v[17:18] offset1:1
.LBB56_65:                              ;   in Loop: Header=BB56_4 Depth=1
	s_or_b32 exec_lo, exec_lo, s23
	v_add_co_u32 v0, vcc_lo, v9, v181
	s_wait_alu 0xfffd
	v_add_co_ci_u32_e64 v1, null, 0, v10, vcc_lo
	s_lshl_b64 s[78:79], s[64:65], 4
	s_wait_alu 0xfffe
	v_add_co_u32 v0, vcc_lo, v0, s78
	s_wait_alu 0xfffd
	v_add_co_ci_u32_e64 v1, null, s79, v1, vcc_lo
	s_delay_alu instid0(VALU_DEP_2) | instskip(SKIP_1) | instid1(VALU_DEP_2)
	v_add_co_u32 v0, vcc_lo, 0x210, v0
	s_wait_alu 0xfffd
	v_add_co_ci_u32_e64 v1, null, 0, v1, vcc_lo
	s_delay_alu instid0(VALU_DEP_2) | instskip(NEXT) | instid1(VALU_DEP_2)
	v_cndmask_b32_e64 v13, v0, v13, s16
	v_cndmask_b32_e64 v14, v1, v14, s16
.LBB56_66:                              ;   in Loop: Header=BB56_4 Depth=1
	s_mov_b32 s23, 0
	s_wait_loadcnt_dscnt 0x0
	s_barrier_signal -1
	s_barrier_wait -1
	global_inv scope:SCOPE_SE
	s_and_saveexec_b32 s46, s7
	s_wait_alu 0xfffe
	s_xor_b32 s46, exec_lo, s46
; %bb.67:                               ;   in Loop: Header=BB56_4 Depth=1
	s_and_b32 s23, s8, exec_lo
; %bb.68:                               ;   in Loop: Header=BB56_4 Depth=1
	s_wait_alu 0xfffe
	s_or_saveexec_b32 s46, s46
	v_dual_mov_b32 v11, 0 :: v_dual_mov_b32 v0, v160
	v_mov_b32_e32 v12, 0
	s_wait_alu 0xfffe
	s_xor_b32 exec_lo, exec_lo, s46
	s_cbranch_execz .LBB56_70
; %bb.69:                               ;   in Loop: Header=BB56_4 Depth=1
	ds_load_b128 v[9:12], v177
	v_mov_b32_e32 v0, v161
	s_or_b32 s23, s23, exec_lo
	s_wait_dscnt 0x0
	v_xor_b32_e32 v12, 0x80000000, v12
	ds_store_b64 v161, v[9:10]
.LBB56_70:                              ;   in Loop: Header=BB56_4 Depth=1
	s_or_b32 exec_lo, exec_lo, s46
	s_and_saveexec_b32 s46, s23
; %bb.71:                               ;   in Loop: Header=BB56_4 Depth=1
	ds_store_b64 v0, v[11:12] offset:8
; %bb.72:                               ;   in Loop: Header=BB56_4 Depth=1
	s_wait_alu 0xfffe
	s_or_b32 exec_lo, exec_lo, s46
	s_mov_b32 s23, 0
	s_and_saveexec_b32 s46, s9
	s_wait_alu 0xfffe
	s_xor_b32 s46, exec_lo, s46
; %bb.73:                               ;   in Loop: Header=BB56_4 Depth=1
	s_and_b32 s23, s10, exec_lo
; %bb.74:                               ;   in Loop: Header=BB56_4 Depth=1
	s_wait_alu 0xfffe
	s_or_saveexec_b32 s46, s46
	v_dual_mov_b32 v11, 0 :: v_dual_mov_b32 v0, v160
	v_mov_b32_e32 v12, 0
	s_wait_alu 0xfffe
	s_xor_b32 exec_lo, exec_lo, s46
	s_cbranch_execz .LBB56_76
; %bb.75:                               ;   in Loop: Header=BB56_4 Depth=1
	ds_load_b128 v[9:12], v178
	v_mov_b32_e32 v0, v162
	s_or_b32 s23, s23, exec_lo
	s_wait_dscnt 0x0
	v_xor_b32_e32 v12, 0x80000000, v12
	ds_store_b64 v162, v[9:10]
.LBB56_76:                              ;   in Loop: Header=BB56_4 Depth=1
	s_or_b32 exec_lo, exec_lo, s46
	s_and_saveexec_b32 s46, s23
; %bb.77:                               ;   in Loop: Header=BB56_4 Depth=1
	ds_store_b64 v0, v[11:12] offset:8
; %bb.78:                               ;   in Loop: Header=BB56_4 Depth=1
	s_wait_alu 0xfffe
	s_or_b32 exec_lo, exec_lo, s46
	s_mov_b32 s23, 0
	s_and_saveexec_b32 s46, s11
	s_wait_alu 0xfffe
	s_xor_b32 s46, exec_lo, s46
; %bb.79:                               ;   in Loop: Header=BB56_4 Depth=1
	s_and_b32 s23, s12, exec_lo
; %bb.80:                               ;   in Loop: Header=BB56_4 Depth=1
	s_wait_alu 0xfffe
	s_or_saveexec_b32 s46, s46
	v_dual_mov_b32 v11, 0 :: v_dual_mov_b32 v0, v160
	v_mov_b32_e32 v12, 0
	s_wait_alu 0xfffe
	s_xor_b32 exec_lo, exec_lo, s46
	s_cbranch_execz .LBB56_82
; %bb.81:                               ;   in Loop: Header=BB56_4 Depth=1
	ds_load_b128 v[9:12], v178 offset:528
	v_mov_b32_e32 v0, v163
	s_or_b32 s23, s23, exec_lo
	s_wait_dscnt 0x0
	v_xor_b32_e32 v12, 0x80000000, v12
	ds_store_b64 v163, v[9:10]
.LBB56_82:                              ;   in Loop: Header=BB56_4 Depth=1
	s_or_b32 exec_lo, exec_lo, s46
	s_and_saveexec_b32 s46, s23
; %bb.83:                               ;   in Loop: Header=BB56_4 Depth=1
	ds_store_b64 v0, v[11:12] offset:8
; %bb.84:                               ;   in Loop: Header=BB56_4 Depth=1
	s_wait_alu 0xfffe
	s_or_b32 exec_lo, exec_lo, s46
	s_mov_b32 s23, 0
	s_and_saveexec_b32 s46, s13
	s_wait_alu 0xfffe
	s_xor_b32 s46, exec_lo, s46
; %bb.85:                               ;   in Loop: Header=BB56_4 Depth=1
	s_and_b32 s23, s14, exec_lo
; %bb.86:                               ;   in Loop: Header=BB56_4 Depth=1
	s_wait_alu 0xfffe
	s_or_saveexec_b32 s46, s46
	v_dual_mov_b32 v11, 0 :: v_dual_mov_b32 v0, v160
	v_mov_b32_e32 v12, 0
	s_wait_alu 0xfffe
	s_xor_b32 exec_lo, exec_lo, s46
	s_cbranch_execz .LBB56_88
; %bb.87:                               ;   in Loop: Header=BB56_4 Depth=1
	ds_load_b128 v[9:12], v178 offset:1056
	v_mov_b32_e32 v0, v165
	s_or_b32 s23, s23, exec_lo
	s_wait_dscnt 0x0
	v_xor_b32_e32 v12, 0x80000000, v12
	ds_store_b64 v165, v[9:10]
.LBB56_88:                              ;   in Loop: Header=BB56_4 Depth=1
	s_or_b32 exec_lo, exec_lo, s46
	s_and_saveexec_b32 s46, s23
; %bb.89:                               ;   in Loop: Header=BB56_4 Depth=1
	ds_store_b64 v0, v[11:12] offset:8
; %bb.90:                               ;   in Loop: Header=BB56_4 Depth=1
	s_wait_alu 0xfffe
	s_or_b32 exec_lo, exec_lo, s46
	s_wait_loadcnt_dscnt 0x0
	s_barrier_signal -1
	s_barrier_wait -1
	global_inv scope:SCOPE_SE
	ds_load_b128 v[9:12], v177
	ds_load_b128 v[15:18], v166 offset:512
	ds_load_b128 v[19:22], v166 offset:528
	ds_load_b128 v[23:26], v178
	s_wait_dscnt 0x2
	v_mul_f64_e32 v[0:1], v[17:18], v[11:12]
	v_mul_f64_e32 v[3:4], v[15:16], v[11:12]
	s_wait_dscnt 0x0
	v_mul_f64_e32 v[33:34], v[21:22], v[25:26]
	v_mul_f64_e32 v[35:36], v[19:20], v[25:26]
	s_delay_alu instid0(VALU_DEP_4) | instskip(NEXT) | instid1(VALU_DEP_4)
	v_fma_f64 v[0:1], v[15:16], v[9:10], -v[0:1]
	v_fma_f64 v[3:4], v[17:18], v[9:10], v[3:4]
	ds_load_b128 v[9:12], v178 offset:528
	ds_load_b128 v[15:18], v166 offset:544
	;; [unrolled: 1-line block ×4, first 2 shown]
	v_fma_f64 v[19:20], v[19:20], v[23:24], -v[33:34]
	v_fma_f64 v[21:22], v[21:22], v[23:24], v[35:36]
	s_wait_loadcnt_dscnt 0x0
	s_barrier_signal -1
	s_barrier_wait -1
	global_inv scope:SCOPE_SE
	v_mul_f64_e32 v[37:38], v[17:18], v[11:12]
	v_mul_f64_e32 v[11:12], v[15:16], v[11:12]
	;; [unrolled: 1-line block ×4, first 2 shown]
	v_add_f64_e32 v[0:1], 0, v[0:1]
	v_add_f64_e32 v[3:4], 0, v[3:4]
	v_fma_f64 v[15:16], v[15:16], v[9:10], -v[37:38]
	v_fma_f64 v[9:10], v[17:18], v[9:10], v[11:12]
	v_fma_f64 v[11:12], v[25:26], v[29:30], -v[23:24]
	v_fma_f64 v[17:18], v[27:28], v[29:30], v[31:32]
	v_add_f64_e32 v[0:1], v[0:1], v[19:20]
	v_add_f64_e32 v[3:4], v[3:4], v[21:22]
	s_delay_alu instid0(VALU_DEP_2) | instskip(NEXT) | instid1(VALU_DEP_2)
	v_add_f64_e32 v[0:1], v[0:1], v[15:16]
	v_add_f64_e32 v[3:4], v[3:4], v[9:10]
	s_delay_alu instid0(VALU_DEP_2) | instskip(NEXT) | instid1(VALU_DEP_2)
	v_add_f64_e32 v[9:10], v[0:1], v[11:12]
	v_add_f64_e32 v[11:12], v[3:4], v[17:18]
	ds_store_b128 v167, v[9:12]
	s_wait_loadcnt_dscnt 0x0
	s_barrier_signal -1
	s_barrier_wait -1
	global_inv scope:SCOPE_SE
	s_and_saveexec_b32 s23, s21
	s_cbranch_execz .LBB56_92
; %bb.91:                               ;   in Loop: Header=BB56_4 Depth=1
	ds_load_b128 v[3:6], v164
	ds_load_b128 v[7:10], v164 offset:16
	s_wait_dscnt 0x0
	v_add_f64_e32 v[0:1], v[7:8], v[3:4]
	v_add_f64_e32 v[11:12], v[9:10], v[5:6]
	ds_load_b128 v[3:6], v164 offset:32
	ds_load_b128 v[7:10], v164 offset:48
	s_wait_dscnt 0x1
	v_add_f64_e32 v[0:1], v[0:1], v[3:4]
	v_add_f64_e32 v[3:4], v[11:12], v[5:6]
	s_wait_dscnt 0x0
	s_delay_alu instid0(VALU_DEP_2) | instskip(NEXT) | instid1(VALU_DEP_2)
	v_add_f64_e32 v[0:1], v[0:1], v[7:8]
	v_add_f64_e32 v[11:12], v[3:4], v[9:10]
	ds_load_b128 v[3:6], v164 offset:64
	ds_load_b128 v[7:10], v164 offset:80
	s_wait_dscnt 0x1
	v_add_f64_e32 v[0:1], v[0:1], v[3:4]
	v_add_f64_e32 v[3:4], v[11:12], v[5:6]
	s_wait_dscnt 0x0
	s_delay_alu instid0(VALU_DEP_2) | instskip(NEXT) | instid1(VALU_DEP_2)
	;; [unrolled: 9-line block ×3, first 2 shown]
	v_add_f64_e32 v[5:6], v[0:1], v[7:8]
	v_add_f64_e32 v[7:8], v[3:4], v[9:10]
.LBB56_92:                              ;   in Loop: Header=BB56_4 Depth=1
	s_or_b32 exec_lo, exec_lo, s23
	v_add_co_u32 v43, vcc_lo, v13, s72
	s_wait_alu 0xfffd
	v_add_co_ci_u32_e64 v44, null, s73, v14, vcc_lo
	s_and_not1_b32 vcc_lo, exec_lo, s80
	s_mov_b32 s23, -1
	s_wait_loadcnt 0x0
	s_barrier_signal -1
	s_barrier_wait -1
	global_inv scope:SCOPE_SE
	s_wait_alu 0xfffe
	s_cbranch_vccnz .LBB56_94
; %bb.93:                               ;   in Loop: Header=BB56_4 Depth=1
	flat_load_b128 v[9:12], v[43:44]
	v_add_co_u32 v0, vcc_lo, v43, s56
	s_wait_alu 0xfffd
	v_add_co_ci_u32_e64 v1, null, s57, v44, vcc_lo
	s_mov_b32 s23, 0
	s_wait_loadcnt_dscnt 0x0
	ds_store_2addr_b64 v156, v[9:10], v[11:12] offset1:1
	flat_load_b128 v[9:12], v[0:1]
	v_add_co_u32 v0, vcc_lo, v0, s56
	s_wait_alu 0xfffd
	v_add_co_ci_u32_e64 v1, null, s57, v1, vcc_lo
	s_wait_loadcnt_dscnt 0x0
	ds_store_2addr_b64 v157, v[9:10], v[11:12] offset1:1
	flat_load_b128 v[9:12], v[0:1]
	v_add_co_u32 v0, vcc_lo, v0, s56
	s_wait_alu 0xfffd
	v_add_co_ci_u32_e64 v1, null, s57, v1, vcc_lo
	s_wait_loadcnt_dscnt 0x0
	ds_store_2addr_b64 v158, v[9:10], v[11:12] offset1:1
	flat_load_b128 v[9:12], v[0:1]
	s_wait_loadcnt_dscnt 0x0
	ds_store_2addr_b64 v159, v[9:10], v[11:12] offset1:1
.LBB56_94:                              ;   in Loop: Header=BB56_4 Depth=1
	s_and_not1_b32 vcc_lo, exec_lo, s23
	s_wait_alu 0xfffe
	s_cbranch_vccnz .LBB56_106
; %bb.95:                               ;   in Loop: Header=BB56_4 Depth=1
	s_and_saveexec_b32 s23, s3
	s_delay_alu instid0(SALU_CYCLE_1)
	s_xor_b32 s23, exec_lo, s23
; %bb.96:                               ;   in Loop: Header=BB56_4 Depth=1
	v_dual_mov_b32 v1, v2 :: v_dual_mov_b32 v4, v2
	v_mov_b32_e32 v3, v2
	ds_store_b128 v156, v[1:4]
; %bb.97:                               ;   in Loop: Header=BB56_4 Depth=1
	s_or_saveexec_b32 s23, s23
	v_add_co_u32 v0, vcc_lo, v43, v145
	s_wait_alu 0xfffd
	v_add_co_ci_u32_e64 v1, null, v44, v146, vcc_lo
	s_lshl_b64 s[78:79], s[48:49], 4
	s_wait_alu 0xfffe
	v_add_co_u32 v0, vcc_lo, v0, s78
	s_wait_alu 0xfffd
	v_add_co_ci_u32_e64 v1, null, s79, v1, vcc_lo
	s_delay_alu instid0(VALU_DEP_2) | instskip(SKIP_1) | instid1(VALU_DEP_2)
	v_add_co_u32 v0, vcc_lo, 0xfffffdf0, v0
	s_wait_alu 0xfffd
	v_add_co_ci_u32_e64 v1, null, -1, v1, vcc_lo
	s_delay_alu instid0(VALU_DEP_2) | instskip(NEXT) | instid1(VALU_DEP_2)
	v_cndmask_b32_e64 v9, v0, v43, s16
	v_cndmask_b32_e64 v10, v1, v44, s16
	s_xor_b32 exec_lo, exec_lo, s23
	s_cbranch_execnz .LBB56_131
; %bb.98:                               ;   in Loop: Header=BB56_4 Depth=1
	s_or_b32 exec_lo, exec_lo, s23
	s_and_saveexec_b32 s23, s4
	s_delay_alu instid0(SALU_CYCLE_1)
	s_xor_b32 s23, exec_lo, s23
	s_cbranch_execnz .LBB56_132
.LBB56_99:                              ;   in Loop: Header=BB56_4 Depth=1
	s_and_not1_saveexec_b32 s23, s23
	s_cbranch_execnz .LBB56_133
.LBB56_100:                             ;   in Loop: Header=BB56_4 Depth=1
	s_or_b32 exec_lo, exec_lo, s23
	s_and_saveexec_b32 s23, s5
	s_delay_alu instid0(SALU_CYCLE_1)
	s_xor_b32 s23, exec_lo, s23
	s_cbranch_execnz .LBB56_134
.LBB56_101:                             ;   in Loop: Header=BB56_4 Depth=1
	s_and_not1_saveexec_b32 s23, s23
	s_cbranch_execnz .LBB56_135
.LBB56_102:                             ;   in Loop: Header=BB56_4 Depth=1
	s_or_b32 exec_lo, exec_lo, s23
	s_and_saveexec_b32 s23, s6
	s_delay_alu instid0(SALU_CYCLE_1)
	s_xor_b32 s23, exec_lo, s23
	s_cbranch_execnz .LBB56_136
.LBB56_103:                             ;   in Loop: Header=BB56_4 Depth=1
	s_and_not1_saveexec_b32 s23, s23
	s_cbranch_execz .LBB56_105
.LBB56_104:                             ;   in Loop: Header=BB56_4 Depth=1
	v_add_co_u32 v0, vcc_lo, v9, s60
	s_wait_alu 0xfffd
	v_add_co_ci_u32_e64 v1, null, s61, v10, vcc_lo
	flat_load_b128 v[11:14], v[0:1]
	s_wait_loadcnt_dscnt 0x0
	ds_store_2addr_b64 v159, v[11:12], v[13:14] offset1:1
.LBB56_105:                             ;   in Loop: Header=BB56_4 Depth=1
	s_or_b32 exec_lo, exec_lo, s23
	v_add_co_u32 v0, vcc_lo, v9, v181
	s_wait_alu 0xfffd
	v_add_co_ci_u32_e64 v1, null, 0, v10, vcc_lo
	s_lshl_b64 s[78:79], s[64:65], 4
	s_wait_alu 0xfffe
	v_add_co_u32 v0, vcc_lo, v0, s78
	s_wait_alu 0xfffd
	v_add_co_ci_u32_e64 v1, null, s79, v1, vcc_lo
	s_delay_alu instid0(VALU_DEP_2) | instskip(SKIP_1) | instid1(VALU_DEP_2)
	v_add_co_u32 v0, vcc_lo, 0x210, v0
	s_wait_alu 0xfffd
	v_add_co_ci_u32_e64 v1, null, 0, v1, vcc_lo
	s_delay_alu instid0(VALU_DEP_2) | instskip(NEXT) | instid1(VALU_DEP_2)
	v_cndmask_b32_e64 v43, v0, v43, s16
	v_cndmask_b32_e64 v44, v1, v44, s16
.LBB56_106:                             ;   in Loop: Header=BB56_4 Depth=1
	s_wait_loadcnt_dscnt 0x0
	s_barrier_signal -1
	s_barrier_wait -1
	global_inv scope:SCOPE_SE
	ds_load_b128 v[9:12], v179
	ds_load_b128 v[13:16], v156
	;; [unrolled: 1-line block ×3, first 2 shown]
	ds_load_b128 v[21:24], v176 offset:384
	ds_load_b128 v[25:28], v176 offset:128
	;; [unrolled: 1-line block ×3, first 2 shown]
	s_wait_dscnt 0x4
	v_mul_f64_e32 v[0:1], v[11:12], v[15:16]
	v_mul_f64_e32 v[3:4], v[9:10], v[15:16]
	s_wait_dscnt 0x1
	v_mul_f64_e32 v[33:34], v[27:28], v[19:20]
	v_mul_f64_e32 v[19:20], v[25:26], v[19:20]
	s_delay_alu instid0(VALU_DEP_4) | instskip(NEXT) | instid1(VALU_DEP_4)
	v_fma_f64 v[0:1], v[9:10], v[13:14], -v[0:1]
	v_fma_f64 v[3:4], v[11:12], v[13:14], v[3:4]
	ds_load_b128 v[9:12], v158
	ds_load_b128 v[13:16], v159
	v_fma_f64 v[25:26], v[25:26], v[17:18], -v[33:34]
	v_fma_f64 v[17:18], v[27:28], v[17:18], v[19:20]
	s_wait_dscnt 0x1
	v_mul_f64_e32 v[35:36], v[31:32], v[11:12]
	v_mul_f64_e32 v[11:12], v[29:30], v[11:12]
	s_wait_dscnt 0x0
	v_mul_f64_e32 v[19:20], v[23:24], v[15:16]
	v_mul_f64_e32 v[15:16], v[21:22], v[15:16]
	v_add_f64_e32 v[0:1], 0, v[0:1]
	v_add_f64_e32 v[3:4], 0, v[3:4]
	v_fma_f64 v[27:28], v[29:30], v[9:10], -v[35:36]
	v_fma_f64 v[9:10], v[31:32], v[9:10], v[11:12]
	v_fma_f64 v[11:12], v[21:22], v[13:14], -v[19:20]
	v_fma_f64 v[13:14], v[23:24], v[13:14], v[15:16]
	v_add_f64_e32 v[0:1], v[0:1], v[25:26]
	v_add_f64_e32 v[3:4], v[3:4], v[17:18]
	s_delay_alu instid0(VALU_DEP_2) | instskip(NEXT) | instid1(VALU_DEP_2)
	v_add_f64_e32 v[0:1], v[0:1], v[27:28]
	v_add_f64_e32 v[3:4], v[3:4], v[9:10]
	s_delay_alu instid0(VALU_DEP_2) | instskip(NEXT) | instid1(VALU_DEP_2)
	v_add_f64_e32 v[45:46], v[0:1], v[11:12]
	v_add_f64_e32 v[47:48], v[3:4], v[13:14]
	ds_load_b128 v[33:36], v168
	ds_load_b128 v[25:28], v168 offset:16
	ds_load_b128 v[13:16], v168 offset:32
	;; [unrolled: 1-line block ×7, first 2 shown]
	s_wait_loadcnt_dscnt 0x0
	s_barrier_signal -1
	s_barrier_wait -1
	global_inv scope:SCOPE_SE
	ds_store_b128 v167, v[45:48]
	s_wait_loadcnt_dscnt 0x0
	s_barrier_signal -1
	s_barrier_wait -1
	global_inv scope:SCOPE_SE
	s_and_saveexec_b32 s23, s21
	s_cbranch_execz .LBB56_108
; %bb.107:                              ;   in Loop: Header=BB56_4 Depth=1
	ds_load_b128 v[45:48], v164
	ds_load_b128 v[49:52], v164 offset:16
	s_wait_dscnt 0x1
	v_add_f64_e32 v[0:1], v[5:6], v[45:46]
	v_add_f64_e32 v[3:4], v[7:8], v[47:48]
	s_wait_dscnt 0x0
	s_delay_alu instid0(VALU_DEP_2) | instskip(NEXT) | instid1(VALU_DEP_2)
	v_add_f64_e32 v[0:1], v[0:1], v[49:50]
	v_add_f64_e32 v[7:8], v[3:4], v[51:52]
	ds_load_b128 v[3:6], v164 offset:32
	ds_load_b128 v[45:48], v164 offset:48
	s_wait_dscnt 0x1
	v_add_f64_e32 v[0:1], v[0:1], v[3:4]
	v_add_f64_e32 v[3:4], v[7:8], v[5:6]
	s_wait_dscnt 0x0
	s_delay_alu instid0(VALU_DEP_2) | instskip(NEXT) | instid1(VALU_DEP_2)
	v_add_f64_e32 v[0:1], v[0:1], v[45:46]
	v_add_f64_e32 v[7:8], v[3:4], v[47:48]
	ds_load_b128 v[3:6], v164 offset:64
	;; [unrolled: 9-line block ×3, first 2 shown]
	ds_load_b128 v[45:48], v164 offset:112
	s_wait_dscnt 0x1
	v_add_f64_e32 v[0:1], v[0:1], v[3:4]
	v_add_f64_e32 v[3:4], v[7:8], v[5:6]
	s_wait_dscnt 0x0
	s_delay_alu instid0(VALU_DEP_2) | instskip(NEXT) | instid1(VALU_DEP_2)
	v_add_f64_e32 v[5:6], v[0:1], v[45:46]
	v_add_f64_e32 v[7:8], v[3:4], v[47:48]
.LBB56_108:                             ;   in Loop: Header=BB56_4 Depth=1
	s_or_b32 exec_lo, exec_lo, s23
	v_mul_f64_e32 v[0:1], v[35:36], v[39:40]
	v_mul_f64_e32 v[3:4], v[35:36], v[37:38]
	;; [unrolled: 1-line block ×4, first 2 shown]
	s_wait_loadcnt 0x0
	s_barrier_signal -1
	s_barrier_wait -1
	global_inv scope:SCOPE_SE
	v_fma_f64 v[0:1], v[33:34], v[37:38], v[0:1]
	v_fma_f64 v[3:4], v[33:34], v[39:40], -v[3:4]
	v_mul_f64_e32 v[33:34], v[15:16], v[23:24]
	v_mul_f64_e32 v[15:16], v[15:16], v[21:22]
	v_fma_f64 v[29:30], v[25:26], v[29:30], v[35:36]
	v_fma_f64 v[25:26], v[25:26], v[31:32], -v[27:28]
	v_mul_f64_e32 v[27:28], v[11:12], v[19:20]
	v_mul_f64_e32 v[11:12], v[11:12], v[17:18]
	v_add_f64_e32 v[0:1], 0, v[0:1]
	v_add_f64_e32 v[3:4], 0, v[3:4]
	v_fma_f64 v[21:22], v[13:14], v[21:22], v[33:34]
	v_fma_f64 v[13:14], v[13:14], v[23:24], -v[15:16]
	v_fma_f64 v[15:16], v[9:10], v[17:18], v[27:28]
	v_fma_f64 v[11:12], v[9:10], v[19:20], -v[11:12]
	v_add_f64_e32 v[0:1], v[0:1], v[29:30]
	v_add_f64_e32 v[3:4], v[3:4], v[25:26]
	s_delay_alu instid0(VALU_DEP_2) | instskip(NEXT) | instid1(VALU_DEP_2)
	v_add_f64_e32 v[0:1], v[0:1], v[21:22]
	v_add_f64_e32 v[3:4], v[3:4], v[13:14]
	s_delay_alu instid0(VALU_DEP_2) | instskip(NEXT) | instid1(VALU_DEP_2)
	v_add_f64_e32 v[9:10], v[0:1], v[15:16]
	v_add_f64_e32 v[11:12], v[3:4], v[11:12]
	ds_store_b128 v167, v[9:12]
	s_wait_loadcnt_dscnt 0x0
	s_barrier_signal -1
	s_barrier_wait -1
	global_inv scope:SCOPE_SE
	s_and_saveexec_b32 s23, s15
	s_cbranch_execz .LBB56_110
; %bb.109:                              ;   in Loop: Header=BB56_4 Depth=1
	ds_load_b128 v[9:12], v164
	ds_load_b128 v[13:16], v164 offset:16
	s_wait_dscnt 0x1
	v_add_f64_e32 v[0:1], v[5:6], v[9:10]
	v_add_f64_e32 v[3:4], v[7:8], v[11:12]
	s_wait_dscnt 0x0
	s_delay_alu instid0(VALU_DEP_2) | instskip(NEXT) | instid1(VALU_DEP_2)
	v_add_f64_e32 v[0:1], v[0:1], v[13:14]
	v_add_f64_e32 v[11:12], v[3:4], v[15:16]
	ds_load_b128 v[3:6], v164 offset:32
	ds_load_b128 v[7:10], v164 offset:48
	s_wait_dscnt 0x1
	v_add_f64_e32 v[0:1], v[0:1], v[3:4]
	v_add_f64_e32 v[3:4], v[11:12], v[5:6]
	s_wait_dscnt 0x0
	s_delay_alu instid0(VALU_DEP_2) | instskip(NEXT) | instid1(VALU_DEP_2)
	v_add_f64_e32 v[0:1], v[0:1], v[7:8]
	v_add_f64_e32 v[11:12], v[3:4], v[9:10]
	ds_load_b128 v[3:6], v164 offset:64
	;; [unrolled: 9-line block ×3, first 2 shown]
	ds_load_b128 v[7:10], v164 offset:112
	s_wait_dscnt 0x1
	v_add_f64_e32 v[0:1], v[0:1], v[3:4]
	v_add_f64_e32 v[3:4], v[11:12], v[5:6]
	s_wait_dscnt 0x0
	s_delay_alu instid0(VALU_DEP_2) | instskip(NEXT) | instid1(VALU_DEP_2)
	v_add_f64_e32 v[5:6], v[0:1], v[7:8]
	v_add_f64_e32 v[7:8], v[3:4], v[9:10]
.LBB56_110:                             ;   in Loop: Header=BB56_4 Depth=1
	s_or_b32 exec_lo, exec_lo, s23
	s_mul_u64 s[78:79], s[50:51], s[34:35]
	s_and_not1_b32 vcc_lo, exec_lo, s81
	s_wait_alu 0xfffe
	s_lshl_b64 s[78:79], s[78:79], 4
	s_wait_loadcnt 0x0
	s_wait_alu 0xfffe
	s_add_nc_u64 s[78:79], s[52:53], s[78:79]
	s_barrier_signal -1
	s_barrier_wait -1
	global_inv scope:SCOPE_SE
	s_cbranch_vccnz .LBB56_117
; %bb.111:                              ;   in Loop: Header=BB56_4 Depth=1
	v_add_co_u32 v0, vcc_lo, v43, s76
	s_wait_alu 0xfffd
	v_add_co_ci_u32_e64 v1, null, s77, v44, vcc_lo
	v_lshlrev_b32_e32 v3, 4, v153
	s_delay_alu instid0(VALU_DEP_3) | instskip(SKIP_1) | instid1(VALU_DEP_3)
	v_add_co_u32 v0, vcc_lo, v0, v147
	s_wait_alu 0xfffd
	v_add_co_ci_u32_e64 v1, null, v1, v148, vcc_lo
	s_lshl_b64 s[84:85], s[48:49], 4
	v_add_co_u32 v0, vcc_lo, v0, v149
	s_wait_alu 0xfffd
	v_add_co_ci_u32_e64 v1, null, v1, v150, vcc_lo
	s_mov_b32 s23, ttmp9
	s_wait_alu 0xfffe
	v_add_co_u32 v4, vcc_lo, v0, s84
	s_wait_alu 0xfffd
	v_add_co_ci_u32_e64 v9, null, s85, v1, vcc_lo
	v_add_co_u32 v0, vcc_lo, v0, v3
	s_wait_alu 0xfffd
	v_add_co_ci_u32_e64 v1, null, 0, v1, vcc_lo
	v_add_co_u32 v3, vcc_lo, 0xfffffdf0, v4
	s_wait_alu 0xfffd
	v_add_co_ci_u32_e64 v4, null, -1, v9, vcc_lo
	v_add_co_u32 v0, vcc_lo, 0xfffffe00, v0
	s_wait_alu 0xfffd
	v_add_co_ci_u32_e64 v1, null, -1, v1, vcc_lo
	v_add_co_u32 v182, vcc_lo, v41, s74
	s_wait_alu 0xfffd
	v_add_co_ci_u32_e64 v183, null, s75, v42, vcc_lo
	s_delay_alu instid0(VALU_DEP_3)
	v_cndmask_b32_e64 v1, v1, v4, s1
	v_cndmask_b32_e64 v0, v0, v3, s1
	s_mov_b32 s46, 0
	s_branch .LBB56_113
.LBB56_112:                             ;   in Loop: Header=BB56_113 Depth=2
	s_or_b32 exec_lo, exec_lo, s35
	v_mul_f64_e32 v[0:1], v[19:20], v[27:28]
	v_mul_f64_e32 v[27:28], v[17:18], v[27:28]
	;; [unrolled: 1-line block ×4, first 2 shown]
	s_add_co_i32 s23, s23, -1
	s_wait_alu 0xfffe
	s_add_co_i32 s46, s46, 64
	s_cmp_eq_u32 s23, 0
	s_wait_loadcnt 0x0
	s_wait_storecnt 0x0
	s_barrier_signal -1
	s_barrier_wait -1
	global_inv scope:SCOPE_SE
	v_fma_f64 v[0:1], v[17:18], v[25:26], -v[0:1]
	v_fma_f64 v[17:18], v[19:20], v[25:26], v[27:28]
	v_mul_f64_e32 v[19:20], v[15:16], v[39:40]
	v_mul_f64_e32 v[25:26], v[13:14], v[39:40]
	v_fma_f64 v[21:22], v[21:22], v[41:42], -v[113:114]
	v_fma_f64 v[23:24], v[23:24], v[41:42], v[43:44]
	v_add_f64_e32 v[0:1], v[5:6], v[0:1]
	v_add_f64_e32 v[5:6], v[7:8], v[17:18]
	v_mul_f64_e32 v[7:8], v[11:12], v[35:36]
	v_mul_f64_e32 v[17:18], v[9:10], v[35:36]
	v_fma_f64 v[13:14], v[13:14], v[37:38], -v[19:20]
	v_fma_f64 v[15:16], v[15:16], v[37:38], v[25:26]
	v_mul_f64_e32 v[19:20], v[31:32], v[59:60]
	v_add_f64_e32 v[0:1], v[0:1], v[21:22]
	v_add_f64_e32 v[5:6], v[5:6], v[23:24]
	v_mul_f64_e32 v[21:22], v[29:30], v[59:60]
	v_fma_f64 v[7:8], v[9:10], v[33:34], -v[7:8]
	v_fma_f64 v[9:10], v[11:12], v[33:34], v[17:18]
	v_mul_f64_e32 v[11:12], v[55:56], v[75:76]
	v_add_f64_e32 v[0:1], v[0:1], v[13:14]
	v_add_f64_e32 v[5:6], v[5:6], v[15:16]
	v_mul_f64_e32 v[13:14], v[53:54], v[75:76]
	v_fma_f64 v[15:16], v[29:30], v[57:58], -v[19:20]
	v_fma_f64 v[17:18], v[31:32], v[57:58], v[21:22]
	v_fma_f64 v[11:12], v[53:54], v[73:74], -v[11:12]
	v_add_f64_e32 v[0:1], v[0:1], v[7:8]
	v_add_f64_e32 v[5:6], v[5:6], v[9:10]
	v_mul_f64_e32 v[7:8], v[51:52], v[71:72]
	v_mul_f64_e32 v[9:10], v[49:50], v[71:72]
	v_fma_f64 v[13:14], v[55:56], v[73:74], v[13:14]
	v_add_f64_e32 v[0:1], v[0:1], v[15:16]
	v_add_f64_e32 v[5:6], v[5:6], v[17:18]
	v_mul_f64_e32 v[15:16], v[47:48], v[67:68]
	v_mul_f64_e32 v[17:18], v[45:46], v[67:68]
	v_fma_f64 v[7:8], v[49:50], v[69:70], -v[7:8]
	v_fma_f64 v[9:10], v[51:52], v[69:70], v[9:10]
	v_add_f64_e32 v[0:1], v[0:1], v[11:12]
	v_add_f64_e32 v[5:6], v[5:6], v[13:14]
	v_mul_f64_e32 v[11:12], v[63:64], v[83:84]
	v_mul_f64_e32 v[13:14], v[61:62], v[83:84]
	v_fma_f64 v[15:16], v[45:46], v[65:66], -v[15:16]
	;; [unrolled: 6-line block ×9, first 2 shown]
	v_fma_f64 v[13:14], v[123:124], v[133:134], v[13:14]
	v_add_f64_e32 v[0:1], v[0:1], v[15:16]
	v_add_f64_e32 v[5:6], v[5:6], v[17:18]
	v_fma_f64 v[7:8], v[125:126], v[129:130], -v[7:8]
	v_fma_f64 v[9:10], v[127:128], v[129:130], v[9:10]
	s_delay_alu instid0(VALU_DEP_4) | instskip(NEXT) | instid1(VALU_DEP_4)
	v_add_f64_e32 v[0:1], v[0:1], v[11:12]
	v_add_f64_e32 v[11:12], v[5:6], v[13:14]
	s_delay_alu instid0(VALU_DEP_2) | instskip(NEXT) | instid1(VALU_DEP_2)
	v_add_f64_e32 v[5:6], v[0:1], v[7:8]
	v_add_f64_e32 v[7:8], v[11:12], v[9:10]
	v_add_co_u32 v0, vcc_lo, v3, s68
	s_wait_alu 0xfffd
	v_add_co_ci_u32_e64 v1, null, s69, v4, vcc_lo
	s_cbranch_scc1 .LBB56_117
.LBB56_113:                             ;   Parent Loop BB56_4 Depth=1
                                        ; =>  This Inner Loop Header: Depth=2
	s_and_saveexec_b32 s35, s0
	s_cbranch_execz .LBB56_115
; %bb.114:                              ;   in Loop: Header=BB56_113 Depth=2
	s_wait_alu 0xfffe
	s_mul_u64 s[84:85], s[44:45], s[46:47]
	s_wait_alu 0xfffe
	s_lshl_b64 s[84:85], s[84:85], 4
	s_wait_alu 0xfffe
	v_add_co_u32 v3, vcc_lo, v182, s84
	s_wait_alu 0xfffd
	v_add_co_ci_u32_e64 v4, null, s85, v183, vcc_lo
	flat_load_b128 v[9:12], v[3:4]
	s_wait_loadcnt_dscnt 0x0
	ds_store_2addr_b64 v169, v[9:10], v[11:12] offset1:1
.LBB56_115:                             ;   in Loop: Header=BB56_113 Depth=2
	s_or_b32 exec_lo, exec_lo, s35
	v_add_co_u32 v3, vcc_lo, v0, s66
	s_wait_alu 0xfffd
	v_add_co_ci_u32_e64 v4, null, s67, v1, vcc_lo
	s_wait_loadcnt_dscnt 0x0
	s_delay_alu instid0(VALU_DEP_2) | instskip(SKIP_1) | instid1(VALU_DEP_2)
	v_add_co_u32 v9, vcc_lo, v3, s66
	s_wait_alu 0xfffd
	v_add_co_ci_u32_e64 v10, null, s67, v4, vcc_lo
	s_barrier_signal -1
	s_barrier_wait -1
	global_inv scope:SCOPE_SE
	flat_load_b128 v[17:20], v[0:1]
	v_add_co_u32 v0, vcc_lo, v9, s66
	s_wait_alu 0xfffd
	v_add_co_ci_u32_e64 v1, null, s67, v10, vcc_lo
	s_clause 0x2
	flat_load_b128 v[21:24], v[3:4]
	flat_load_b128 v[13:16], v[9:10]
	;; [unrolled: 1-line block ×3, first 2 shown]
	ds_load_b128 v[29:32], v155
	ds_load_b128 v[25:28], v170
	v_add_co_u32 v0, vcc_lo, v0, s68
	s_wait_alu 0xfffd
	v_add_co_ci_u32_e64 v1, null, s69, v1, vcc_lo
	s_wait_loadcnt_dscnt 0x301
	v_mul_f64_e32 v[3:4], v[19:20], v[31:32]
	v_mul_f64_e32 v[33:34], v[19:20], v[29:30]
	s_wait_loadcnt 0x2
	v_mul_f64_e32 v[35:36], v[23:24], v[31:32]
	v_mul_f64_e32 v[37:38], v[23:24], v[29:30]
	s_wait_loadcnt 0x1
	v_mul_f64_e32 v[39:40], v[15:16], v[31:32]
	v_mul_f64_e32 v[41:42], v[15:16], v[29:30]
	s_wait_loadcnt 0x0
	v_mul_f64_e32 v[43:44], v[11:12], v[31:32]
	v_mul_f64_e32 v[57:58], v[11:12], v[29:30]
	v_fma_f64 v[45:46], v[17:18], v[29:30], v[3:4]
	v_fma_f64 v[47:48], v[17:18], v[31:32], -v[33:34]
	v_add_co_u32 v3, vcc_lo, v0, s66
	v_fma_f64 v[49:50], v[21:22], v[29:30], v[35:36]
	v_fma_f64 v[51:52], v[21:22], v[31:32], -v[37:38]
	v_fma_f64 v[53:54], v[13:14], v[29:30], v[39:40]
	v_fma_f64 v[55:56], v[13:14], v[31:32], -v[41:42]
	;; [unrolled: 2-line block ×3, first 2 shown]
	s_wait_alu 0xfffd
	v_add_co_ci_u32_e64 v4, null, s67, v1, vcc_lo
	v_add_co_u32 v57, vcc_lo, v3, s66
	ds_load_b128 v[41:44], v170 offset:16
	ds_load_b128 v[37:40], v170 offset:32
	s_wait_alu 0xfffd
	v_add_co_ci_u32_e64 v58, null, s67, v4, vcc_lo
	ds_load_b128 v[33:36], v170 offset:48
	ds_store_b128 v171, v[45:48]
	ds_store_b128 v171, v[49:52] offset:1072
	ds_store_b128 v171, v[53:56] offset:2144
	;; [unrolled: 1-line block ×3, first 2 shown]
	s_wait_dscnt 0x0
	s_barrier_signal -1
	s_barrier_wait -1
	global_inv scope:SCOPE_SE
	ds_load_b128 v[81:84], v172
	ds_load_b128 v[85:88], v172 offset:16
	ds_load_b128 v[89:92], v172 offset:32
	;; [unrolled: 1-line block ×3, first 2 shown]
	s_wait_loadcnt_dscnt 0x0
	s_barrier_signal -1
	s_barrier_wait -1
	global_inv scope:SCOPE_SE
	flat_load_b128 v[29:32], v[0:1]
	v_add_co_u32 v0, vcc_lo, v57, s66
	s_wait_alu 0xfffd
	v_add_co_ci_u32_e64 v1, null, s67, v58, vcc_lo
	s_clause 0x2
	flat_load_b128 v[53:56], v[3:4]
	flat_load_b128 v[49:52], v[57:58]
	;; [unrolled: 1-line block ×3, first 2 shown]
	ds_load_b128 v[61:64], v155
	ds_load_b128 v[57:60], v170 offset:256
	v_add_co_u32 v0, vcc_lo, v0, s68
	s_wait_alu 0xfffd
	v_add_co_ci_u32_e64 v1, null, s69, v1, vcc_lo
	s_wait_loadcnt_dscnt 0x301
	v_mul_f64_e32 v[3:4], v[31:32], v[63:64]
	v_mul_f64_e32 v[65:66], v[31:32], v[61:62]
	s_wait_loadcnt 0x2
	v_mul_f64_e32 v[67:68], v[55:56], v[63:64]
	v_mul_f64_e32 v[69:70], v[55:56], v[61:62]
	s_wait_loadcnt 0x1
	;; [unrolled: 3-line block ×3, first 2 shown]
	v_mul_f64_e32 v[75:76], v[47:48], v[63:64]
	v_mul_f64_e32 v[105:106], v[47:48], v[61:62]
	v_fma_f64 v[77:78], v[29:30], v[61:62], v[3:4]
	v_fma_f64 v[79:80], v[29:30], v[63:64], -v[65:66]
	v_add_f64_e32 v[3:4], 0, v[81:82]
	v_add_f64_e32 v[81:82], 0, v[83:84]
	v_fma_f64 v[97:98], v[53:54], v[61:62], v[67:68]
	v_fma_f64 v[99:100], v[53:54], v[63:64], -v[69:70]
	v_fma_f64 v[101:102], v[49:50], v[61:62], v[71:72]
	v_fma_f64 v[103:104], v[49:50], v[63:64], -v[73:74]
	v_fma_f64 v[61:62], v[45:46], v[61:62], v[75:76]
	v_fma_f64 v[63:64], v[45:46], v[63:64], -v[105:106]
	ds_load_b128 v[73:76], v170 offset:272
	ds_load_b128 v[69:72], v170 offset:288
	;; [unrolled: 1-line block ×3, first 2 shown]
	ds_store_b128 v171, v[77:80]
	ds_store_b128 v171, v[97:100] offset:1072
	ds_store_b128 v171, v[101:104] offset:2144
	;; [unrolled: 1-line block ×3, first 2 shown]
	s_wait_dscnt 0x0
	s_barrier_signal -1
	s_barrier_wait -1
	global_inv scope:SCOPE_SE
	ds_load_b128 v[97:100], v172
	ds_load_b128 v[101:104], v172 offset:16
	ds_load_b128 v[105:108], v172 offset:32
	;; [unrolled: 1-line block ×3, first 2 shown]
	s_wait_loadcnt_dscnt 0x0
	s_barrier_signal -1
	s_barrier_wait -1
	global_inv scope:SCOPE_SE
	flat_load_b128 v[61:64], v[0:1]
	v_add_co_u32 v0, vcc_lo, v0, s66
	s_wait_alu 0xfffd
	v_add_co_ci_u32_e64 v1, null, s67, v1, vcc_lo
	v_add_f64_e32 v[81:82], v[81:82], v[87:88]
	ds_load_b128 v[117:120], v155
	v_add_f64_e32 v[3:4], v[3:4], v[85:86]
	flat_load_b128 v[77:80], v[0:1]
	v_add_co_u32 v0, vcc_lo, v0, s66
	s_wait_alu 0xfffd
	v_add_co_ci_u32_e64 v1, null, s67, v1, vcc_lo
	v_add_f64_e32 v[81:82], v[81:82], v[91:92]
	v_add_f64_e32 v[3:4], v[3:4], v[89:90]
	s_delay_alu instid0(VALU_DEP_2)
	v_add_f64_e32 v[115:116], v[81:82], v[95:96]
	ds_load_b128 v[81:84], v170 offset:512
	v_add_f64_e32 v[113:114], v[3:4], v[93:94]
	s_wait_loadcnt_dscnt 0x102
	v_mul_f64_e32 v[85:86], v[63:64], v[117:118]
	v_mul_f64_e32 v[3:4], v[63:64], v[119:120]
	s_wait_loadcnt_dscnt 0x1
	v_mul_f64_e32 v[87:88], v[79:80], v[119:120]
	s_delay_alu instid0(VALU_DEP_3) | instskip(NEXT) | instid1(VALU_DEP_3)
	v_fma_f64 v[95:96], v[61:62], v[119:120], -v[85:86]
	v_fma_f64 v[93:94], v[61:62], v[117:118], v[3:4]
	v_mul_f64_e32 v[3:4], v[79:80], v[117:118]
	s_delay_alu instid0(VALU_DEP_4)
	v_fma_f64 v[121:122], v[77:78], v[117:118], v[87:88]
	flat_load_b128 v[85:88], v[0:1]
	ds_store_b128 v171, v[93:96]
	v_fma_f64 v[123:124], v[77:78], v[119:120], -v[3:4]
	v_add_co_u32 v3, vcc_lo, v0, s66
	s_wait_alu 0xfffd
	v_add_co_ci_u32_e64 v4, null, s67, v1, vcc_lo
	s_wait_loadcnt_dscnt 0x1
	v_mul_f64_e32 v[89:90], v[87:88], v[117:118]
	v_mul_f64_e32 v[0:1], v[87:88], v[119:120]
	s_delay_alu instid0(VALU_DEP_2)
	v_fma_f64 v[127:128], v[85:86], v[119:120], -v[89:90]
	flat_load_b128 v[89:92], v[3:4]
	v_fma_f64 v[125:126], v[85:86], v[117:118], v[0:1]
	ds_store_b128 v171, v[121:124] offset:1072
	ds_store_b128 v171, v[125:128] offset:2144
	s_wait_loadcnt_dscnt 0x2
	v_mul_f64_e32 v[0:1], v[91:92], v[119:120]
	v_mul_f64_e32 v[129:130], v[91:92], v[117:118]
	s_delay_alu instid0(VALU_DEP_2) | instskip(SKIP_2) | instid1(VALU_DEP_4)
	v_fma_f64 v[117:118], v[89:90], v[117:118], v[0:1]
	v_add_f64_e32 v[0:1], 0, v[97:98]
	v_add_f64_e32 v[97:98], 0, v[99:100]
	v_fma_f64 v[119:120], v[89:90], v[119:120], -v[129:130]
	s_delay_alu instid0(VALU_DEP_3) | instskip(NEXT) | instid1(VALU_DEP_3)
	v_add_f64_e32 v[0:1], v[0:1], v[101:102]
	v_add_f64_e32 v[97:98], v[97:98], v[103:104]
	s_delay_alu instid0(VALU_DEP_2) | instskip(NEXT) | instid1(VALU_DEP_2)
	v_add_f64_e32 v[0:1], v[0:1], v[105:106]
	v_add_f64_e32 v[97:98], v[97:98], v[107:108]
	s_delay_alu instid0(VALU_DEP_2) | instskip(SKIP_3) | instid1(VALU_DEP_4)
	v_add_f64_e32 v[184:185], v[0:1], v[109:110]
	v_add_co_u32 v0, vcc_lo, v3, s68
	s_wait_alu 0xfffd
	v_add_co_ci_u32_e64 v1, null, s69, v4, vcc_lo
	v_add_f64_e32 v[186:187], v[97:98], v[111:112]
	ds_load_b128 v[109:112], v170 offset:528
	ds_load_b128 v[105:108], v170 offset:544
	ds_store_b128 v171, v[117:120] offset:3216
	ds_load_b128 v[101:104], v170 offset:560
	s_wait_dscnt 0x0
	s_barrier_signal -1
	s_barrier_wait -1
	global_inv scope:SCOPE_SE
	ds_load_b128 v[129:132], v172
	ds_load_b128 v[133:136], v172 offset:16
	ds_load_b128 v[137:140], v172 offset:32
	;; [unrolled: 1-line block ×3, first 2 shown]
	s_wait_loadcnt_dscnt 0x0
	s_barrier_signal -1
	s_barrier_wait -1
	global_inv scope:SCOPE_SE
	flat_load_b128 v[93:96], v[0:1]
	ds_load_b128 v[192:195], v155
	ds_load_b128 v[97:100], v170 offset:768
	v_add_co_u32 v3, vcc_lo, v0, s66
	s_wait_alu 0xfffd
	v_add_co_ci_u32_e64 v4, null, s67, v1, vcc_lo
	s_wait_loadcnt_dscnt 0x1
	v_mul_f64_e32 v[117:118], v[95:96], v[192:193]
	v_mul_f64_e32 v[0:1], v[95:96], v[194:195]
	s_delay_alu instid0(VALU_DEP_2)
	v_fma_f64 v[198:199], v[93:94], v[194:195], -v[117:118]
	flat_load_b128 v[117:120], v[3:4]
	v_fma_f64 v[196:197], v[93:94], v[192:193], v[0:1]
	v_add_co_u32 v0, vcc_lo, v3, s66
	s_wait_alu 0xfffd
	v_add_co_ci_u32_e64 v1, null, s67, v4, vcc_lo
	s_wait_loadcnt_dscnt 0x0
	v_mul_f64_e32 v[121:122], v[119:120], v[192:193]
	v_mul_f64_e32 v[3:4], v[119:120], v[194:195]
	s_delay_alu instid0(VALU_DEP_2)
	v_fma_f64 v[202:203], v[117:118], v[194:195], -v[121:122]
	flat_load_b128 v[121:124], v[0:1]
	v_fma_f64 v[200:201], v[117:118], v[192:193], v[3:4]
	v_add_co_u32 v3, vcc_lo, v0, s66
	s_wait_alu 0xfffd
	v_add_co_ci_u32_e64 v4, null, s67, v1, vcc_lo
	s_wait_loadcnt_dscnt 0x0
	v_mul_f64_e32 v[125:126], v[123:124], v[192:193]
	v_mul_f64_e32 v[0:1], v[123:124], v[194:195]
	s_delay_alu instid0(VALU_DEP_2)
	v_fma_f64 v[206:207], v[121:122], v[194:195], -v[125:126]
	flat_load_b128 v[125:128], v[3:4]
	v_fma_f64 v[204:205], v[121:122], v[192:193], v[0:1]
	s_wait_loadcnt_dscnt 0x0
	v_mul_f64_e32 v[0:1], v[127:128], v[194:195]
	v_mul_f64_e32 v[208:209], v[127:128], v[192:193]
	s_delay_alu instid0(VALU_DEP_2) | instskip(SKIP_2) | instid1(VALU_DEP_4)
	v_fma_f64 v[192:193], v[125:126], v[192:193], v[0:1]
	v_add_f64_e32 v[0:1], 0, v[129:130]
	v_add_f64_e32 v[129:130], 0, v[131:132]
	v_fma_f64 v[194:195], v[125:126], v[194:195], -v[208:209]
	ds_store_b128 v171, v[196:199]
	ds_store_b128 v171, v[200:203] offset:1072
	ds_store_b128 v171, v[204:207] offset:2144
	;; [unrolled: 1-line block ×3, first 2 shown]
	v_add_f64_e32 v[0:1], v[0:1], v[133:134]
	v_add_f64_e32 v[129:130], v[129:130], v[135:136]
	s_delay_alu instid0(VALU_DEP_2) | instskip(NEXT) | instid1(VALU_DEP_2)
	v_add_f64_e32 v[0:1], v[0:1], v[137:138]
	v_add_f64_e32 v[129:130], v[129:130], v[139:140]
	s_delay_alu instid0(VALU_DEP_2) | instskip(NEXT) | instid1(VALU_DEP_2)
	v_add_f64_e32 v[188:189], v[0:1], v[188:189]
	v_add_f64_e32 v[190:191], v[129:130], v[190:191]
	ds_load_b128 v[137:140], v170 offset:784
	ds_load_b128 v[133:136], v170 offset:800
	;; [unrolled: 1-line block ×3, first 2 shown]
	s_wait_dscnt 0x0
	s_barrier_signal -1
	s_barrier_wait -1
	global_inv scope:SCOPE_SE
	ds_load_b128 v[192:195], v172
	ds_load_b128 v[196:199], v172 offset:16
	s_wait_dscnt 0x1
	v_add_f64_e32 v[0:1], 0, v[192:193]
	v_add_f64_e32 v[192:193], 0, v[194:195]
	s_wait_dscnt 0x0
	s_delay_alu instid0(VALU_DEP_2) | instskip(NEXT) | instid1(VALU_DEP_2)
	v_add_f64_e32 v[0:1], v[0:1], v[196:197]
	v_add_f64_e32 v[200:201], v[192:193], v[198:199]
	ds_load_b128 v[192:195], v172 offset:32
	ds_load_b128 v[196:199], v172 offset:48
	s_wait_loadcnt_dscnt 0x0
	s_barrier_signal -1
	s_barrier_wait -1
	global_inv scope:SCOPE_SE
	v_add_f64_e32 v[0:1], v[0:1], v[192:193]
	v_add_f64_e32 v[194:195], v[200:201], v[194:195]
	s_delay_alu instid0(VALU_DEP_2) | instskip(NEXT) | instid1(VALU_DEP_2)
	v_add_f64_e32 v[192:193], v[0:1], v[196:197]
	v_add_f64_e32 v[194:195], v[194:195], v[198:199]
	ds_store_b128 v180, v[113:116]
	ds_store_b128 v180, v[184:187] offset:256
	ds_store_b128 v180, v[188:191] offset:512
	;; [unrolled: 1-line block ×3, first 2 shown]
	s_wait_loadcnt_dscnt 0x0
	s_barrier_signal -1
	s_barrier_wait -1
	global_inv scope:SCOPE_SE
	s_and_saveexec_b32 s35, s22
	s_cbranch_execz .LBB56_112
; %bb.116:                              ;   in Loop: Header=BB56_113 Depth=2
	ds_load_b128 v[113:116], v173
	ds_load_b128 v[184:187], v173 offset:16
	s_wait_dscnt 0x0
	v_add_f64_e32 v[0:1], v[184:185], v[113:114]
	v_add_f64_e32 v[188:189], v[186:187], v[115:116]
	ds_load_b128 v[113:116], v173 offset:32
	ds_load_b128 v[184:187], v173 offset:48
	s_wait_dscnt 0x1
	v_add_f64_e32 v[0:1], v[0:1], v[113:114]
	v_add_f64_e32 v[113:114], v[188:189], v[115:116]
	s_wait_dscnt 0x0
	s_delay_alu instid0(VALU_DEP_2) | instskip(NEXT) | instid1(VALU_DEP_2)
	v_add_f64_e32 v[0:1], v[0:1], v[184:185]
	v_add_f64_e32 v[188:189], v[113:114], v[186:187]
	ds_load_b128 v[113:116], v173 offset:64
	ds_load_b128 v[184:187], v173 offset:80
	s_wait_dscnt 0x1
	v_add_f64_e32 v[0:1], v[0:1], v[113:114]
	v_add_f64_e32 v[113:114], v[188:189], v[115:116]
	s_wait_dscnt 0x0
	s_delay_alu instid0(VALU_DEP_2) | instskip(NEXT) | instid1(VALU_DEP_2)
	v_add_f64_e32 v[0:1], v[0:1], v[184:185]
	v_add_f64_e32 v[188:189], v[113:114], v[186:187]
	ds_load_b128 v[113:116], v173 offset:96
	ds_load_b128 v[184:187], v173 offset:112
	s_wait_dscnt 0x1
	v_add_f64_e32 v[0:1], v[0:1], v[113:114]
	v_add_f64_e32 v[113:114], v[188:189], v[115:116]
	s_wait_dscnt 0x0
	s_delay_alu instid0(VALU_DEP_2) | instskip(NEXT) | instid1(VALU_DEP_2)
	v_add_f64_e32 v[0:1], v[0:1], v[184:185]
	v_add_f64_e32 v[188:189], v[113:114], v[186:187]
	ds_load_b128 v[113:116], v173 offset:128
	ds_load_b128 v[184:187], v173 offset:144
	s_wait_dscnt 0x1
	v_add_f64_e32 v[0:1], v[0:1], v[113:114]
	v_add_f64_e32 v[113:114], v[188:189], v[115:116]
	s_wait_dscnt 0x0
	s_delay_alu instid0(VALU_DEP_2) | instskip(NEXT) | instid1(VALU_DEP_2)
	v_add_f64_e32 v[0:1], v[0:1], v[184:185]
	v_add_f64_e32 v[188:189], v[113:114], v[186:187]
	ds_load_b128 v[113:116], v173 offset:160
	ds_load_b128 v[184:187], v173 offset:176
	s_wait_dscnt 0x1
	v_add_f64_e32 v[0:1], v[0:1], v[113:114]
	v_add_f64_e32 v[113:114], v[188:189], v[115:116]
	s_wait_dscnt 0x0
	s_delay_alu instid0(VALU_DEP_2) | instskip(NEXT) | instid1(VALU_DEP_2)
	v_add_f64_e32 v[0:1], v[0:1], v[184:185]
	v_add_f64_e32 v[188:189], v[113:114], v[186:187]
	ds_load_b128 v[113:116], v173 offset:192
	ds_load_b128 v[184:187], v173 offset:208
	s_wait_dscnt 0x1
	v_add_f64_e32 v[0:1], v[0:1], v[113:114]
	v_add_f64_e32 v[113:114], v[188:189], v[115:116]
	s_wait_dscnt 0x0
	s_delay_alu instid0(VALU_DEP_2) | instskip(NEXT) | instid1(VALU_DEP_2)
	v_add_f64_e32 v[0:1], v[0:1], v[184:185]
	v_add_f64_e32 v[188:189], v[113:114], v[186:187]
	ds_load_b128 v[113:116], v173 offset:224
	ds_load_b128 v[184:187], v174
	s_wait_dscnt 0x1
	v_add_f64_e32 v[0:1], v[0:1], v[113:114]
	v_add_f64_e32 v[115:116], v[188:189], v[115:116]
	s_wait_dscnt 0x0
	s_delay_alu instid0(VALU_DEP_2) | instskip(NEXT) | instid1(VALU_DEP_2)
	v_add_f64_e32 v[113:114], v[0:1], v[184:185]
	v_add_f64_e32 v[115:116], v[115:116], v[186:187]
	s_wait_alu 0xfffe
	v_add_nc_u32_e32 v1, s46, v153
	s_delay_alu instid0(VALU_DEP_1) | instskip(NEXT) | instid1(VALU_DEP_1)
	v_lshlrev_b64_e32 v[0:1], 4, v[1:2]
	v_add_co_u32 v0, vcc_lo, s78, v0
	s_wait_alu 0xfffd
	s_delay_alu instid0(VALU_DEP_2)
	v_add_co_ci_u32_e64 v1, null, s79, v1, vcc_lo
	global_store_b128 v[0:1], v[113:116], off
	s_branch .LBB56_112
.LBB56_117:                             ;   in Loop: Header=BB56_4 Depth=1
	ds_store_b128 v175, v[5:8]
	s_wait_loadcnt_dscnt 0x0
	s_barrier_signal -1
	s_barrier_wait -1
	global_inv scope:SCOPE_SE
	s_and_saveexec_b32 s23, s82
	s_cbranch_execz .LBB56_2
; %bb.118:                              ;   in Loop: Header=BB56_4 Depth=1
	ds_load_b128 v[3:6], v154 offset:1072
	ds_load_b128 v[7:10], v154
	s_wait_dscnt 0x0
	v_add_f64_e32 v[0:1], v[3:4], v[7:8]
	v_add_f64_e32 v[11:12], v[5:6], v[9:10]
	ds_load_b128 v[3:6], v154 offset:2144
	ds_load_b128 v[7:10], v154 offset:3216
	s_wait_dscnt 0x1
	v_add_f64_e32 v[0:1], v[0:1], v[3:4]
	v_add_f64_e32 v[5:6], v[11:12], v[5:6]
	s_wait_dscnt 0x0
	s_delay_alu instid0(VALU_DEP_2) | instskip(NEXT) | instid1(VALU_DEP_2)
	v_add_f64_e32 v[3:4], v[0:1], v[7:8]
	v_add_f64_e32 v[5:6], v[5:6], v[9:10]
	s_wait_alu 0xfffe
	v_add_co_u32 v0, vcc_lo, s78, v151
	s_wait_alu 0xfffd
	v_add_co_ci_u32_e64 v1, null, s79, v152, vcc_lo
	global_store_b128 v[0:1], v[3:6], off
	s_branch .LBB56_2
.LBB56_119:                             ;   in Loop: Header=BB56_4 Depth=1
	flat_load_b128 v[11:14], v[5:6]
	s_wait_loadcnt_dscnt 0x0
	ds_store_2addr_b64 v156, v[11:12], v[13:14] offset1:1
	s_or_b32 exec_lo, exec_lo, s23
	s_and_saveexec_b32 s23, s4
	s_delay_alu instid0(SALU_CYCLE_1)
	s_xor_b32 s23, exec_lo, s23
	s_cbranch_execz .LBB56_19
.LBB56_120:                             ;   in Loop: Header=BB56_4 Depth=1
	v_dual_mov_b32 v1, v2 :: v_dual_mov_b32 v4, v2
	v_mov_b32_e32 v3, v2
	ds_store_b128 v157, v[1:4]
	s_and_not1_saveexec_b32 s23, s23
	s_cbranch_execz .LBB56_20
.LBB56_121:                             ;   in Loop: Header=BB56_4 Depth=1
	v_add_co_u32 v0, vcc_lo, v5, s56
	s_wait_alu 0xfffd
	v_add_co_ci_u32_e64 v1, null, s57, v6, vcc_lo
	flat_load_b128 v[11:14], v[0:1]
	s_wait_loadcnt_dscnt 0x0
	ds_store_2addr_b64 v157, v[11:12], v[13:14] offset1:1
	s_or_b32 exec_lo, exec_lo, s23
	s_and_saveexec_b32 s23, s5
	s_delay_alu instid0(SALU_CYCLE_1)
	s_xor_b32 s23, exec_lo, s23
	s_cbranch_execz .LBB56_21
.LBB56_122:                             ;   in Loop: Header=BB56_4 Depth=1
	v_dual_mov_b32 v1, v2 :: v_dual_mov_b32 v4, v2
	v_mov_b32_e32 v3, v2
	ds_store_b128 v158, v[1:4]
	s_and_not1_saveexec_b32 s23, s23
	s_cbranch_execz .LBB56_22
.LBB56_123:                             ;   in Loop: Header=BB56_4 Depth=1
	v_add_co_u32 v0, vcc_lo, v5, s58
	s_wait_alu 0xfffd
	v_add_co_ci_u32_e64 v1, null, s59, v6, vcc_lo
	flat_load_b128 v[11:14], v[0:1]
	s_wait_loadcnt_dscnt 0x0
	ds_store_2addr_b64 v158, v[11:12], v[13:14] offset1:1
	s_or_b32 exec_lo, exec_lo, s23
	s_and_saveexec_b32 s23, s6
	s_delay_alu instid0(SALU_CYCLE_1)
	s_xor_b32 s23, exec_lo, s23
	s_cbranch_execz .LBB56_23
.LBB56_124:                             ;   in Loop: Header=BB56_4 Depth=1
	v_dual_mov_b32 v1, v2 :: v_dual_mov_b32 v4, v2
	v_mov_b32_e32 v3, v2
	ds_store_b128 v159, v[1:4]
	s_and_not1_saveexec_b32 s23, s23
	s_cbranch_execnz .LBB56_24
	s_branch .LBB56_25
.LBB56_125:                             ;   in Loop: Header=BB56_4 Depth=1
	flat_load_b128 v[15:18], v[9:10]
	s_wait_loadcnt_dscnt 0x0
	ds_store_2addr_b64 v156, v[15:16], v[17:18] offset1:1
	s_or_b32 exec_lo, exec_lo, s23
	s_and_saveexec_b32 s23, s18
	s_delay_alu instid0(SALU_CYCLE_1)
	s_xor_b32 s23, exec_lo, s23
	s_cbranch_execz .LBB56_59
.LBB56_126:                             ;   in Loop: Header=BB56_4 Depth=1
	v_dual_mov_b32 v1, v2 :: v_dual_mov_b32 v4, v2
	v_mov_b32_e32 v3, v2
	ds_store_b128 v157, v[1:4]
	s_and_not1_saveexec_b32 s23, s23
	s_cbranch_execz .LBB56_60
.LBB56_127:                             ;   in Loop: Header=BB56_4 Depth=1
	v_add_co_u32 v0, vcc_lo, v9, s56
	s_wait_alu 0xfffd
	v_add_co_ci_u32_e64 v1, null, s57, v10, vcc_lo
	flat_load_b128 v[15:18], v[0:1]
	s_wait_loadcnt_dscnt 0x0
	ds_store_2addr_b64 v157, v[15:16], v[17:18] offset1:1
	s_or_b32 exec_lo, exec_lo, s23
	s_and_saveexec_b32 s23, s19
	s_delay_alu instid0(SALU_CYCLE_1)
	s_xor_b32 s23, exec_lo, s23
	s_cbranch_execz .LBB56_61
.LBB56_128:                             ;   in Loop: Header=BB56_4 Depth=1
	v_dual_mov_b32 v1, v2 :: v_dual_mov_b32 v4, v2
	v_mov_b32_e32 v3, v2
	ds_store_b128 v158, v[1:4]
	s_and_not1_saveexec_b32 s23, s23
	s_cbranch_execz .LBB56_62
.LBB56_129:                             ;   in Loop: Header=BB56_4 Depth=1
	v_add_co_u32 v0, vcc_lo, v9, s58
	s_wait_alu 0xfffd
	v_add_co_ci_u32_e64 v1, null, s59, v10, vcc_lo
	flat_load_b128 v[15:18], v[0:1]
	s_wait_loadcnt_dscnt 0x0
	ds_store_2addr_b64 v158, v[15:16], v[17:18] offset1:1
	s_or_b32 exec_lo, exec_lo, s23
	s_and_saveexec_b32 s23, s20
	s_delay_alu instid0(SALU_CYCLE_1)
	s_xor_b32 s23, exec_lo, s23
	s_cbranch_execz .LBB56_63
.LBB56_130:                             ;   in Loop: Header=BB56_4 Depth=1
	v_dual_mov_b32 v1, v2 :: v_dual_mov_b32 v4, v2
	v_mov_b32_e32 v3, v2
	ds_store_b128 v159, v[1:4]
	s_and_not1_saveexec_b32 s23, s23
	s_cbranch_execnz .LBB56_64
	s_branch .LBB56_65
.LBB56_131:                             ;   in Loop: Header=BB56_4 Depth=1
	flat_load_b128 v[11:14], v[9:10]
	s_wait_loadcnt_dscnt 0x0
	ds_store_2addr_b64 v156, v[11:12], v[13:14] offset1:1
	s_or_b32 exec_lo, exec_lo, s23
	s_and_saveexec_b32 s23, s4
	s_delay_alu instid0(SALU_CYCLE_1)
	s_xor_b32 s23, exec_lo, s23
	s_cbranch_execz .LBB56_99
.LBB56_132:                             ;   in Loop: Header=BB56_4 Depth=1
	v_dual_mov_b32 v1, v2 :: v_dual_mov_b32 v4, v2
	v_mov_b32_e32 v3, v2
	ds_store_b128 v157, v[1:4]
	s_and_not1_saveexec_b32 s23, s23
	s_cbranch_execz .LBB56_100
.LBB56_133:                             ;   in Loop: Header=BB56_4 Depth=1
	v_add_co_u32 v0, vcc_lo, v9, s56
	s_wait_alu 0xfffd
	v_add_co_ci_u32_e64 v1, null, s57, v10, vcc_lo
	flat_load_b128 v[11:14], v[0:1]
	s_wait_loadcnt_dscnt 0x0
	ds_store_2addr_b64 v157, v[11:12], v[13:14] offset1:1
	s_or_b32 exec_lo, exec_lo, s23
	s_and_saveexec_b32 s23, s5
	s_delay_alu instid0(SALU_CYCLE_1)
	s_xor_b32 s23, exec_lo, s23
	s_cbranch_execz .LBB56_101
.LBB56_134:                             ;   in Loop: Header=BB56_4 Depth=1
	v_dual_mov_b32 v1, v2 :: v_dual_mov_b32 v4, v2
	v_mov_b32_e32 v3, v2
	ds_store_b128 v158, v[1:4]
	s_and_not1_saveexec_b32 s23, s23
	s_cbranch_execz .LBB56_102
.LBB56_135:                             ;   in Loop: Header=BB56_4 Depth=1
	v_add_co_u32 v0, vcc_lo, v9, s58
	s_wait_alu 0xfffd
	v_add_co_ci_u32_e64 v1, null, s59, v10, vcc_lo
	flat_load_b128 v[11:14], v[0:1]
	s_wait_loadcnt_dscnt 0x0
	ds_store_2addr_b64 v158, v[11:12], v[13:14] offset1:1
	s_or_b32 exec_lo, exec_lo, s23
	s_and_saveexec_b32 s23, s6
	s_delay_alu instid0(SALU_CYCLE_1)
	s_xor_b32 s23, exec_lo, s23
	s_cbranch_execz .LBB56_103
.LBB56_136:                             ;   in Loop: Header=BB56_4 Depth=1
	v_dual_mov_b32 v1, v2 :: v_dual_mov_b32 v4, v2
	v_mov_b32_e32 v3, v2
	ds_store_b128 v159, v[1:4]
	s_and_not1_saveexec_b32 s23, s23
	s_cbranch_execnz .LBB56_104
	s_branch .LBB56_105
.LBB56_137:
	s_nop 0
	s_sendmsg sendmsg(MSG_DEALLOC_VGPRS)
	s_endpgm
	.section	.rodata,"a",@progbits
	.p2align	6, 0x0
	.amdhsa_kernel _ZL26rocblas_hemvn_kernel_lowerILb1ELi64ELi4ELi33ELi32ELi16ElPK19rocblas_complex_numIdEPKS3_PS1_EviT6_lT7_lT5_lS8_lS9_lS7_lT8_i
		.amdhsa_group_segment_fixed_size 19200
		.amdhsa_private_segment_fixed_size 0
		.amdhsa_kernarg_size 376
		.amdhsa_user_sgpr_count 2
		.amdhsa_user_sgpr_dispatch_ptr 0
		.amdhsa_user_sgpr_queue_ptr 0
		.amdhsa_user_sgpr_kernarg_segment_ptr 1
		.amdhsa_user_sgpr_dispatch_id 0
		.amdhsa_user_sgpr_private_segment_size 0
		.amdhsa_wavefront_size32 1
		.amdhsa_uses_dynamic_stack 0
		.amdhsa_enable_private_segment 0
		.amdhsa_system_sgpr_workgroup_id_x 1
		.amdhsa_system_sgpr_workgroup_id_y 0
		.amdhsa_system_sgpr_workgroup_id_z 1
		.amdhsa_system_sgpr_workgroup_info 0
		.amdhsa_system_vgpr_workitem_id 1
		.amdhsa_next_free_vgpr 210
		.amdhsa_next_free_sgpr 86
		.amdhsa_reserve_vcc 1
		.amdhsa_float_round_mode_32 0
		.amdhsa_float_round_mode_16_64 0
		.amdhsa_float_denorm_mode_32 3
		.amdhsa_float_denorm_mode_16_64 3
		.amdhsa_fp16_overflow 0
		.amdhsa_workgroup_processor_mode 1
		.amdhsa_memory_ordered 1
		.amdhsa_forward_progress 1
		.amdhsa_inst_pref_size 80
		.amdhsa_round_robin_scheduling 0
		.amdhsa_exception_fp_ieee_invalid_op 0
		.amdhsa_exception_fp_denorm_src 0
		.amdhsa_exception_fp_ieee_div_zero 0
		.amdhsa_exception_fp_ieee_overflow 0
		.amdhsa_exception_fp_ieee_underflow 0
		.amdhsa_exception_fp_ieee_inexact 0
		.amdhsa_exception_int_div_zero 0
	.end_amdhsa_kernel
	.section	.text._ZL26rocblas_hemvn_kernel_lowerILb1ELi64ELi4ELi33ELi32ELi16ElPK19rocblas_complex_numIdEPKS3_PS1_EviT6_lT7_lT5_lS8_lS9_lS7_lT8_i,"axG",@progbits,_ZL26rocblas_hemvn_kernel_lowerILb1ELi64ELi4ELi33ELi32ELi16ElPK19rocblas_complex_numIdEPKS3_PS1_EviT6_lT7_lT5_lS8_lS9_lS7_lT8_i,comdat
.Lfunc_end56:
	.size	_ZL26rocblas_hemvn_kernel_lowerILb1ELi64ELi4ELi33ELi32ELi16ElPK19rocblas_complex_numIdEPKS3_PS1_EviT6_lT7_lT5_lS8_lS9_lS7_lT8_i, .Lfunc_end56-_ZL26rocblas_hemvn_kernel_lowerILb1ELi64ELi4ELi33ELi32ELi16ElPK19rocblas_complex_numIdEPKS3_PS1_EviT6_lT7_lT5_lS8_lS9_lS7_lT8_i
                                        ; -- End function
	.set _ZL26rocblas_hemvn_kernel_lowerILb1ELi64ELi4ELi33ELi32ELi16ElPK19rocblas_complex_numIdEPKS3_PS1_EviT6_lT7_lT5_lS8_lS9_lS7_lT8_i.num_vgpr, 210
	.set _ZL26rocblas_hemvn_kernel_lowerILb1ELi64ELi4ELi33ELi32ELi16ElPK19rocblas_complex_numIdEPKS3_PS1_EviT6_lT7_lT5_lS8_lS9_lS7_lT8_i.num_agpr, 0
	.set _ZL26rocblas_hemvn_kernel_lowerILb1ELi64ELi4ELi33ELi32ELi16ElPK19rocblas_complex_numIdEPKS3_PS1_EviT6_lT7_lT5_lS8_lS9_lS7_lT8_i.numbered_sgpr, 86
	.set _ZL26rocblas_hemvn_kernel_lowerILb1ELi64ELi4ELi33ELi32ELi16ElPK19rocblas_complex_numIdEPKS3_PS1_EviT6_lT7_lT5_lS8_lS9_lS7_lT8_i.num_named_barrier, 0
	.set _ZL26rocblas_hemvn_kernel_lowerILb1ELi64ELi4ELi33ELi32ELi16ElPK19rocblas_complex_numIdEPKS3_PS1_EviT6_lT7_lT5_lS8_lS9_lS7_lT8_i.private_seg_size, 0
	.set _ZL26rocblas_hemvn_kernel_lowerILb1ELi64ELi4ELi33ELi32ELi16ElPK19rocblas_complex_numIdEPKS3_PS1_EviT6_lT7_lT5_lS8_lS9_lS7_lT8_i.uses_vcc, 1
	.set _ZL26rocblas_hemvn_kernel_lowerILb1ELi64ELi4ELi33ELi32ELi16ElPK19rocblas_complex_numIdEPKS3_PS1_EviT6_lT7_lT5_lS8_lS9_lS7_lT8_i.uses_flat_scratch, 1
	.set _ZL26rocblas_hemvn_kernel_lowerILb1ELi64ELi4ELi33ELi32ELi16ElPK19rocblas_complex_numIdEPKS3_PS1_EviT6_lT7_lT5_lS8_lS9_lS7_lT8_i.has_dyn_sized_stack, 0
	.set _ZL26rocblas_hemvn_kernel_lowerILb1ELi64ELi4ELi33ELi32ELi16ElPK19rocblas_complex_numIdEPKS3_PS1_EviT6_lT7_lT5_lS8_lS9_lS7_lT8_i.has_recursion, 0
	.set _ZL26rocblas_hemvn_kernel_lowerILb1ELi64ELi4ELi33ELi32ELi16ElPK19rocblas_complex_numIdEPKS3_PS1_EviT6_lT7_lT5_lS8_lS9_lS7_lT8_i.has_indirect_call, 0
	.section	.AMDGPU.csdata,"",@progbits
; Kernel info:
; codeLenInByte = 10228
; TotalNumSgprs: 88
; NumVgprs: 210
; ScratchSize: 0
; MemoryBound: 0
; FloatMode: 240
; IeeeMode: 1
; LDSByteSize: 19200 bytes/workgroup (compile time only)
; SGPRBlocks: 0
; VGPRBlocks: 26
; NumSGPRsForWavesPerEU: 88
; NumVGPRsForWavesPerEU: 210
; Occupancy: 7
; WaveLimiterHint : 0
; COMPUTE_PGM_RSRC2:SCRATCH_EN: 0
; COMPUTE_PGM_RSRC2:USER_SGPR: 2
; COMPUTE_PGM_RSRC2:TRAP_HANDLER: 0
; COMPUTE_PGM_RSRC2:TGID_X_EN: 1
; COMPUTE_PGM_RSRC2:TGID_Y_EN: 0
; COMPUTE_PGM_RSRC2:TGID_Z_EN: 1
; COMPUTE_PGM_RSRC2:TIDIG_COMP_CNT: 1
	.section	.text._ZL36rocblas_hemvn_kernel_lower_block_sumILi64ElPK19rocblas_complex_numIdEPKPS1_S1_EviT1_lS7_lT2_lT0_lPT3_i,"axG",@progbits,_ZL36rocblas_hemvn_kernel_lower_block_sumILi64ElPK19rocblas_complex_numIdEPKPS1_S1_EviT1_lS7_lT2_lT0_lPT3_i,comdat
	.globl	_ZL36rocblas_hemvn_kernel_lower_block_sumILi64ElPK19rocblas_complex_numIdEPKPS1_S1_EviT1_lS7_lT2_lT0_lPT3_i ; -- Begin function _ZL36rocblas_hemvn_kernel_lower_block_sumILi64ElPK19rocblas_complex_numIdEPKPS1_S1_EviT1_lS7_lT2_lT0_lPT3_i
	.p2align	8
	.type	_ZL36rocblas_hemvn_kernel_lower_block_sumILi64ElPK19rocblas_complex_numIdEPKPS1_S1_EviT1_lS7_lT2_lT0_lPT3_i,@function
_ZL36rocblas_hemvn_kernel_lower_block_sumILi64ElPK19rocblas_complex_numIdEPKPS1_S1_EviT1_lS7_lT2_lT0_lPT3_i: ; @_ZL36rocblas_hemvn_kernel_lower_block_sumILi64ElPK19rocblas_complex_numIdEPKPS1_S1_EviT1_lS7_lT2_lT0_lPT3_i
; %bb.0:
	s_load_b32 s24, s[0:1], 0x50
	s_lshr_b32 s2, ttmp7, 16
	s_wait_kmcnt 0x0
	s_cmp_ge_u32 s2, s24
	s_cbranch_scc1 .LBB57_26
; %bb.1:
	s_clause 0x1
	s_load_b32 s20, s[0:1], 0x0
	s_load_b128 s[12:15], s[0:1], 0x30
	s_lshl_b32 s3, ttmp9, 6
	s_clause 0x1
	s_load_b64 s[22:23], s[0:1], 0x48
	s_load_b64 s[16:17], s[0:1], 0x28
	v_or_b32_e32 v0, s3, v0
	s_load_b256 s[4:11], s[0:1], 0x8
	s_add_nc_u64 s[18:19], s[0:1], 0x58
	s_ashr_i32 s1, s3, 31
	v_mov_b32_e32 v18, 0
	s_mov_b32 s3, 0
	s_wait_kmcnt 0x0
	v_mad_co_u64_u32 v[1:2], null, s20, ttmp9, v[0:1]
	v_mul_lo_u32 v5, s15, v0
	v_mad_co_u64_u32 v[3:4], null, s14, v0, 0
	s_mul_i32 s1, s14, s1
	v_cmp_gt_i32_e64 s0, s20, v0
	s_ashr_i32 s21, s20, 31
	v_ashrrev_i32_e32 v2, 31, v1
	s_wait_alu 0xfffe
	s_lshl_b64 s[14:15], s[20:21], 4
	s_lshl_b64 s[12:13], s[12:13], 4
	v_add3_u32 v4, v4, s1, v5
	v_lshlrev_b64_e32 v[1:2], 4, v[1:2]
	s_delay_alu instid0(VALU_DEP_2) | instskip(NEXT) | instid1(VALU_DEP_2)
	v_lshlrev_b64_e32 v[12:13], 4, v[3:4]
	v_add_co_u32 v0, vcc_lo, s22, v1
	s_delay_alu instid0(VALU_DEP_1) | instskip(NEXT) | instid1(VALU_DEP_2)
	v_add_co_ci_u32_e64 v1, null, s23, v2, vcc_lo
	v_add_co_u32 v14, vcc_lo, v0, 8
	s_wait_alu 0xfffd
	s_delay_alu instid0(VALU_DEP_2)
	v_add_co_ci_u32_e64 v15, null, 0, v1, vcc_lo
	s_branch .LBB57_4
.LBB57_2:                               ;   in Loop: Header=BB57_4 Depth=1
	s_wait_alu 0xfffe
	s_or_b32 exec_lo, exec_lo, s1
.LBB57_3:                               ;   in Loop: Header=BB57_4 Depth=1
	s_add_co_i32 s2, s2, 0x10000
	s_wait_alu 0xfffe
	s_cmp_lt_u32 s2, s24
	s_cbranch_scc0 .LBB57_26
.LBB57_4:                               ; =>This Loop Header: Depth=1
                                        ;     Child Loop BB57_17 Depth 2
	s_mul_u64 s[20:21], s[6:7], s[2:3]
	s_wait_alu 0xfffe
	s_lshl_b64 s[20:21], s[20:21], 4
	s_wait_alu 0xfffe
	s_add_nc_u64 s[20:21], s[4:5], s[20:21]
	global_load_b128 v[4:7], v18, s[20:21]
	s_mul_u64 s[20:21], s[10:11], s[2:3]
	s_wait_alu 0xfffe
	s_lshl_b64 s[20:21], s[20:21], 4
	s_wait_alu 0xfffe
	s_add_nc_u64 s[20:21], s[8:9], s[20:21]
	s_wait_loadcnt 0x1
	global_load_b128 v[0:3], v18, s[20:21]
	s_wait_loadcnt 0x1
	v_cmp_neq_f64_e32 vcc_lo, 0, v[4:5]
	v_cmp_neq_f64_e64 s1, 0, v[6:7]
	s_or_b32 s20, vcc_lo, s1
	s_mov_b32 s1, -1
	s_wait_alu 0xfffe
	s_and_b32 vcc_lo, exec_lo, s20
	s_wait_alu 0xfffe
	s_cbranch_vccz .LBB57_6
; %bb.5:                                ;   in Loop: Header=BB57_4 Depth=1
	s_and_not1_b32 vcc_lo, exec_lo, s1
	s_wait_alu 0xfffe
	s_cbranch_vccnz .LBB57_3
	s_branch .LBB57_7
.LBB57_6:                               ;   in Loop: Header=BB57_4 Depth=1
	s_wait_loadcnt 0x0
	v_cmp_neq_f64_e32 vcc_lo, 1.0, v[0:1]
	v_cmp_neq_f64_e64 s1, 0, v[2:3]
	s_or_b32 s1, vcc_lo, s1
	s_wait_alu 0xfffe
	s_and_not1_b32 vcc_lo, exec_lo, s1
	s_wait_alu 0xfffe
	s_cbranch_vccnz .LBB57_3
.LBB57_7:                               ;   in Loop: Header=BB57_4 Depth=1
	s_lshl_b64 s[22:23], s[2:3], 3
	s_xor_b32 s1, s20, -1
	s_wait_alu 0xfffe
	s_add_nc_u64 s[22:23], s[16:17], s[22:23]
	s_and_not1_b32 vcc_lo, exec_lo, s1
	s_load_b64 s[22:23], s[22:23], 0x0
	s_wait_kmcnt 0x0
	s_add_nc_u64 s[20:21], s[22:23], s[12:13]
	s_cbranch_vccnz .LBB57_12
; %bb.8:                                ;   in Loop: Header=BB57_4 Depth=1
	s_mov_b32 s22, 0
	s_mov_b32 s25, 0
                                        ; implicit-def: $vgpr10_vgpr11
	s_and_saveexec_b32 s23, s0
	s_cbranch_execz .LBB57_13
; %bb.9:                                ;   in Loop: Header=BB57_4 Depth=1
	s_wait_loadcnt 0x0
	v_cmp_neq_f64_e32 vcc_lo, 0, v[0:1]
	v_cmp_neq_f64_e64 s1, 0, v[2:3]
	v_mov_b32_e32 v10, 0
	v_dual_mov_b32 v11, 0 :: v_dual_mov_b32 v8, 0
	v_mov_b32_e32 v9, 0
	s_or_b32 s1, vcc_lo, s1
	s_wait_alu 0xfffe
	s_and_not1_b32 vcc_lo, exec_lo, s1
	s_wait_alu 0xfffe
	s_cbranch_vccnz .LBB57_11
; %bb.10:                               ;   in Loop: Header=BB57_4 Depth=1
	v_add_co_u32 v8, vcc_lo, s20, v12
	s_wait_alu 0xfffd
	v_add_co_ci_u32_e64 v9, null, s21, v13, vcc_lo
	flat_load_b128 v[19:22], v[8:9]
	s_wait_loadcnt_dscnt 0x0
	v_mul_f64_e32 v[8:9], v[2:3], v[21:22]
	v_mul_f64_e32 v[10:11], v[0:1], v[21:22]
	s_delay_alu instid0(VALU_DEP_2) | instskip(NEXT) | instid1(VALU_DEP_2)
	v_fma_f64 v[8:9], v[0:1], v[19:20], -v[8:9]
	v_fma_f64 v[10:11], v[2:3], v[19:20], v[10:11]
.LBB57_11:                              ;   in Loop: Header=BB57_4 Depth=1
	s_mov_b32 s25, exec_lo
	s_or_b32 exec_lo, exec_lo, s23
	s_delay_alu instid0(SALU_CYCLE_1)
	s_and_b32 vcc_lo, exec_lo, s22
	s_wait_alu 0xfffe
	s_cbranch_vccnz .LBB57_14
	s_branch .LBB57_24
.LBB57_12:                              ;   in Loop: Header=BB57_4 Depth=1
	s_mov_b32 s25, 0
                                        ; implicit-def: $vgpr10_vgpr11
	s_cbranch_execnz .LBB57_14
	s_branch .LBB57_24
.LBB57_13:                              ;   in Loop: Header=BB57_4 Depth=1
	s_wait_alu 0xfffe
	s_or_b32 exec_lo, exec_lo, s23
	s_delay_alu instid0(SALU_CYCLE_1)
	s_and_b32 vcc_lo, exec_lo, s22
	s_wait_alu 0xfffe
	s_cbranch_vccz .LBB57_24
.LBB57_14:                              ;   in Loop: Header=BB57_4 Depth=1
                                        ; implicit-def: $vgpr10_vgpr11
	s_and_saveexec_b32 s26, s0
	s_cbranch_execz .LBB57_23
; %bb.15:                               ;   in Loop: Header=BB57_4 Depth=1
	s_load_b32 s22, s[18:19], 0x0
	v_mov_b32_e32 v8, 0
	v_dual_mov_b32 v9, 0 :: v_dual_mov_b32 v10, 0
	v_mov_b32_e32 v11, 0
	s_wait_kmcnt 0x0
	s_cmp_ge_i32 ttmp9, s22
	s_cbranch_scc1 .LBB57_18
; %bb.16:                               ;   in Loop: Header=BB57_4 Depth=1
	s_mov_b32 s23, s3
	v_mov_b32_e32 v10, 0
	s_wait_alu 0xfffe
	s_mul_u64 s[28:29], s[14:15], s[22:23]
	s_mov_b32 s1, ttmp9
	s_wait_alu 0xfffe
	v_mad_co_u64_u32 v[16:17], null, s28, s2, v[14:15]
	s_delay_alu instid0(VALU_DEP_1) | instskip(NEXT) | instid1(VALU_DEP_1)
	v_dual_mov_b32 v11, 0 :: v_dual_mov_b32 v8, v17
	v_mad_co_u64_u32 v[19:20], null, s29, s2, v[8:9]
	v_mov_b32_e32 v8, 0
	v_mov_b32_e32 v9, 0
	s_delay_alu instid0(VALU_DEP_3)
	v_mov_b32_e32 v17, v19
.LBB57_17:                              ;   Parent Loop BB57_4 Depth=1
                                        ; =>  This Inner Loop Header: Depth=2
	global_load_b128 v[19:22], v[16:17], off offset:-8
	v_add_co_u32 v16, vcc_lo, v16, s14
	s_wait_alu 0xfffd
	v_add_co_ci_u32_e64 v17, null, s15, v17, vcc_lo
	s_wait_alu 0xfffe
	s_add_co_i32 s1, s1, 1
	s_wait_alu 0xfffe
	s_cmp_ge_i32 s1, s22
	s_wait_loadcnt 0x0
	v_add_f64_e32 v[10:11], v[10:11], v[19:20]
	v_add_f64_e32 v[8:9], v[8:9], v[21:22]
	s_cbranch_scc0 .LBB57_17
.LBB57_18:                              ;   in Loop: Header=BB57_4 Depth=1
	s_delay_alu instid0(VALU_DEP_1) | instskip(SKIP_4) | instid1(VALU_DEP_4)
	v_mul_f64_e32 v[16:17], v[6:7], v[8:9]
	v_mul_f64_e32 v[19:20], v[4:5], v[8:9]
	s_wait_loadcnt 0x0
	v_cmp_neq_f64_e32 vcc_lo, 0, v[0:1]
	v_cmp_neq_f64_e64 s1, 0, v[2:3]
	v_fma_f64 v[8:9], v[4:5], v[10:11], -v[16:17]
	s_delay_alu instid0(VALU_DEP_4)
	v_fma_f64 v[10:11], v[6:7], v[10:11], v[19:20]
	s_or_b32 s1, vcc_lo, s1
	s_wait_alu 0xfffe
	s_and_not1_b32 vcc_lo, exec_lo, s1
	s_mov_b32 s1, -1
	s_wait_alu 0xfffe
	s_cbranch_vccz .LBB57_20
; %bb.19:                               ;   in Loop: Header=BB57_4 Depth=1
	s_mov_b32 s1, 0
.LBB57_20:                              ;   in Loop: Header=BB57_4 Depth=1
	s_wait_alu 0xfffe
	s_and_not1_b32 vcc_lo, exec_lo, s1
	s_wait_alu 0xfffe
	s_cbranch_vccnz .LBB57_22
; %bb.21:                               ;   in Loop: Header=BB57_4 Depth=1
	v_add_co_u32 v4, vcc_lo, s20, v12
	s_wait_alu 0xfffd
	v_add_co_ci_u32_e64 v5, null, s21, v13, vcc_lo
	flat_load_b128 v[4:7], v[4:5]
	s_wait_loadcnt_dscnt 0x0
	v_mul_f64_e32 v[16:17], v[2:3], v[6:7]
	v_mul_f64_e32 v[6:7], v[0:1], v[6:7]
	s_delay_alu instid0(VALU_DEP_2) | instskip(NEXT) | instid1(VALU_DEP_2)
	v_fma_f64 v[0:1], v[0:1], v[4:5], -v[16:17]
	v_fma_f64 v[2:3], v[2:3], v[4:5], v[6:7]
	s_delay_alu instid0(VALU_DEP_2) | instskip(NEXT) | instid1(VALU_DEP_2)
	v_add_f64_e32 v[8:9], v[8:9], v[0:1]
	v_add_f64_e32 v[10:11], v[10:11], v[2:3]
.LBB57_22:                              ;   in Loop: Header=BB57_4 Depth=1
	s_or_b32 s25, s25, exec_lo
.LBB57_23:                              ;   in Loop: Header=BB57_4 Depth=1
	s_or_b32 exec_lo, exec_lo, s26
.LBB57_24:                              ;   in Loop: Header=BB57_4 Depth=1
	s_and_saveexec_b32 s1, s25
	s_cbranch_execz .LBB57_2
; %bb.25:                               ;   in Loop: Header=BB57_4 Depth=1
	s_wait_loadcnt 0x0
	s_wait_alu 0xfffe
	v_add_co_u32 v0, vcc_lo, s20, v12
	s_wait_alu 0xfffd
	v_add_co_ci_u32_e64 v1, null, s21, v13, vcc_lo
	flat_store_b128 v[0:1], v[8:11]
	s_branch .LBB57_2
.LBB57_26:
	s_endpgm
	.section	.rodata,"a",@progbits
	.p2align	6, 0x0
	.amdhsa_kernel _ZL36rocblas_hemvn_kernel_lower_block_sumILi64ElPK19rocblas_complex_numIdEPKPS1_S1_EviT1_lS7_lT2_lT0_lPT3_i
		.amdhsa_group_segment_fixed_size 0
		.amdhsa_private_segment_fixed_size 0
		.amdhsa_kernarg_size 344
		.amdhsa_user_sgpr_count 2
		.amdhsa_user_sgpr_dispatch_ptr 0
		.amdhsa_user_sgpr_queue_ptr 0
		.amdhsa_user_sgpr_kernarg_segment_ptr 1
		.amdhsa_user_sgpr_dispatch_id 0
		.amdhsa_user_sgpr_private_segment_size 0
		.amdhsa_wavefront_size32 1
		.amdhsa_uses_dynamic_stack 0
		.amdhsa_enable_private_segment 0
		.amdhsa_system_sgpr_workgroup_id_x 1
		.amdhsa_system_sgpr_workgroup_id_y 0
		.amdhsa_system_sgpr_workgroup_id_z 1
		.amdhsa_system_sgpr_workgroup_info 0
		.amdhsa_system_vgpr_workitem_id 0
		.amdhsa_next_free_vgpr 23
		.amdhsa_next_free_sgpr 30
		.amdhsa_reserve_vcc 1
		.amdhsa_float_round_mode_32 0
		.amdhsa_float_round_mode_16_64 0
		.amdhsa_float_denorm_mode_32 3
		.amdhsa_float_denorm_mode_16_64 3
		.amdhsa_fp16_overflow 0
		.amdhsa_workgroup_processor_mode 1
		.amdhsa_memory_ordered 1
		.amdhsa_forward_progress 1
		.amdhsa_inst_pref_size 9
		.amdhsa_round_robin_scheduling 0
		.amdhsa_exception_fp_ieee_invalid_op 0
		.amdhsa_exception_fp_denorm_src 0
		.amdhsa_exception_fp_ieee_div_zero 0
		.amdhsa_exception_fp_ieee_overflow 0
		.amdhsa_exception_fp_ieee_underflow 0
		.amdhsa_exception_fp_ieee_inexact 0
		.amdhsa_exception_int_div_zero 0
	.end_amdhsa_kernel
	.section	.text._ZL36rocblas_hemvn_kernel_lower_block_sumILi64ElPK19rocblas_complex_numIdEPKPS1_S1_EviT1_lS7_lT2_lT0_lPT3_i,"axG",@progbits,_ZL36rocblas_hemvn_kernel_lower_block_sumILi64ElPK19rocblas_complex_numIdEPKPS1_S1_EviT1_lS7_lT2_lT0_lPT3_i,comdat
.Lfunc_end57:
	.size	_ZL36rocblas_hemvn_kernel_lower_block_sumILi64ElPK19rocblas_complex_numIdEPKPS1_S1_EviT1_lS7_lT2_lT0_lPT3_i, .Lfunc_end57-_ZL36rocblas_hemvn_kernel_lower_block_sumILi64ElPK19rocblas_complex_numIdEPKPS1_S1_EviT1_lS7_lT2_lT0_lPT3_i
                                        ; -- End function
	.set _ZL36rocblas_hemvn_kernel_lower_block_sumILi64ElPK19rocblas_complex_numIdEPKPS1_S1_EviT1_lS7_lT2_lT0_lPT3_i.num_vgpr, 23
	.set _ZL36rocblas_hemvn_kernel_lower_block_sumILi64ElPK19rocblas_complex_numIdEPKPS1_S1_EviT1_lS7_lT2_lT0_lPT3_i.num_agpr, 0
	.set _ZL36rocblas_hemvn_kernel_lower_block_sumILi64ElPK19rocblas_complex_numIdEPKPS1_S1_EviT1_lS7_lT2_lT0_lPT3_i.numbered_sgpr, 30
	.set _ZL36rocblas_hemvn_kernel_lower_block_sumILi64ElPK19rocblas_complex_numIdEPKPS1_S1_EviT1_lS7_lT2_lT0_lPT3_i.num_named_barrier, 0
	.set _ZL36rocblas_hemvn_kernel_lower_block_sumILi64ElPK19rocblas_complex_numIdEPKPS1_S1_EviT1_lS7_lT2_lT0_lPT3_i.private_seg_size, 0
	.set _ZL36rocblas_hemvn_kernel_lower_block_sumILi64ElPK19rocblas_complex_numIdEPKPS1_S1_EviT1_lS7_lT2_lT0_lPT3_i.uses_vcc, 1
	.set _ZL36rocblas_hemvn_kernel_lower_block_sumILi64ElPK19rocblas_complex_numIdEPKPS1_S1_EviT1_lS7_lT2_lT0_lPT3_i.uses_flat_scratch, 0
	.set _ZL36rocblas_hemvn_kernel_lower_block_sumILi64ElPK19rocblas_complex_numIdEPKPS1_S1_EviT1_lS7_lT2_lT0_lPT3_i.has_dyn_sized_stack, 0
	.set _ZL36rocblas_hemvn_kernel_lower_block_sumILi64ElPK19rocblas_complex_numIdEPKPS1_S1_EviT1_lS7_lT2_lT0_lPT3_i.has_recursion, 0
	.set _ZL36rocblas_hemvn_kernel_lower_block_sumILi64ElPK19rocblas_complex_numIdEPKPS1_S1_EviT1_lS7_lT2_lT0_lPT3_i.has_indirect_call, 0
	.section	.AMDGPU.csdata,"",@progbits
; Kernel info:
; codeLenInByte = 1060
; TotalNumSgprs: 32
; NumVgprs: 23
; ScratchSize: 0
; MemoryBound: 0
; FloatMode: 240
; IeeeMode: 1
; LDSByteSize: 0 bytes/workgroup (compile time only)
; SGPRBlocks: 0
; VGPRBlocks: 2
; NumSGPRsForWavesPerEU: 32
; NumVGPRsForWavesPerEU: 23
; Occupancy: 16
; WaveLimiterHint : 1
; COMPUTE_PGM_RSRC2:SCRATCH_EN: 0
; COMPUTE_PGM_RSRC2:USER_SGPR: 2
; COMPUTE_PGM_RSRC2:TRAP_HANDLER: 0
; COMPUTE_PGM_RSRC2:TGID_X_EN: 1
; COMPUTE_PGM_RSRC2:TGID_Y_EN: 0
; COMPUTE_PGM_RSRC2:TGID_Z_EN: 1
; COMPUTE_PGM_RSRC2:TIDIG_COMP_CNT: 0
	.section	.text._ZL26rocblas_hemvn_kernel_lowerILb1ELi64ELi4ELi33ELi32ELi16EiPK19rocblas_complex_numIdEPKS3_PS1_EviT6_lT7_lT5_lS8_lS9_lS7_lT8_i,"axG",@progbits,_ZL26rocblas_hemvn_kernel_lowerILb1ELi64ELi4ELi33ELi32ELi16EiPK19rocblas_complex_numIdEPKS3_PS1_EviT6_lT7_lT5_lS8_lS9_lS7_lT8_i,comdat
	.globl	_ZL26rocblas_hemvn_kernel_lowerILb1ELi64ELi4ELi33ELi32ELi16EiPK19rocblas_complex_numIdEPKS3_PS1_EviT6_lT7_lT5_lS8_lS9_lS7_lT8_i ; -- Begin function _ZL26rocblas_hemvn_kernel_lowerILb1ELi64ELi4ELi33ELi32ELi16EiPK19rocblas_complex_numIdEPKS3_PS1_EviT6_lT7_lT5_lS8_lS9_lS7_lT8_i
	.p2align	8
	.type	_ZL26rocblas_hemvn_kernel_lowerILb1ELi64ELi4ELi33ELi32ELi16EiPK19rocblas_complex_numIdEPKS3_PS1_EviT6_lT7_lT5_lS8_lS9_lS7_lT8_i,@function
_ZL26rocblas_hemvn_kernel_lowerILb1ELi64ELi4ELi33ELi32ELi16EiPK19rocblas_complex_numIdEPKS3_PS1_EviT6_lT7_lT5_lS8_lS9_lS7_lT8_i: ; @_ZL26rocblas_hemvn_kernel_lowerILb1ELi64ELi4ELi33ELi32ELi16EiPK19rocblas_complex_numIdEPKS3_PS1_EviT6_lT7_lT5_lS8_lS9_lS7_lT8_i
; %bb.0:
	s_clause 0x1
	s_load_b64 s[2:3], s[0:1], 0x84
	s_load_b32 s33, s[0:1], 0x70
	s_lshr_b32 s34, ttmp7, 16
	s_wait_kmcnt 0x0
	s_lshr_b32 s4, s2, 16
	s_and_b32 s2, s2, 0xffff
	s_and_b32 s3, s3, 0xffff
	s_mul_i32 s2, s4, s2
	s_delay_alu instid0(SALU_CYCLE_1) | instskip(NEXT) | instid1(SALU_CYCLE_1)
	s_mul_i32 s2, s2, s3
	s_cmp_lg_u32 s2, 0x100
	s_cselect_b32 s2, -1, 0
	s_cmp_ge_u32 s34, s33
	s_cselect_b32 s3, -1, 0
	s_delay_alu instid0(SALU_CYCLE_1) | instskip(NEXT) | instid1(SALU_CYCLE_1)
	s_or_b32 s2, s2, s3
	s_and_b32 vcc_lo, exec_lo, s2
	s_cbranch_vccnz .LBB58_137
; %bb.1:
	s_load_b32 s2, s[0:1], 0x0
	s_add_nc_u64 s[4:5], s[0:1], 0x78
	s_clause 0x1
	s_load_b256 s[24:31], s[0:1], 0x8
	s_load_b32 s62, s[0:1], 0x28
	s_load_b32 s4, s[4:5], 0x0
	s_clause 0x3
	s_load_b128 s[36:39], s[0:1], 0x38
	s_load_b32 s22, s[0:1], 0x48
	s_load_b64 s[6:7], s[0:1], 0x68
	s_load_b128 s[40:43], s[0:1], 0x58
	v_bfe_u32 v4, v0, 10, 10
	v_dual_mov_b32 v1, 0 :: v_dual_and_b32 v154, 0x3ff, v0
	v_and_b32_e32 v2, 31, v0
	s_lshl_b32 s64, ttmp9, 6
	s_delay_alu instid0(VALU_DEP_3)
	v_lshlrev_b32_e32 v17, 6, v4
	s_mov_b32 s35, 0
	v_add_nc_u32_e32 v3, s64, v154
	v_mul_u32_u24_e32 v23, 33, v2
	v_lshlrev_b32_e32 v19, 4, v2
	v_add_nc_u32_e32 v18, v17, v154
	s_mov_b32 s5, s35
	v_lshlrev_b32_e32 v155, 4, v154
	v_lshlrev_b32_e32 v165, 4, v23
	s_wait_kmcnt 0x0
	s_ashr_i32 s63, s62, 31
	s_add_co_i32 s8, s4, -1
	v_lshrrev_b32_e32 v11, 5, v18
	s_ashr_i32 s3, s2, 31
	v_lshl_or_b32 v16, v2, 9, v19
	s_lshr_b32 s1, s3, 26
	s_mul_u64 s[46:47], s[4:5], s[2:3]
	s_add_co_i32 s1, s2, s1
	v_lshlrev_b32_e32 v24, 4, v11
	s_and_not1_b32 s1, s1, 63
	v_lshlrev_b32_e32 v20, 6, v11
	s_sub_co_i32 s1, s2, s1
	s_cmp_eq_u32 ttmp9, s8
	s_mul_i32 s8, s2, ttmp9
	s_cselect_b32 s44, s1, 0
	v_add_nc_u32_e32 v168, v165, v24
	s_cmp_eq_u32 s44, 0
	v_lshlrev_b32_e32 v15, 2, v11
	s_cselect_b32 s80, -1, 0
	s_cmp_lg_u32 s44, 0
	v_mad_co_u64_u32 v[7:8], null, s62, v11, v[2:3]
	s_cselect_b32 s1, -1, 0
	s_ashr_i32 s9, s8, 31
	s_sub_co_i32 s20, s44, 32
	s_lshl_b64 s[2:3], s[8:9], 4
	v_mad_u32_u24 v157, 0x210, v11, v19
	s_add_nc_u64 s[48:49], s[6:7], s[2:3]
	v_sub_co_u32 v9, s3, 0, v2
	s_delay_alu instid0(VALU_DEP_1)
	v_sub_co_ci_u32_e64 v10, null, 0, 0, s3
	v_add_nc_u32_e32 v12, 8, v11
	v_add_nc_u32_e32 v13, 16, v11
	;; [unrolled: 1-line block ×3, first 2 shown]
	v_cmp_le_i32_e64 s3, s44, v11
	v_mul_u32_u24_e32 v22, 0x840, v11
	v_add_nc_u32_e32 v162, v16, v20
	v_add_nc_u32_e32 v167, 0x4700, v20
	v_cmp_le_i32_e64 s17, s20, v11
	v_cmp_eq_u32_e64 s21, 1, v11
	v_mul_i32_i24_e32 v20, 0xffffffd0, v11
	v_mad_u32_u24 v169, v11, 48, v168
	v_mul_lo_u32 v11, v4, s62
	v_cmp_ge_u32_e64 s7, v15, v2
	v_cmp_eq_u32_e64 s8, v15, v2
	v_or_b32_e32 v21, 1, v15
	v_or_b32_e32 v16, 2, v15
	;; [unrolled: 1-line block ×3, first 2 shown]
	v_lshrrev_b32_e32 v23, 4, v18
	v_mul_lo_u32 v5, s22, v3
	v_cmp_le_i32_e32 vcc_lo, s44, v154
	s_mul_i32 s56, s22, s64
	v_cmp_ge_u32_e64 s13, v15, v2
	v_cmp_eq_u32_e64 s14, v15, v2
	v_or_b32_e32 v15, 32, v2
	v_ashrrev_i32_e32 v8, 31, v7
	v_lshl_add_u32 v11, v11, 2, v154
	s_ashr_i32 s57, s56, 31
	v_and_b32_e32 v25, 15, v0
	v_and_b32_e32 v0, 48, v0
	v_lshlrev_b32_e32 v26, 6, v23
	s_and_b32 s1, s1, vcc_lo
	v_cmp_le_i32_e64 s5, s44, v13
	v_cmp_gt_i32_e64 s16, s44, v15
	v_cmp_le_i32_e64 s19, s20, v13
	s_sub_nc_u64 s[72:73], 0, s[56:57]
	v_sub_co_u32 v13, vcc_lo, 0, v7
	v_sub_co_u32 v15, s56, 0, v154
	v_cmp_eq_u32_e64 s0, 0, v4
	v_ashrrev_i32_e32 v6, 31, v5
	v_cmp_le_i32_e64 s4, s44, v12
	v_cmp_le_i32_e64 s6, s44, v14
	v_cmp_ge_u32_e64 s11, v16, v2
	v_cmp_eq_u32_e64 s12, v16, v2
	v_cmp_le_i32_e64 s18, s20, v12
	v_cmp_le_i32_e64 s20, s20, v14
	v_sub_co_ci_u32_e64 v14, null, 0, v8, vcc_lo
	v_ashrrev_i32_e32 v12, 31, v11
	v_sub_co_ci_u32_e64 v16, null, 0, 0, s56
	v_mad_u32_u24 v172, 0x10c0, v4, v155
	v_mad_u32_u24 v176, 0x430, v4, v155
	v_ashrrev_i32_e32 v4, 31, v3
	s_mul_i32 s66, s62, s64
	s_lshl_b32 s50, s62, 3
	s_lshl_b32 s52, s62, 4
	s_mul_i32 s54, s62, 24
	v_cmp_ge_u32_e64 s9, v21, v2
	v_cmp_eq_u32_e64 s10, v21, v2
	v_mul_u32_u24_e32 v21, 0x210, v21
	s_lshl_b32 s68, s62, 5
	v_add_nc_u32_e32 v171, 0x4300, v17
	v_lshlrev_b32_e32 v0, 4, v0
	v_or_b32_e32 v17, 0xf0, v155
	v_mad_u32_u24 v173, 0x430, v25, v26
	v_mul_i32_i24_e32 v23, 0xffffffd0, v23
	s_ashr_i32 s65, s64, 31
	s_ashr_i32 s67, s66, 31
	;; [unrolled: 1-line block ×7, first 2 shown]
	s_xor_b32 s23, s1, -1
	s_cmp_gt_i32 ttmp9, 0
	v_lshlrev_b64_e32 v[140:141], 4, v[5:6]
	v_lshlrev_b64_e32 v[142:143], 4, v[7:8]
	;; [unrolled: 1-line block ×7, first 2 shown]
	v_add_nc_u32_e32 v156, 0x4700, v155
	v_add_nc_u32_e32 v158, 0x1080, v157
	;; [unrolled: 1-line block ×4, first 2 shown]
	v_cmp_gt_i32_e64 s2, s44, v2
	v_mad_u32_u24 v161, 0x210, v2, v19
	v_add_nc_u32_e32 v163, 16, v162
	v_add_nc_u32_e32 v164, 32, v162
	;; [unrolled: 1-line block ×3, first 2 shown]
	v_cmp_gt_u32_e64 s15, 32, v18
	s_cselect_b32 s81, -1, 0
	s_lshl_b32 s82, s22, 6
	v_add_nc_u32_e32 v170, 0x4300, v155
	v_cmp_gt_u32_e64 s22, 64, v18
	v_mad_u32_u24 v174, 0x430, v25, v0
	v_mad_u32_u24 v175, 0x430, v25, v17
	v_add_nc_u32_e32 v177, 0x4700, v24
	v_add_nc_u32_e32 v178, v19, v22
	v_add_nc_u32_e32 v179, v19, v21
	v_add_nc_u32_e32 v180, v167, v20
	v_add_nc_u32_e32 v181, v173, v23
	v_lshlrev_b32_e32 v182, 4, v2
	s_sub_nc_u64 s[70:71], 0, s[68:69]
	s_sub_nc_u64 s[74:75], 0, s[66:67]
	s_wait_alu 0xfffe
	s_and_b32 s83, s0, s23
	s_lshl_b64 s[56:57], s[62:63], 7
	s_sub_nc_u64 s[58:59], 0, s[44:45]
	s_lshl_b64 s[60:61], s[62:63], 4
	s_mul_u64 s[62:63], s[62:63], 0xd0
	s_lshl_b64 s[38:39], s[38:39], 4
	s_lshl_b64 s[30:31], s[30:31], 4
	;; [unrolled: 1-line block ×8, first 2 shown]
	s_branch .LBB58_4
.LBB58_2:                               ;   in Loop: Header=BB58_4 Depth=1
	s_wait_alu 0xfffe
	s_or_b32 exec_lo, exec_lo, s23
.LBB58_3:                               ;   in Loop: Header=BB58_4 Depth=1
	s_add_co_i32 s34, s34, 0x10000
	s_delay_alu instid0(SALU_CYCLE_1)
	s_cmp_lt_u32 s34, s33
	s_cbranch_scc0 .LBB58_137
.LBB58_4:                               ; =>This Loop Header: Depth=1
                                        ;     Child Loop BB58_113 Depth 2
	s_mul_u64 s[76:77], s[26:27], s[34:35]
	s_wait_alu 0xfffe
	s_lshl_b64 s[76:77], s[76:77], 4
	s_wait_alu 0xfffe
	s_add_nc_u64 s[76:77], s[24:25], s[76:77]
	global_load_b128 v[2:5], v1, s[76:77]
	s_wait_loadcnt 0x0
	v_cmp_neq_f64_e32 vcc_lo, 0, v[2:3]
	v_cmp_neq_f64_e64 s23, 0, v[4:5]
	s_or_b32 s23, vcc_lo, s23
	s_wait_alu 0xfffe
	s_and_b32 vcc_lo, exec_lo, s23
	s_mov_b32 s23, -1
	s_wait_alu 0xfffe
	s_cbranch_vccz .LBB58_6
; %bb.5:                                ;   in Loop: Header=BB58_4 Depth=1
	s_and_not1_b32 vcc_lo, exec_lo, s23
	s_wait_alu 0xfffe
	s_cbranch_vccnz .LBB58_3
	s_branch .LBB58_7
.LBB58_6:                               ;   in Loop: Header=BB58_4 Depth=1
	s_mul_u64 s[76:77], s[42:43], s[34:35]
	s_wait_alu 0xfffe
	s_lshl_b64 s[76:77], s[76:77], 4
	s_wait_alu 0xfffe
	s_add_nc_u64 s[76:77], s[40:41], s[76:77]
	global_load_b128 v[2:5], v1, s[76:77]
	s_wait_loadcnt 0x0
	v_cmp_eq_f64_e32 vcc_lo, 1.0, v[2:3]
	v_cmp_eq_f64_e64 s23, 0, v[4:5]
	s_and_b32 s23, vcc_lo, s23
	s_wait_alu 0xfffe
	s_and_not1_b32 vcc_lo, exec_lo, s23
	s_cbranch_execnz .LBB58_3
.LBB58_7:                               ;   in Loop: Header=BB58_4 Depth=1
	s_lshl_b64 s[76:77], s[34:35], 3
	s_wait_alu 0xfffe
	s_add_nc_u64 s[78:79], s[36:37], s[76:77]
	s_add_nc_u64 s[76:77], s[28:29], s[76:77]
	s_clause 0x1
	global_load_b64 v[2:3], v1, s[78:79]
	global_load_b64 v[4:5], v1, s[76:77]
	s_wait_loadcnt 0x1
	v_add_co_u32 v0, vcc_lo, v2, s38
	s_wait_alu 0xfffd
	v_add_co_ci_u32_e64 v2, null, s39, v3, vcc_lo
	s_delay_alu instid0(VALU_DEP_2) | instskip(SKIP_1) | instid1(VALU_DEP_2)
	v_add_co_u32 v40, vcc_lo, v0, v140
	s_wait_alu 0xfffd
	v_add_co_ci_u32_e64 v41, null, v2, v141, vcc_lo
	s_and_saveexec_b32 s23, s0
	s_cbranch_execz .LBB58_12
; %bb.8:                                ;   in Loop: Header=BB58_4 Depth=1
	s_and_saveexec_b32 s76, s1
	s_wait_alu 0xfffe
	s_xor_b32 s76, exec_lo, s76
; %bb.9:                                ;   in Loop: Header=BB58_4 Depth=1
	v_dual_mov_b32 v0, v1 :: v_dual_mov_b32 v3, v1
	v_mov_b32_e32 v2, v1
	ds_store_b128 v156, v[0:3]
; %bb.10:                               ;   in Loop: Header=BB58_4 Depth=1
	s_wait_alu 0xfffe
	s_and_not1_saveexec_b32 s76, s76
	s_cbranch_execz .LBB58_12
; %bb.11:                               ;   in Loop: Header=BB58_4 Depth=1
	flat_load_b128 v[6:9], v[40:41]
	s_wait_loadcnt_dscnt 0x0
	ds_store_2addr_b64 v156, v[6:7], v[8:9] offset1:1
.LBB58_12:                              ;   in Loop: Header=BB58_4 Depth=1
	s_wait_alu 0xfffe
	s_or_b32 exec_lo, exec_lo, s23
	s_wait_loadcnt 0x0
	v_add_co_u32 v0, vcc_lo, v4, s30
	s_wait_alu 0xfffd
	v_add_co_ci_u32_e64 v2, null, s31, v5, vcc_lo
	s_mov_b32 s23, -1
	v_add_co_u32 v0, vcc_lo, v0, s64
	s_wait_alu 0xfffd
	v_add_co_ci_u32_e64 v2, null, s65, v2, vcc_lo
	s_delay_alu instid0(VALU_DEP_2) | instskip(SKIP_1) | instid1(VALU_DEP_2)
	v_add_co_u32 v0, vcc_lo, v0, v142
	s_wait_alu 0xfffd
	v_add_co_ci_u32_e64 v2, null, v2, v143, vcc_lo
	s_delay_alu instid0(VALU_DEP_2) | instskip(SKIP_1) | instid1(VALU_DEP_2)
	v_add_co_u32 v8, vcc_lo, v0, s66
	s_wait_alu 0xfffd
	v_add_co_ci_u32_e64 v9, null, s67, v2, vcc_lo
	s_and_not1_b32 vcc_lo, exec_lo, s80
	s_wait_alu 0xfffe
	s_cbranch_vccnz .LBB58_14
; %bb.13:                               ;   in Loop: Header=BB58_4 Depth=1
	flat_load_b128 v[2:5], v[8:9]
	s_lshl_b64 s[76:77], s[50:51], 4
	s_mov_b32 s23, 0
	s_wait_alu 0xfffe
	v_add_co_u32 v6, vcc_lo, v8, s76
	s_wait_alu 0xfffd
	v_add_co_ci_u32_e64 v7, null, s77, v9, vcc_lo
	s_wait_loadcnt_dscnt 0x0
	ds_store_2addr_b64 v157, v[2:3], v[4:5] offset1:1
	flat_load_b128 v[2:5], v[6:7]
	v_add_co_u32 v6, vcc_lo, v6, s56
	s_wait_alu 0xfffd
	v_add_co_ci_u32_e64 v7, null, s57, v7, vcc_lo
	s_wait_loadcnt_dscnt 0x0
	ds_store_2addr_b64 v158, v[2:3], v[4:5] offset1:1
	flat_load_b128 v[2:5], v[6:7]
	;; [unrolled: 6-line block ×3, first 2 shown]
	s_wait_loadcnt_dscnt 0x0
	ds_store_2addr_b64 v160, v[2:3], v[4:5] offset1:1
.LBB58_14:                              ;   in Loop: Header=BB58_4 Depth=1
	s_wait_alu 0xfffe
	s_and_not1_b32 vcc_lo, exec_lo, s23
	s_wait_alu 0xfffe
	s_cbranch_vccnz .LBB58_26
; %bb.15:                               ;   in Loop: Header=BB58_4 Depth=1
	s_and_saveexec_b32 s23, s3
	s_wait_alu 0xfffe
	s_xor_b32 s23, exec_lo, s23
; %bb.16:                               ;   in Loop: Header=BB58_4 Depth=1
	v_dual_mov_b32 v0, v1 :: v_dual_mov_b32 v3, v1
	v_mov_b32_e32 v2, v1
	ds_store_b128 v157, v[0:3]
; %bb.17:                               ;   in Loop: Header=BB58_4 Depth=1
	s_wait_alu 0xfffe
	s_or_saveexec_b32 s23, s23
	v_add_co_u32 v0, vcc_lo, v8, v144
	s_wait_alu 0xfffd
	v_add_co_ci_u32_e64 v2, null, v9, v145, vcc_lo
	s_lshl_b64 s[76:77], s[44:45], 4
	s_wait_alu 0xfffe
	v_add_co_u32 v0, vcc_lo, v0, s76
	s_wait_alu 0xfffd
	v_add_co_ci_u32_e64 v2, null, s77, v2, vcc_lo
	s_delay_alu instid0(VALU_DEP_2) | instskip(SKIP_1) | instid1(VALU_DEP_2)
	v_add_co_u32 v0, vcc_lo, v0, -16
	s_wait_alu 0xfffd
	v_add_co_ci_u32_e64 v2, null, -1, v2, vcc_lo
	s_delay_alu instid0(VALU_DEP_2) | instskip(NEXT) | instid1(VALU_DEP_2)
	v_cndmask_b32_e64 v4, v0, v8, s2
	v_cndmask_b32_e64 v5, v2, v9, s2
	s_xor_b32 exec_lo, exec_lo, s23
	s_cbranch_execnz .LBB58_119
; %bb.18:                               ;   in Loop: Header=BB58_4 Depth=1
	s_or_b32 exec_lo, exec_lo, s23
	s_and_saveexec_b32 s23, s4
	s_wait_alu 0xfffe
	s_xor_b32 s23, exec_lo, s23
	s_cbranch_execnz .LBB58_120
.LBB58_19:                              ;   in Loop: Header=BB58_4 Depth=1
	s_wait_alu 0xfffe
	s_and_not1_saveexec_b32 s23, s23
	s_cbranch_execnz .LBB58_121
.LBB58_20:                              ;   in Loop: Header=BB58_4 Depth=1
	s_wait_alu 0xfffe
	s_or_b32 exec_lo, exec_lo, s23
	s_and_saveexec_b32 s23, s5
	s_wait_alu 0xfffe
	s_xor_b32 s23, exec_lo, s23
	s_cbranch_execnz .LBB58_122
.LBB58_21:                              ;   in Loop: Header=BB58_4 Depth=1
	s_wait_alu 0xfffe
	s_and_not1_saveexec_b32 s23, s23
	s_cbranch_execnz .LBB58_123
.LBB58_22:                              ;   in Loop: Header=BB58_4 Depth=1
	s_wait_alu 0xfffe
	s_or_b32 exec_lo, exec_lo, s23
	s_and_saveexec_b32 s23, s6
	s_wait_alu 0xfffe
	s_xor_b32 s23, exec_lo, s23
	s_cbranch_execnz .LBB58_124
.LBB58_23:                              ;   in Loop: Header=BB58_4 Depth=1
	s_wait_alu 0xfffe
	s_and_not1_saveexec_b32 s23, s23
	s_cbranch_execz .LBB58_25
.LBB58_24:                              ;   in Loop: Header=BB58_4 Depth=1
	s_lshl_b64 s[76:77], s[54:55], 4
	s_wait_alu 0xfffe
	v_add_co_u32 v2, vcc_lo, v4, s76
	s_wait_alu 0xfffd
	v_add_co_ci_u32_e64 v3, null, s77, v5, vcc_lo
	flat_load_b128 v[10:13], v[2:3]
	s_wait_loadcnt_dscnt 0x0
	ds_store_2addr_b64 v160, v[10:11], v[12:13] offset1:1
.LBB58_25:                              ;   in Loop: Header=BB58_4 Depth=1
	s_wait_alu 0xfffe
	s_or_b32 exec_lo, exec_lo, s23
	v_add_co_u32 v0, vcc_lo, v4, v182
	s_wait_alu 0xfffd
	v_add_co_ci_u32_e64 v2, null, 0, v5, vcc_lo
	s_lshl_b64 s[76:77], s[58:59], 4
	s_wait_alu 0xfffe
	v_add_co_u32 v0, vcc_lo, v0, s76
	s_wait_alu 0xfffd
	v_add_co_ci_u32_e64 v2, null, s77, v2, vcc_lo
	s_delay_alu instid0(VALU_DEP_2) | instskip(SKIP_1) | instid1(VALU_DEP_2)
	v_add_co_u32 v0, vcc_lo, v0, 16
	s_wait_alu 0xfffd
	v_add_co_ci_u32_e64 v2, null, 0, v2, vcc_lo
	s_delay_alu instid0(VALU_DEP_2) | instskip(NEXT) | instid1(VALU_DEP_2)
	v_cndmask_b32_e64 v8, v0, v8, s2
	v_cndmask_b32_e64 v9, v2, v9, s2
.LBB58_26:                              ;   in Loop: Header=BB58_4 Depth=1
	s_mov_b32 s23, 0
	s_wait_dscnt 0x0
	s_barrier_signal -1
	s_barrier_wait -1
	global_inv scope:SCOPE_SE
	s_and_saveexec_b32 s76, s7
	s_wait_alu 0xfffe
	s_xor_b32 s76, exec_lo, s76
; %bb.27:                               ;   in Loop: Header=BB58_4 Depth=1
	s_and_b32 s23, s8, exec_lo
; %bb.28:                               ;   in Loop: Header=BB58_4 Depth=1
	s_wait_alu 0xfffe
	s_or_saveexec_b32 s76, s76
	v_mov_b32_e32 v4, 0
	v_dual_mov_b32 v5, 0 :: v_dual_mov_b32 v0, v161
	s_wait_alu 0xfffe
	s_xor_b32 exec_lo, exec_lo, s76
	s_cbranch_execz .LBB58_30
; %bb.29:                               ;   in Loop: Header=BB58_4 Depth=1
	ds_load_b128 v[2:5], v178
	v_mov_b32_e32 v0, v162
	s_or_b32 s23, s23, exec_lo
	s_wait_dscnt 0x0
	v_xor_b32_e32 v5, 0x80000000, v5
	ds_store_b64 v162, v[2:3]
.LBB58_30:                              ;   in Loop: Header=BB58_4 Depth=1
	s_or_b32 exec_lo, exec_lo, s76
	s_wait_alu 0xfffe
	s_and_saveexec_b32 s76, s23
; %bb.31:                               ;   in Loop: Header=BB58_4 Depth=1
	ds_store_b64 v0, v[4:5] offset:8
; %bb.32:                               ;   in Loop: Header=BB58_4 Depth=1
	s_wait_alu 0xfffe
	s_or_b32 exec_lo, exec_lo, s76
	s_mov_b32 s23, 0
	s_and_saveexec_b32 s76, s9
	s_wait_alu 0xfffe
	s_xor_b32 s76, exec_lo, s76
; %bb.33:                               ;   in Loop: Header=BB58_4 Depth=1
	s_and_b32 s23, s10, exec_lo
; %bb.34:                               ;   in Loop: Header=BB58_4 Depth=1
	s_wait_alu 0xfffe
	s_or_saveexec_b32 s76, s76
	v_mov_b32_e32 v4, 0
	v_dual_mov_b32 v5, 0 :: v_dual_mov_b32 v0, v161
	s_wait_alu 0xfffe
	s_xor_b32 exec_lo, exec_lo, s76
	s_cbranch_execz .LBB58_36
; %bb.35:                               ;   in Loop: Header=BB58_4 Depth=1
	ds_load_b128 v[2:5], v179
	v_mov_b32_e32 v0, v163
	s_or_b32 s23, s23, exec_lo
	s_wait_dscnt 0x0
	v_xor_b32_e32 v5, 0x80000000, v5
	ds_store_b64 v163, v[2:3]
.LBB58_36:                              ;   in Loop: Header=BB58_4 Depth=1
	s_or_b32 exec_lo, exec_lo, s76
	s_wait_alu 0xfffe
	s_and_saveexec_b32 s76, s23
; %bb.37:                               ;   in Loop: Header=BB58_4 Depth=1
	ds_store_b64 v0, v[4:5] offset:8
; %bb.38:                               ;   in Loop: Header=BB58_4 Depth=1
	s_wait_alu 0xfffe
	s_or_b32 exec_lo, exec_lo, s76
	s_mov_b32 s23, 0
	s_and_saveexec_b32 s76, s11
	s_wait_alu 0xfffe
	s_xor_b32 s76, exec_lo, s76
; %bb.39:                               ;   in Loop: Header=BB58_4 Depth=1
	s_and_b32 s23, s12, exec_lo
; %bb.40:                               ;   in Loop: Header=BB58_4 Depth=1
	s_wait_alu 0xfffe
	s_or_saveexec_b32 s76, s76
	v_mov_b32_e32 v4, 0
	v_dual_mov_b32 v5, 0 :: v_dual_mov_b32 v0, v161
	s_wait_alu 0xfffe
	s_xor_b32 exec_lo, exec_lo, s76
	s_cbranch_execz .LBB58_42
; %bb.41:                               ;   in Loop: Header=BB58_4 Depth=1
	ds_load_b128 v[2:5], v179 offset:528
	v_mov_b32_e32 v0, v164
	s_or_b32 s23, s23, exec_lo
	s_wait_dscnt 0x0
	v_xor_b32_e32 v5, 0x80000000, v5
	ds_store_b64 v164, v[2:3]
.LBB58_42:                              ;   in Loop: Header=BB58_4 Depth=1
	s_or_b32 exec_lo, exec_lo, s76
	s_wait_alu 0xfffe
	s_and_saveexec_b32 s76, s23
; %bb.43:                               ;   in Loop: Header=BB58_4 Depth=1
	ds_store_b64 v0, v[4:5] offset:8
; %bb.44:                               ;   in Loop: Header=BB58_4 Depth=1
	s_wait_alu 0xfffe
	s_or_b32 exec_lo, exec_lo, s76
	s_mov_b32 s23, 0
	s_and_saveexec_b32 s76, s13
	s_wait_alu 0xfffe
	s_xor_b32 s76, exec_lo, s76
; %bb.45:                               ;   in Loop: Header=BB58_4 Depth=1
	s_and_b32 s23, s14, exec_lo
; %bb.46:                               ;   in Loop: Header=BB58_4 Depth=1
	s_wait_alu 0xfffe
	s_or_saveexec_b32 s76, s76
	v_mov_b32_e32 v4, 0
	v_dual_mov_b32 v5, 0 :: v_dual_mov_b32 v0, v161
	s_wait_alu 0xfffe
	s_xor_b32 exec_lo, exec_lo, s76
	s_cbranch_execz .LBB58_48
; %bb.47:                               ;   in Loop: Header=BB58_4 Depth=1
	ds_load_b128 v[2:5], v179 offset:1056
	v_mov_b32_e32 v0, v166
	s_or_b32 s23, s23, exec_lo
	s_wait_dscnt 0x0
	v_xor_b32_e32 v5, 0x80000000, v5
	ds_store_b64 v166, v[2:3]
.LBB58_48:                              ;   in Loop: Header=BB58_4 Depth=1
	s_or_b32 exec_lo, exec_lo, s76
	s_wait_alu 0xfffe
	s_and_saveexec_b32 s76, s23
; %bb.49:                               ;   in Loop: Header=BB58_4 Depth=1
	ds_store_b64 v0, v[4:5] offset:8
; %bb.50:                               ;   in Loop: Header=BB58_4 Depth=1
	s_wait_alu 0xfffe
	s_or_b32 exec_lo, exec_lo, s76
	s_wait_loadcnt_dscnt 0x0
	s_barrier_signal -1
	s_barrier_wait -1
	global_inv scope:SCOPE_SE
	ds_load_b128 v[2:5], v178
	ds_load_b128 v[10:13], v167
	ds_load_b128 v[14:17], v167 offset:16
	ds_load_b128 v[18:21], v179
	s_wait_dscnt 0x2
	v_mul_f64_e32 v[6:7], v[12:13], v[4:5]
	v_mul_f64_e32 v[4:5], v[10:11], v[4:5]
	s_wait_dscnt 0x0
	v_mul_f64_e32 v[28:29], v[16:17], v[20:21]
	v_mul_f64_e32 v[30:31], v[14:15], v[20:21]
	s_delay_alu instid0(VALU_DEP_4) | instskip(NEXT) | instid1(VALU_DEP_4)
	v_fma_f64 v[6:7], v[10:11], v[2:3], -v[6:7]
	v_fma_f64 v[32:33], v[12:13], v[2:3], v[4:5]
	ds_load_b128 v[2:5], v179 offset:528
	ds_load_b128 v[10:13], v167 offset:32
	;; [unrolled: 1-line block ×4, first 2 shown]
	v_fma_f64 v[14:15], v[14:15], v[18:19], -v[28:29]
	v_fma_f64 v[16:17], v[16:17], v[18:19], v[30:31]
	s_wait_loadcnt_dscnt 0x0
	s_barrier_signal -1
	s_barrier_wait -1
	global_inv scope:SCOPE_SE
	v_mul_f64_e32 v[34:35], v[12:13], v[4:5]
	v_mul_f64_e32 v[4:5], v[10:11], v[4:5]
	;; [unrolled: 1-line block ×4, first 2 shown]
	v_add_f64_e32 v[6:7], 0, v[6:7]
	v_add_f64_e32 v[18:19], 0, v[32:33]
	v_fma_f64 v[10:11], v[10:11], v[2:3], -v[34:35]
	v_fma_f64 v[2:3], v[12:13], v[2:3], v[4:5]
	v_fma_f64 v[12:13], v[20:21], v[24:25], -v[28:29]
	v_add_f64_e32 v[4:5], v[6:7], v[14:15]
	v_add_f64_e32 v[6:7], v[18:19], v[16:17]
	v_fma_f64 v[14:15], v[22:23], v[24:25], v[26:27]
	s_delay_alu instid0(VALU_DEP_3) | instskip(NEXT) | instid1(VALU_DEP_3)
	v_add_f64_e32 v[4:5], v[4:5], v[10:11]
	v_add_f64_e32 v[2:3], v[6:7], v[2:3]
	v_mov_b32_e32 v6, 0
	v_mov_b32_e32 v7, 0
	s_delay_alu instid0(VALU_DEP_4) | instskip(NEXT) | instid1(VALU_DEP_4)
	v_add_f64_e32 v[10:11], v[4:5], v[12:13]
	v_add_f64_e32 v[12:13], v[2:3], v[14:15]
	v_mov_b32_e32 v4, 0
	v_mov_b32_e32 v5, 0
	ds_store_b128 v168, v[10:13]
	s_wait_loadcnt_dscnt 0x0
	s_barrier_signal -1
	s_barrier_wait -1
	global_inv scope:SCOPE_SE
	s_and_saveexec_b32 s23, s15
	s_cbranch_execz .LBB58_52
; %bb.51:                               ;   in Loop: Header=BB58_4 Depth=1
	ds_load_b128 v[2:5], v165
	ds_load_b128 v[10:13], v165 offset:16
	s_wait_dscnt 0x0
	v_add_f64_e32 v[6:7], v[10:11], v[2:3]
	v_add_f64_e32 v[14:15], v[12:13], v[4:5]
	ds_load_b128 v[2:5], v165 offset:32
	ds_load_b128 v[10:13], v165 offset:48
	s_wait_dscnt 0x1
	v_add_f64_e32 v[2:3], v[6:7], v[2:3]
	v_add_f64_e32 v[4:5], v[14:15], v[4:5]
	s_wait_dscnt 0x0
	s_delay_alu instid0(VALU_DEP_2) | instskip(NEXT) | instid1(VALU_DEP_2)
	v_add_f64_e32 v[6:7], v[2:3], v[10:11]
	v_add_f64_e32 v[14:15], v[4:5], v[12:13]
	ds_load_b128 v[2:5], v165 offset:64
	ds_load_b128 v[10:13], v165 offset:80
	s_wait_dscnt 0x1
	v_add_f64_e32 v[2:3], v[6:7], v[2:3]
	v_add_f64_e32 v[4:5], v[14:15], v[4:5]
	s_wait_dscnt 0x0
	s_delay_alu instid0(VALU_DEP_2) | instskip(NEXT) | instid1(VALU_DEP_2)
	;; [unrolled: 9-line block ×3, first 2 shown]
	v_add_f64_e32 v[4:5], v[2:3], v[10:11]
	v_add_f64_e32 v[6:7], v[6:7], v[12:13]
.LBB58_52:                              ;   in Loop: Header=BB58_4 Depth=1
	s_wait_alu 0xfffe
	s_or_b32 exec_lo, exec_lo, s23
	v_add_co_u32 v8, vcc_lo, v8, s68
	s_wait_alu 0xfffd
	v_add_co_ci_u32_e64 v9, null, s69, v9, vcc_lo
	s_mov_b32 s23, -1
	v_add_co_u32 v12, vcc_lo, 0x200, v8
	s_wait_alu 0xfffd
	v_add_co_ci_u32_e64 v13, null, 0, v9, vcc_lo
	s_and_not1_b32 vcc_lo, exec_lo, s80
	s_wait_loadcnt 0x0
	s_barrier_signal -1
	s_barrier_wait -1
	global_inv scope:SCOPE_SE
	s_wait_alu 0xfffe
	s_cbranch_vccnz .LBB58_54
; %bb.53:                               ;   in Loop: Header=BB58_4 Depth=1
	flat_load_b128 v[14:17], v[12:13]
	s_lshl_b64 s[76:77], s[50:51], 4
	s_mov_b32 s23, 0
	s_wait_alu 0xfffe
	v_add_co_u32 v2, vcc_lo, v8, s76
	s_wait_alu 0xfffd
	v_add_co_ci_u32_e64 v3, null, s77, v9, vcc_lo
	s_wait_loadcnt_dscnt 0x0
	ds_store_2addr_b64 v157, v[14:15], v[16:17] offset1:1
	flat_load_b128 v[14:17], v[2:3] offset:512
	v_add_co_u32 v2, vcc_lo, v2, s56
	s_wait_alu 0xfffd
	v_add_co_ci_u32_e64 v3, null, s57, v3, vcc_lo
	s_wait_loadcnt_dscnt 0x0
	ds_store_2addr_b64 v158, v[14:15], v[16:17] offset1:1
	flat_load_b128 v[14:17], v[2:3] offset:512
	;; [unrolled: 6-line block ×3, first 2 shown]
	s_wait_loadcnt_dscnt 0x0
	ds_store_2addr_b64 v160, v[14:15], v[16:17] offset1:1
.LBB58_54:                              ;   in Loop: Header=BB58_4 Depth=1
	s_and_not1_b32 vcc_lo, exec_lo, s23
	s_wait_alu 0xfffe
	s_cbranch_vccnz .LBB58_66
; %bb.55:                               ;   in Loop: Header=BB58_4 Depth=1
	s_and_saveexec_b32 s23, s17
	s_wait_alu 0xfffe
	s_xor_b32 s23, exec_lo, s23
; %bb.56:                               ;   in Loop: Header=BB58_4 Depth=1
	v_dual_mov_b32 v0, v1 :: v_dual_mov_b32 v3, v1
	v_mov_b32_e32 v2, v1
	ds_store_b128 v157, v[0:3]
; %bb.57:                               ;   in Loop: Header=BB58_4 Depth=1
	s_wait_alu 0xfffe
	s_or_saveexec_b32 s23, s23
	v_add_co_u32 v0, vcc_lo, v8, v144
	s_wait_alu 0xfffd
	v_add_co_ci_u32_e64 v2, null, v9, v145, vcc_lo
	s_lshl_b64 s[76:77], s[44:45], 4
	s_wait_alu 0xfffe
	v_add_co_u32 v0, vcc_lo, v0, s76
	s_wait_alu 0xfffd
	v_add_co_ci_u32_e64 v2, null, s77, v2, vcc_lo
	s_delay_alu instid0(VALU_DEP_2) | instskip(SKIP_1) | instid1(VALU_DEP_2)
	v_add_co_u32 v0, vcc_lo, v0, -16
	s_wait_alu 0xfffd
	v_add_co_ci_u32_e64 v2, null, -1, v2, vcc_lo
	s_delay_alu instid0(VALU_DEP_2) | instskip(NEXT) | instid1(VALU_DEP_2)
	v_cndmask_b32_e64 v8, v0, v12, s16
	v_cndmask_b32_e64 v9, v2, v13, s16
	s_xor_b32 exec_lo, exec_lo, s23
	s_cbranch_execnz .LBB58_125
; %bb.58:                               ;   in Loop: Header=BB58_4 Depth=1
	s_or_b32 exec_lo, exec_lo, s23
	s_and_saveexec_b32 s23, s18
	s_wait_alu 0xfffe
	s_xor_b32 s23, exec_lo, s23
	s_cbranch_execnz .LBB58_126
.LBB58_59:                              ;   in Loop: Header=BB58_4 Depth=1
	s_wait_alu 0xfffe
	s_and_not1_saveexec_b32 s23, s23
	s_cbranch_execnz .LBB58_127
.LBB58_60:                              ;   in Loop: Header=BB58_4 Depth=1
	s_wait_alu 0xfffe
	s_or_b32 exec_lo, exec_lo, s23
	s_and_saveexec_b32 s23, s19
	s_wait_alu 0xfffe
	s_xor_b32 s23, exec_lo, s23
	s_cbranch_execnz .LBB58_128
.LBB58_61:                              ;   in Loop: Header=BB58_4 Depth=1
	s_wait_alu 0xfffe
	s_and_not1_saveexec_b32 s23, s23
	s_cbranch_execnz .LBB58_129
.LBB58_62:                              ;   in Loop: Header=BB58_4 Depth=1
	s_wait_alu 0xfffe
	s_or_b32 exec_lo, exec_lo, s23
	s_and_saveexec_b32 s23, s20
	s_wait_alu 0xfffe
	s_xor_b32 s23, exec_lo, s23
	s_cbranch_execnz .LBB58_130
.LBB58_63:                              ;   in Loop: Header=BB58_4 Depth=1
	s_wait_alu 0xfffe
	s_and_not1_saveexec_b32 s23, s23
	s_cbranch_execz .LBB58_65
.LBB58_64:                              ;   in Loop: Header=BB58_4 Depth=1
	s_lshl_b64 s[76:77], s[54:55], 4
	s_wait_alu 0xfffe
	v_add_co_u32 v2, vcc_lo, v8, s76
	s_wait_alu 0xfffd
	v_add_co_ci_u32_e64 v3, null, s77, v9, vcc_lo
	flat_load_b128 v[14:17], v[2:3]
	s_wait_loadcnt_dscnt 0x0
	ds_store_2addr_b64 v160, v[14:15], v[16:17] offset1:1
.LBB58_65:                              ;   in Loop: Header=BB58_4 Depth=1
	s_wait_alu 0xfffe
	s_or_b32 exec_lo, exec_lo, s23
	v_add_co_u32 v0, vcc_lo, v8, v182
	s_wait_alu 0xfffd
	v_add_co_ci_u32_e64 v2, null, 0, v9, vcc_lo
	s_lshl_b64 s[76:77], s[58:59], 4
	s_wait_alu 0xfffe
	v_add_co_u32 v0, vcc_lo, v0, s76
	s_wait_alu 0xfffd
	v_add_co_ci_u32_e64 v2, null, s77, v2, vcc_lo
	s_delay_alu instid0(VALU_DEP_2) | instskip(SKIP_1) | instid1(VALU_DEP_2)
	v_add_co_u32 v0, vcc_lo, 0x210, v0
	s_wait_alu 0xfffd
	v_add_co_ci_u32_e64 v2, null, 0, v2, vcc_lo
	s_delay_alu instid0(VALU_DEP_2) | instskip(NEXT) | instid1(VALU_DEP_2)
	v_cndmask_b32_e64 v12, v0, v12, s16
	v_cndmask_b32_e64 v13, v2, v13, s16
.LBB58_66:                              ;   in Loop: Header=BB58_4 Depth=1
	s_mov_b32 s23, 0
	s_wait_loadcnt_dscnt 0x0
	s_barrier_signal -1
	s_barrier_wait -1
	global_inv scope:SCOPE_SE
	s_and_saveexec_b32 s76, s7
	s_wait_alu 0xfffe
	s_xor_b32 s76, exec_lo, s76
; %bb.67:                               ;   in Loop: Header=BB58_4 Depth=1
	s_and_b32 s23, s8, exec_lo
; %bb.68:                               ;   in Loop: Header=BB58_4 Depth=1
	s_wait_alu 0xfffe
	s_or_saveexec_b32 s76, s76
	v_mov_b32_e32 v10, 0
	v_dual_mov_b32 v11, 0 :: v_dual_mov_b32 v0, v161
	s_wait_alu 0xfffe
	s_xor_b32 exec_lo, exec_lo, s76
	s_cbranch_execz .LBB58_70
; %bb.69:                               ;   in Loop: Header=BB58_4 Depth=1
	ds_load_b128 v[8:11], v178
	v_mov_b32_e32 v0, v162
	s_or_b32 s23, s23, exec_lo
	s_wait_dscnt 0x0
	v_xor_b32_e32 v11, 0x80000000, v11
	ds_store_b64 v162, v[8:9]
.LBB58_70:                              ;   in Loop: Header=BB58_4 Depth=1
	s_or_b32 exec_lo, exec_lo, s76
	s_wait_alu 0xfffe
	s_and_saveexec_b32 s76, s23
; %bb.71:                               ;   in Loop: Header=BB58_4 Depth=1
	ds_store_b64 v0, v[10:11] offset:8
; %bb.72:                               ;   in Loop: Header=BB58_4 Depth=1
	s_wait_alu 0xfffe
	s_or_b32 exec_lo, exec_lo, s76
	s_mov_b32 s23, 0
	s_and_saveexec_b32 s76, s9
	s_wait_alu 0xfffe
	s_xor_b32 s76, exec_lo, s76
; %bb.73:                               ;   in Loop: Header=BB58_4 Depth=1
	s_and_b32 s23, s10, exec_lo
; %bb.74:                               ;   in Loop: Header=BB58_4 Depth=1
	s_wait_alu 0xfffe
	s_or_saveexec_b32 s76, s76
	v_mov_b32_e32 v10, 0
	v_dual_mov_b32 v11, 0 :: v_dual_mov_b32 v0, v161
	s_wait_alu 0xfffe
	s_xor_b32 exec_lo, exec_lo, s76
	s_cbranch_execz .LBB58_76
; %bb.75:                               ;   in Loop: Header=BB58_4 Depth=1
	ds_load_b128 v[8:11], v179
	v_mov_b32_e32 v0, v163
	s_or_b32 s23, s23, exec_lo
	s_wait_dscnt 0x0
	v_xor_b32_e32 v11, 0x80000000, v11
	ds_store_b64 v163, v[8:9]
.LBB58_76:                              ;   in Loop: Header=BB58_4 Depth=1
	s_or_b32 exec_lo, exec_lo, s76
	s_wait_alu 0xfffe
	s_and_saveexec_b32 s76, s23
; %bb.77:                               ;   in Loop: Header=BB58_4 Depth=1
	ds_store_b64 v0, v[10:11] offset:8
; %bb.78:                               ;   in Loop: Header=BB58_4 Depth=1
	s_wait_alu 0xfffe
	s_or_b32 exec_lo, exec_lo, s76
	s_mov_b32 s23, 0
	s_and_saveexec_b32 s76, s11
	s_wait_alu 0xfffe
	s_xor_b32 s76, exec_lo, s76
; %bb.79:                               ;   in Loop: Header=BB58_4 Depth=1
	s_and_b32 s23, s12, exec_lo
; %bb.80:                               ;   in Loop: Header=BB58_4 Depth=1
	s_wait_alu 0xfffe
	s_or_saveexec_b32 s76, s76
	v_mov_b32_e32 v10, 0
	v_dual_mov_b32 v11, 0 :: v_dual_mov_b32 v0, v161
	s_wait_alu 0xfffe
	s_xor_b32 exec_lo, exec_lo, s76
	s_cbranch_execz .LBB58_82
; %bb.81:                               ;   in Loop: Header=BB58_4 Depth=1
	ds_load_b128 v[8:11], v179 offset:528
	v_mov_b32_e32 v0, v164
	s_or_b32 s23, s23, exec_lo
	s_wait_dscnt 0x0
	v_xor_b32_e32 v11, 0x80000000, v11
	ds_store_b64 v164, v[8:9]
.LBB58_82:                              ;   in Loop: Header=BB58_4 Depth=1
	s_or_b32 exec_lo, exec_lo, s76
	s_wait_alu 0xfffe
	s_and_saveexec_b32 s76, s23
; %bb.83:                               ;   in Loop: Header=BB58_4 Depth=1
	ds_store_b64 v0, v[10:11] offset:8
; %bb.84:                               ;   in Loop: Header=BB58_4 Depth=1
	s_wait_alu 0xfffe
	s_or_b32 exec_lo, exec_lo, s76
	s_mov_b32 s23, 0
	s_and_saveexec_b32 s76, s13
	s_wait_alu 0xfffe
	s_xor_b32 s76, exec_lo, s76
; %bb.85:                               ;   in Loop: Header=BB58_4 Depth=1
	s_and_b32 s23, s14, exec_lo
; %bb.86:                               ;   in Loop: Header=BB58_4 Depth=1
	s_wait_alu 0xfffe
	s_or_saveexec_b32 s76, s76
	v_mov_b32_e32 v10, 0
	v_dual_mov_b32 v11, 0 :: v_dual_mov_b32 v0, v161
	s_wait_alu 0xfffe
	s_xor_b32 exec_lo, exec_lo, s76
	s_cbranch_execz .LBB58_88
; %bb.87:                               ;   in Loop: Header=BB58_4 Depth=1
	ds_load_b128 v[8:11], v179 offset:1056
	v_mov_b32_e32 v0, v166
	s_or_b32 s23, s23, exec_lo
	s_wait_dscnt 0x0
	v_xor_b32_e32 v11, 0x80000000, v11
	ds_store_b64 v166, v[8:9]
.LBB58_88:                              ;   in Loop: Header=BB58_4 Depth=1
	s_or_b32 exec_lo, exec_lo, s76
	s_wait_alu 0xfffe
	s_and_saveexec_b32 s76, s23
; %bb.89:                               ;   in Loop: Header=BB58_4 Depth=1
	ds_store_b64 v0, v[10:11] offset:8
; %bb.90:                               ;   in Loop: Header=BB58_4 Depth=1
	s_wait_alu 0xfffe
	s_or_b32 exec_lo, exec_lo, s76
	s_wait_loadcnt_dscnt 0x0
	s_barrier_signal -1
	s_barrier_wait -1
	global_inv scope:SCOPE_SE
	ds_load_b128 v[8:11], v178
	ds_load_b128 v[14:17], v167 offset:512
	ds_load_b128 v[18:21], v167 offset:528
	ds_load_b128 v[22:25], v179
	s_wait_dscnt 0x2
	v_mul_f64_e32 v[2:3], v[16:17], v[10:11]
	v_mul_f64_e32 v[10:11], v[14:15], v[10:11]
	s_wait_dscnt 0x0
	v_mul_f64_e32 v[32:33], v[20:21], v[24:25]
	v_mul_f64_e32 v[34:35], v[18:19], v[24:25]
	s_delay_alu instid0(VALU_DEP_4) | instskip(NEXT) | instid1(VALU_DEP_4)
	v_fma_f64 v[2:3], v[14:15], v[8:9], -v[2:3]
	v_fma_f64 v[36:37], v[16:17], v[8:9], v[10:11]
	ds_load_b128 v[8:11], v179 offset:528
	ds_load_b128 v[14:17], v167 offset:544
	;; [unrolled: 1-line block ×4, first 2 shown]
	v_fma_f64 v[18:19], v[18:19], v[22:23], -v[32:33]
	v_fma_f64 v[20:21], v[20:21], v[22:23], v[34:35]
	s_wait_loadcnt_dscnt 0x0
	s_barrier_signal -1
	s_barrier_wait -1
	global_inv scope:SCOPE_SE
	v_mul_f64_e32 v[38:39], v[16:17], v[10:11]
	v_mul_f64_e32 v[10:11], v[14:15], v[10:11]
	v_mul_f64_e32 v[32:33], v[26:27], v[30:31]
	v_mul_f64_e32 v[30:31], v[24:25], v[30:31]
	v_add_f64_e32 v[2:3], 0, v[2:3]
	v_add_f64_e32 v[22:23], 0, v[36:37]
	v_fma_f64 v[14:15], v[14:15], v[8:9], -v[38:39]
	v_fma_f64 v[8:9], v[16:17], v[8:9], v[10:11]
	v_fma_f64 v[16:17], v[24:25], v[28:29], -v[32:33]
	v_add_f64_e32 v[2:3], v[2:3], v[18:19]
	v_add_f64_e32 v[10:11], v[22:23], v[20:21]
	v_fma_f64 v[18:19], v[26:27], v[28:29], v[30:31]
	s_delay_alu instid0(VALU_DEP_3) | instskip(NEXT) | instid1(VALU_DEP_3)
	v_add_f64_e32 v[2:3], v[2:3], v[14:15]
	v_add_f64_e32 v[10:11], v[10:11], v[8:9]
	s_delay_alu instid0(VALU_DEP_2) | instskip(NEXT) | instid1(VALU_DEP_2)
	v_add_f64_e32 v[8:9], v[2:3], v[16:17]
	v_add_f64_e32 v[10:11], v[10:11], v[18:19]
	ds_store_b128 v168, v[8:11]
	s_wait_loadcnt_dscnt 0x0
	s_barrier_signal -1
	s_barrier_wait -1
	global_inv scope:SCOPE_SE
	s_and_saveexec_b32 s23, s21
	s_cbranch_execz .LBB58_92
; %bb.91:                               ;   in Loop: Header=BB58_4 Depth=1
	ds_load_b128 v[2:5], v165
	ds_load_b128 v[6:9], v165 offset:16
	s_wait_dscnt 0x0
	v_add_f64_e32 v[10:11], v[6:7], v[2:3]
	v_add_f64_e32 v[14:15], v[8:9], v[4:5]
	ds_load_b128 v[2:5], v165 offset:32
	ds_load_b128 v[6:9], v165 offset:48
	s_wait_dscnt 0x1
	v_add_f64_e32 v[2:3], v[10:11], v[2:3]
	v_add_f64_e32 v[4:5], v[14:15], v[4:5]
	s_wait_dscnt 0x0
	s_delay_alu instid0(VALU_DEP_2) | instskip(NEXT) | instid1(VALU_DEP_2)
	v_add_f64_e32 v[10:11], v[2:3], v[6:7]
	v_add_f64_e32 v[14:15], v[4:5], v[8:9]
	ds_load_b128 v[2:5], v165 offset:64
	ds_load_b128 v[6:9], v165 offset:80
	s_wait_dscnt 0x1
	v_add_f64_e32 v[2:3], v[10:11], v[2:3]
	v_add_f64_e32 v[4:5], v[14:15], v[4:5]
	s_wait_dscnt 0x0
	s_delay_alu instid0(VALU_DEP_2) | instskip(NEXT) | instid1(VALU_DEP_2)
	v_add_f64_e32 v[10:11], v[2:3], v[6:7]
	v_add_f64_e32 v[14:15], v[4:5], v[8:9]
	ds_load_b128 v[2:5], v165 offset:96
	ds_load_b128 v[6:9], v165 offset:112
	s_wait_dscnt 0x1
	v_add_f64_e32 v[2:3], v[10:11], v[2:3]
	v_add_f64_e32 v[10:11], v[14:15], v[4:5]
	s_wait_dscnt 0x0
	s_delay_alu instid0(VALU_DEP_2) | instskip(NEXT) | instid1(VALU_DEP_2)
	v_add_f64_e32 v[4:5], v[2:3], v[6:7]
	v_add_f64_e32 v[6:7], v[10:11], v[8:9]
.LBB58_92:                              ;   in Loop: Header=BB58_4 Depth=1
	s_wait_alu 0xfffe
	s_or_b32 exec_lo, exec_lo, s23
	v_add_co_u32 v42, vcc_lo, v12, s70
	s_wait_alu 0xfffd
	v_add_co_ci_u32_e64 v43, null, s71, v13, vcc_lo
	s_and_not1_b32 vcc_lo, exec_lo, s80
	s_mov_b32 s23, -1
	s_wait_loadcnt 0x0
	s_barrier_signal -1
	s_barrier_wait -1
	global_inv scope:SCOPE_SE
	s_wait_alu 0xfffe
	s_cbranch_vccnz .LBB58_94
; %bb.93:                               ;   in Loop: Header=BB58_4 Depth=1
	flat_load_b128 v[8:11], v[42:43]
	s_lshl_b64 s[76:77], s[50:51], 4
	s_mov_b32 s23, 0
	s_wait_alu 0xfffe
	v_add_co_u32 v2, vcc_lo, v42, s76
	s_wait_alu 0xfffd
	v_add_co_ci_u32_e64 v3, null, s77, v43, vcc_lo
	s_wait_loadcnt_dscnt 0x0
	ds_store_2addr_b64 v157, v[8:9], v[10:11] offset1:1
	flat_load_b128 v[8:11], v[2:3]
	v_add_co_u32 v2, vcc_lo, v2, s56
	s_wait_alu 0xfffd
	v_add_co_ci_u32_e64 v3, null, s57, v3, vcc_lo
	s_wait_loadcnt_dscnt 0x0
	ds_store_2addr_b64 v158, v[8:9], v[10:11] offset1:1
	flat_load_b128 v[8:11], v[2:3]
	;; [unrolled: 6-line block ×3, first 2 shown]
	s_wait_loadcnt_dscnt 0x0
	ds_store_2addr_b64 v160, v[8:9], v[10:11] offset1:1
.LBB58_94:                              ;   in Loop: Header=BB58_4 Depth=1
	s_and_not1_b32 vcc_lo, exec_lo, s23
	s_wait_alu 0xfffe
	s_cbranch_vccnz .LBB58_106
; %bb.95:                               ;   in Loop: Header=BB58_4 Depth=1
	s_and_saveexec_b32 s23, s3
	s_wait_alu 0xfffe
	s_xor_b32 s23, exec_lo, s23
; %bb.96:                               ;   in Loop: Header=BB58_4 Depth=1
	v_dual_mov_b32 v0, v1 :: v_dual_mov_b32 v3, v1
	v_mov_b32_e32 v2, v1
	ds_store_b128 v157, v[0:3]
; %bb.97:                               ;   in Loop: Header=BB58_4 Depth=1
	s_wait_alu 0xfffe
	s_or_saveexec_b32 s23, s23
	v_add_co_u32 v0, vcc_lo, v42, v144
	s_wait_alu 0xfffd
	v_add_co_ci_u32_e64 v2, null, v43, v145, vcc_lo
	s_lshl_b64 s[76:77], s[44:45], 4
	s_wait_alu 0xfffe
	v_add_co_u32 v0, vcc_lo, v0, s76
	s_wait_alu 0xfffd
	v_add_co_ci_u32_e64 v2, null, s77, v2, vcc_lo
	s_delay_alu instid0(VALU_DEP_2) | instskip(SKIP_1) | instid1(VALU_DEP_2)
	v_add_co_u32 v0, vcc_lo, 0xfffffdf0, v0
	s_wait_alu 0xfffd
	v_add_co_ci_u32_e64 v2, null, -1, v2, vcc_lo
	s_delay_alu instid0(VALU_DEP_2) | instskip(NEXT) | instid1(VALU_DEP_2)
	v_cndmask_b32_e64 v8, v0, v42, s16
	v_cndmask_b32_e64 v9, v2, v43, s16
	s_xor_b32 exec_lo, exec_lo, s23
	s_cbranch_execnz .LBB58_131
; %bb.98:                               ;   in Loop: Header=BB58_4 Depth=1
	s_or_b32 exec_lo, exec_lo, s23
	s_and_saveexec_b32 s23, s4
	s_wait_alu 0xfffe
	s_xor_b32 s23, exec_lo, s23
	s_cbranch_execnz .LBB58_132
.LBB58_99:                              ;   in Loop: Header=BB58_4 Depth=1
	s_wait_alu 0xfffe
	s_and_not1_saveexec_b32 s23, s23
	s_cbranch_execnz .LBB58_133
.LBB58_100:                             ;   in Loop: Header=BB58_4 Depth=1
	s_wait_alu 0xfffe
	s_or_b32 exec_lo, exec_lo, s23
	s_and_saveexec_b32 s23, s5
	s_wait_alu 0xfffe
	s_xor_b32 s23, exec_lo, s23
	s_cbranch_execnz .LBB58_134
.LBB58_101:                             ;   in Loop: Header=BB58_4 Depth=1
	s_wait_alu 0xfffe
	s_and_not1_saveexec_b32 s23, s23
	s_cbranch_execnz .LBB58_135
.LBB58_102:                             ;   in Loop: Header=BB58_4 Depth=1
	s_wait_alu 0xfffe
	s_or_b32 exec_lo, exec_lo, s23
	s_and_saveexec_b32 s23, s6
	s_wait_alu 0xfffe
	s_xor_b32 s23, exec_lo, s23
	s_cbranch_execnz .LBB58_136
.LBB58_103:                             ;   in Loop: Header=BB58_4 Depth=1
	s_wait_alu 0xfffe
	s_and_not1_saveexec_b32 s23, s23
	s_cbranch_execz .LBB58_105
.LBB58_104:                             ;   in Loop: Header=BB58_4 Depth=1
	s_lshl_b64 s[76:77], s[54:55], 4
	s_wait_alu 0xfffe
	v_add_co_u32 v2, vcc_lo, v8, s76
	s_wait_alu 0xfffd
	v_add_co_ci_u32_e64 v3, null, s77, v9, vcc_lo
	flat_load_b128 v[10:13], v[2:3]
	s_wait_loadcnt_dscnt 0x0
	ds_store_2addr_b64 v160, v[10:11], v[12:13] offset1:1
.LBB58_105:                             ;   in Loop: Header=BB58_4 Depth=1
	s_wait_alu 0xfffe
	s_or_b32 exec_lo, exec_lo, s23
	v_add_co_u32 v0, vcc_lo, v8, v182
	s_wait_alu 0xfffd
	v_add_co_ci_u32_e64 v2, null, 0, v9, vcc_lo
	s_lshl_b64 s[76:77], s[58:59], 4
	s_wait_alu 0xfffe
	v_add_co_u32 v0, vcc_lo, v0, s76
	s_wait_alu 0xfffd
	v_add_co_ci_u32_e64 v2, null, s77, v2, vcc_lo
	s_delay_alu instid0(VALU_DEP_2) | instskip(SKIP_1) | instid1(VALU_DEP_2)
	v_add_co_u32 v0, vcc_lo, 0x210, v0
	s_wait_alu 0xfffd
	v_add_co_ci_u32_e64 v2, null, 0, v2, vcc_lo
	s_delay_alu instid0(VALU_DEP_2) | instskip(NEXT) | instid1(VALU_DEP_2)
	v_cndmask_b32_e64 v42, v0, v42, s16
	v_cndmask_b32_e64 v43, v2, v43, s16
.LBB58_106:                             ;   in Loop: Header=BB58_4 Depth=1
	s_wait_loadcnt_dscnt 0x0
	s_barrier_signal -1
	s_barrier_wait -1
	global_inv scope:SCOPE_SE
	ds_load_b128 v[8:11], v180
	ds_load_b128 v[12:15], v157
	;; [unrolled: 1-line block ×3, first 2 shown]
	ds_load_b128 v[20:23], v177 offset:384
	ds_load_b128 v[24:27], v177 offset:128
	;; [unrolled: 1-line block ×3, first 2 shown]
	s_wait_dscnt 0x4
	v_mul_f64_e32 v[2:3], v[10:11], v[14:15]
	v_mul_f64_e32 v[14:15], v[8:9], v[14:15]
	s_wait_dscnt 0x1
	v_mul_f64_e32 v[32:33], v[26:27], v[18:19]
	v_mul_f64_e32 v[18:19], v[24:25], v[18:19]
	s_delay_alu instid0(VALU_DEP_4) | instskip(NEXT) | instid1(VALU_DEP_4)
	v_fma_f64 v[2:3], v[8:9], v[12:13], -v[2:3]
	v_fma_f64 v[34:35], v[10:11], v[12:13], v[14:15]
	ds_load_b128 v[8:11], v159
	ds_load_b128 v[12:15], v160
	v_fma_f64 v[24:25], v[24:25], v[16:17], -v[32:33]
	v_fma_f64 v[16:17], v[26:27], v[16:17], v[18:19]
	s_wait_dscnt 0x1
	v_mul_f64_e32 v[36:37], v[30:31], v[10:11]
	v_mul_f64_e32 v[10:11], v[28:29], v[10:11]
	s_wait_dscnt 0x0
	v_mul_f64_e32 v[26:27], v[22:23], v[14:15]
	v_mul_f64_e32 v[14:15], v[20:21], v[14:15]
	v_add_f64_e32 v[2:3], 0, v[2:3]
	v_add_f64_e32 v[18:19], 0, v[34:35]
	v_fma_f64 v[28:29], v[28:29], v[8:9], -v[36:37]
	v_fma_f64 v[8:9], v[30:31], v[8:9], v[10:11]
	s_delay_alu instid0(VALU_DEP_4) | instskip(NEXT) | instid1(VALU_DEP_4)
	v_add_f64_e32 v[2:3], v[2:3], v[24:25]
	v_add_f64_e32 v[10:11], v[18:19], v[16:17]
	v_fma_f64 v[16:17], v[20:21], v[12:13], -v[26:27]
	v_fma_f64 v[12:13], v[22:23], v[12:13], v[14:15]
	s_delay_alu instid0(VALU_DEP_4) | instskip(NEXT) | instid1(VALU_DEP_4)
	v_add_f64_e32 v[2:3], v[2:3], v[28:29]
	v_add_f64_e32 v[8:9], v[10:11], v[8:9]
	s_delay_alu instid0(VALU_DEP_2) | instskip(NEXT) | instid1(VALU_DEP_2)
	v_add_f64_e32 v[44:45], v[2:3], v[16:17]
	v_add_f64_e32 v[46:47], v[8:9], v[12:13]
	ds_load_b128 v[32:35], v169
	ds_load_b128 v[24:27], v169 offset:16
	ds_load_b128 v[12:15], v169 offset:32
	ds_load_b128 v[8:11], v169 offset:48
	ds_load_b128 v[36:39], v167 offset:512
	ds_load_b128 v[28:31], v167 offset:528
	ds_load_b128 v[20:23], v167 offset:544
	ds_load_b128 v[16:19], v167 offset:560
	s_wait_loadcnt_dscnt 0x0
	s_barrier_signal -1
	s_barrier_wait -1
	global_inv scope:SCOPE_SE
	ds_store_b128 v168, v[44:47]
	s_wait_loadcnt_dscnt 0x0
	s_barrier_signal -1
	s_barrier_wait -1
	global_inv scope:SCOPE_SE
	s_and_saveexec_b32 s23, s21
	s_cbranch_execz .LBB58_108
; %bb.107:                              ;   in Loop: Header=BB58_4 Depth=1
	ds_load_b128 v[44:47], v165
	ds_load_b128 v[48:51], v165 offset:16
	s_wait_dscnt 0x1
	v_add_f64_e32 v[2:3], v[4:5], v[44:45]
	v_add_f64_e32 v[4:5], v[6:7], v[46:47]
	s_wait_dscnt 0x0
	s_delay_alu instid0(VALU_DEP_2) | instskip(NEXT) | instid1(VALU_DEP_2)
	v_add_f64_e32 v[6:7], v[2:3], v[48:49]
	v_add_f64_e32 v[48:49], v[4:5], v[50:51]
	ds_load_b128 v[2:5], v165 offset:32
	ds_load_b128 v[44:47], v165 offset:48
	s_wait_dscnt 0x1
	v_add_f64_e32 v[2:3], v[6:7], v[2:3]
	v_add_f64_e32 v[4:5], v[48:49], v[4:5]
	s_wait_dscnt 0x0
	s_delay_alu instid0(VALU_DEP_2) | instskip(NEXT) | instid1(VALU_DEP_2)
	v_add_f64_e32 v[6:7], v[2:3], v[44:45]
	v_add_f64_e32 v[48:49], v[4:5], v[46:47]
	ds_load_b128 v[2:5], v165 offset:64
	;; [unrolled: 9-line block ×3, first 2 shown]
	ds_load_b128 v[44:47], v165 offset:112
	s_wait_dscnt 0x1
	v_add_f64_e32 v[2:3], v[6:7], v[2:3]
	v_add_f64_e32 v[6:7], v[48:49], v[4:5]
	s_wait_dscnt 0x0
	s_delay_alu instid0(VALU_DEP_2) | instskip(NEXT) | instid1(VALU_DEP_2)
	v_add_f64_e32 v[4:5], v[2:3], v[44:45]
	v_add_f64_e32 v[6:7], v[6:7], v[46:47]
.LBB58_108:                             ;   in Loop: Header=BB58_4 Depth=1
	s_wait_alu 0xfffe
	s_or_b32 exec_lo, exec_lo, s23
	v_mul_f64_e32 v[2:3], v[34:35], v[38:39]
	v_mul_f64_e32 v[34:35], v[34:35], v[36:37]
	;; [unrolled: 1-line block ×4, first 2 shown]
	s_wait_loadcnt 0x0
	s_barrier_signal -1
	s_barrier_wait -1
	global_inv scope:SCOPE_SE
	v_fma_f64 v[2:3], v[32:33], v[36:37], v[2:3]
	v_fma_f64 v[32:33], v[32:33], v[38:39], -v[34:35]
	v_mul_f64_e32 v[34:35], v[14:15], v[22:23]
	v_mul_f64_e32 v[14:15], v[14:15], v[20:21]
	v_fma_f64 v[28:29], v[24:25], v[28:29], v[44:45]
	v_fma_f64 v[24:25], v[24:25], v[30:31], -v[26:27]
	v_mul_f64_e32 v[30:31], v[10:11], v[18:19]
	v_mul_f64_e32 v[10:11], v[10:11], v[16:17]
	v_add_f64_e32 v[2:3], 0, v[2:3]
	v_add_f64_e32 v[26:27], 0, v[32:33]
	v_fma_f64 v[20:21], v[12:13], v[20:21], v[34:35]
	v_fma_f64 v[12:13], v[12:13], v[22:23], -v[14:15]
	v_fma_f64 v[16:17], v[8:9], v[16:17], v[30:31]
	v_fma_f64 v[10:11], v[8:9], v[18:19], -v[10:11]
	v_add_f64_e32 v[2:3], v[2:3], v[28:29]
	v_add_f64_e32 v[14:15], v[26:27], v[24:25]
	s_delay_alu instid0(VALU_DEP_2) | instskip(NEXT) | instid1(VALU_DEP_2)
	v_add_f64_e32 v[2:3], v[2:3], v[20:21]
	v_add_f64_e32 v[12:13], v[14:15], v[12:13]
	s_delay_alu instid0(VALU_DEP_2) | instskip(NEXT) | instid1(VALU_DEP_2)
	v_add_f64_e32 v[8:9], v[2:3], v[16:17]
	v_add_f64_e32 v[10:11], v[12:13], v[10:11]
	ds_store_b128 v168, v[8:11]
	s_wait_loadcnt_dscnt 0x0
	s_barrier_signal -1
	s_barrier_wait -1
	global_inv scope:SCOPE_SE
	s_and_saveexec_b32 s23, s15
	s_cbranch_execz .LBB58_110
; %bb.109:                              ;   in Loop: Header=BB58_4 Depth=1
	ds_load_b128 v[8:11], v165
	ds_load_b128 v[12:15], v165 offset:16
	s_wait_dscnt 0x1
	v_add_f64_e32 v[2:3], v[4:5], v[8:9]
	v_add_f64_e32 v[4:5], v[6:7], v[10:11]
	s_wait_dscnt 0x0
	s_delay_alu instid0(VALU_DEP_2) | instskip(NEXT) | instid1(VALU_DEP_2)
	v_add_f64_e32 v[10:11], v[2:3], v[12:13]
	v_add_f64_e32 v[12:13], v[4:5], v[14:15]
	ds_load_b128 v[2:5], v165 offset:32
	ds_load_b128 v[6:9], v165 offset:48
	s_wait_dscnt 0x1
	v_add_f64_e32 v[2:3], v[10:11], v[2:3]
	v_add_f64_e32 v[4:5], v[12:13], v[4:5]
	s_wait_dscnt 0x0
	s_delay_alu instid0(VALU_DEP_2) | instskip(NEXT) | instid1(VALU_DEP_2)
	v_add_f64_e32 v[10:11], v[2:3], v[6:7]
	v_add_f64_e32 v[12:13], v[4:5], v[8:9]
	ds_load_b128 v[2:5], v165 offset:64
	;; [unrolled: 9-line block ×3, first 2 shown]
	ds_load_b128 v[6:9], v165 offset:112
	s_wait_dscnt 0x1
	v_add_f64_e32 v[2:3], v[10:11], v[2:3]
	v_add_f64_e32 v[10:11], v[12:13], v[4:5]
	s_wait_dscnt 0x0
	s_delay_alu instid0(VALU_DEP_2) | instskip(NEXT) | instid1(VALU_DEP_2)
	v_add_f64_e32 v[4:5], v[2:3], v[6:7]
	v_add_f64_e32 v[6:7], v[10:11], v[8:9]
.LBB58_110:                             ;   in Loop: Header=BB58_4 Depth=1
	s_wait_alu 0xfffe
	s_or_b32 exec_lo, exec_lo, s23
	s_mul_u64 s[76:77], s[46:47], s[34:35]
	s_and_not1_b32 vcc_lo, exec_lo, s81
	s_wait_alu 0xfffe
	s_lshl_b64 s[76:77], s[76:77], 4
	s_wait_loadcnt 0x0
	s_wait_alu 0xfffe
	s_add_nc_u64 s[76:77], s[48:49], s[76:77]
	s_barrier_signal -1
	s_barrier_wait -1
	global_inv scope:SCOPE_SE
	s_cbranch_vccnz .LBB58_117
; %bb.111:                              ;   in Loop: Header=BB58_4 Depth=1
	v_add_co_u32 v0, vcc_lo, v42, s74
	s_wait_alu 0xfffd
	v_add_co_ci_u32_e64 v2, null, s75, v43, vcc_lo
	s_lshl_b64 s[78:79], s[44:45], 4
	v_add_co_u32 v0, vcc_lo, v0, v146
	s_wait_alu 0xfffd
	v_add_co_ci_u32_e64 v2, null, v2, v147, vcc_lo
	s_mov_b32 s23, ttmp9
	v_add_co_u32 v0, vcc_lo, v0, v148
	s_wait_alu 0xfffd
	v_add_co_ci_u32_e64 v2, null, v2, v149, vcc_lo
	s_delay_alu instid0(VALU_DEP_2) | instskip(SKIP_1) | instid1(VALU_DEP_2)
	v_add_co_u32 v3, vcc_lo, v0, v150
	s_wait_alu 0xfffd
	v_add_co_ci_u32_e64 v8, null, v2, v151, vcc_lo
	s_wait_alu 0xfffe
	s_delay_alu instid0(VALU_DEP_2) | instskip(SKIP_1) | instid1(VALU_DEP_2)
	v_add_co_u32 v3, vcc_lo, v3, s78
	s_wait_alu 0xfffd
	v_add_co_ci_u32_e64 v8, null, s79, v8, vcc_lo
	v_add_co_u32 v0, vcc_lo, 0xfffffe00, v0
	s_wait_alu 0xfffd
	v_add_co_ci_u32_e64 v2, null, -1, v2, vcc_lo
	v_add_co_u32 v9, vcc_lo, 0xfffffdf0, v3
	s_wait_alu 0xfffd
	v_add_co_ci_u32_e64 v3, null, -1, v8, vcc_lo
	v_add_co_u32 v183, vcc_lo, v40, s72
	s_wait_alu 0xfffd
	v_add_co_ci_u32_e64 v184, null, s73, v41, vcc_lo
	s_delay_alu instid0(VALU_DEP_3)
	v_cndmask_b32_e64 v3, v2, v3, s1
	v_cndmask_b32_e64 v2, v0, v9, s1
	v_mov_b32_e32 v0, v154
	s_mov_b32 s78, 0
	s_branch .LBB58_113
.LBB58_112:                             ;   in Loop: Header=BB58_113 Depth=2
	s_wait_alu 0xfffe
	s_or_b32 exec_lo, exec_lo, s79
	v_mul_f64_e32 v[112:113], v[18:19], v[26:27]
	v_mul_f64_e32 v[26:27], v[16:17], v[26:27]
	;; [unrolled: 1-line block ×4, first 2 shown]
	v_add_co_u32 v2, vcc_lo, v2, s62
	v_add_nc_u32_e32 v0, 64, v0
	s_wait_alu 0xfffd
	v_add_co_ci_u32_e64 v3, null, s63, v3, vcc_lo
	s_add_co_i32 s23, s23, -1
	s_add_co_i32 s78, s78, s82
	s_wait_alu 0xfffe
	s_cmp_eq_u32 s23, 0
	s_wait_loadcnt 0x0
	s_wait_storecnt 0x0
	s_barrier_signal -1
	s_barrier_wait -1
	global_inv scope:SCOPE_SE
	v_fma_f64 v[16:17], v[16:17], v[24:25], -v[112:113]
	v_fma_f64 v[18:19], v[18:19], v[24:25], v[26:27]
	v_mul_f64_e32 v[24:25], v[14:15], v[38:39]
	v_mul_f64_e32 v[26:27], v[12:13], v[38:39]
	v_fma_f64 v[20:21], v[20:21], v[40:41], -v[114:115]
	v_fma_f64 v[22:23], v[22:23], v[40:41], v[42:43]
	v_add_f64_e32 v[4:5], v[4:5], v[16:17]
	v_add_f64_e32 v[6:7], v[6:7], v[18:19]
	v_mul_f64_e32 v[16:17], v[10:11], v[34:35]
	v_mul_f64_e32 v[18:19], v[8:9], v[34:35]
	v_fma_f64 v[12:13], v[12:13], v[36:37], -v[24:25]
	v_fma_f64 v[14:15], v[14:15], v[36:37], v[26:27]
	v_add_f64_e32 v[4:5], v[4:5], v[20:21]
	v_add_f64_e32 v[6:7], v[6:7], v[22:23]
	;; [unrolled: 6-line block ×14, first 2 shown]
	v_fma_f64 v[8:9], v[124:125], v[128:129], -v[8:9]
	v_fma_f64 v[10:11], v[126:127], v[128:129], v[10:11]
	s_delay_alu instid0(VALU_DEP_4) | instskip(NEXT) | instid1(VALU_DEP_4)
	v_add_f64_e32 v[4:5], v[4:5], v[12:13]
	v_add_f64_e32 v[6:7], v[6:7], v[14:15]
	s_delay_alu instid0(VALU_DEP_2) | instskip(NEXT) | instid1(VALU_DEP_2)
	v_add_f64_e32 v[4:5], v[4:5], v[8:9]
	v_add_f64_e32 v[6:7], v[6:7], v[10:11]
	s_cbranch_scc1 .LBB58_117
.LBB58_113:                             ;   Parent Loop BB58_4 Depth=1
                                        ; =>  This Inner Loop Header: Depth=2
	s_and_saveexec_b32 s84, s0
	s_cbranch_execz .LBB58_115
; %bb.114:                              ;   in Loop: Header=BB58_113 Depth=2
	s_wait_alu 0xfffe
	s_ashr_i32 s79, s78, 31
	s_wait_alu 0xfffe
	s_lshl_b64 s[86:87], s[78:79], 4
	s_wait_alu 0xfffe
	v_add_co_u32 v8, vcc_lo, v183, s86
	s_wait_alu 0xfffd
	v_add_co_ci_u32_e64 v9, null, s87, v184, vcc_lo
	flat_load_b128 v[8:11], v[8:9]
	s_wait_loadcnt_dscnt 0x0
	ds_store_2addr_b64 v170, v[8:9], v[10:11] offset1:1
.LBB58_115:                             ;   in Loop: Header=BB58_113 Depth=2
	s_or_b32 exec_lo, exec_lo, s84
	v_add_co_u32 v8, vcc_lo, v2, s60
	s_wait_alu 0xfffd
	v_add_co_ci_u32_e64 v9, null, s61, v3, vcc_lo
	s_wait_loadcnt_dscnt 0x0
	s_delay_alu instid0(VALU_DEP_2) | instskip(SKIP_1) | instid1(VALU_DEP_2)
	v_add_co_u32 v10, vcc_lo, v8, s60
	s_wait_alu 0xfffd
	v_add_co_ci_u32_e64 v11, null, s61, v9, vcc_lo
	s_barrier_signal -1
	s_barrier_wait -1
	global_inv scope:SCOPE_SE
	flat_load_b128 v[16:19], v[2:3]
	v_add_co_u32 v2, vcc_lo, v10, s60
	s_wait_alu 0xfffd
	v_add_co_ci_u32_e64 v3, null, s61, v11, vcc_lo
	s_clause 0x2
	flat_load_b128 v[20:23], v[8:9]
	flat_load_b128 v[12:15], v[10:11]
	;; [unrolled: 1-line block ×3, first 2 shown]
	ds_load_b128 v[28:31], v156
	ds_load_b128 v[24:27], v171
	v_add_co_u32 v2, vcc_lo, v2, s62
	s_wait_alu 0xfffd
	v_add_co_ci_u32_e64 v3, null, s63, v3, vcc_lo
	s_wait_loadcnt_dscnt 0x301
	v_mul_f64_e32 v[32:33], v[18:19], v[30:31]
	v_mul_f64_e32 v[34:35], v[18:19], v[28:29]
	s_wait_loadcnt 0x2
	v_mul_f64_e32 v[36:37], v[22:23], v[30:31]
	v_mul_f64_e32 v[38:39], v[22:23], v[28:29]
	s_wait_loadcnt 0x1
	;; [unrolled: 3-line block ×3, first 2 shown]
	v_mul_f64_e32 v[56:57], v[10:11], v[30:31]
	v_mul_f64_e32 v[58:59], v[10:11], v[28:29]
	v_fma_f64 v[44:45], v[16:17], v[28:29], v[32:33]
	v_fma_f64 v[46:47], v[16:17], v[30:31], -v[34:35]
	v_fma_f64 v[48:49], v[20:21], v[28:29], v[36:37]
	v_fma_f64 v[50:51], v[20:21], v[30:31], -v[38:39]
	v_fma_f64 v[52:53], v[12:13], v[28:29], v[40:41]
	v_fma_f64 v[54:55], v[12:13], v[30:31], -v[42:43]
	v_fma_f64 v[28:29], v[8:9], v[28:29], v[56:57]
	v_fma_f64 v[30:31], v[8:9], v[30:31], -v[58:59]
	v_add_co_u32 v56, vcc_lo, v2, s60
	s_wait_alu 0xfffd
	v_add_co_ci_u32_e64 v57, null, s61, v3, vcc_lo
	ds_load_b128 v[40:43], v171 offset:16
	ds_load_b128 v[36:39], v171 offset:32
	v_add_co_u32 v58, vcc_lo, v56, s60
	s_wait_alu 0xfffd
	v_add_co_ci_u32_e64 v59, null, s61, v57, vcc_lo
	ds_load_b128 v[32:35], v171 offset:48
	ds_store_b128 v172, v[44:47]
	ds_store_b128 v172, v[48:51] offset:1072
	ds_store_b128 v172, v[52:55] offset:2144
	;; [unrolled: 1-line block ×3, first 2 shown]
	s_wait_dscnt 0x0
	s_barrier_signal -1
	s_barrier_wait -1
	global_inv scope:SCOPE_SE
	ds_load_b128 v[80:83], v173
	ds_load_b128 v[84:87], v173 offset:16
	ds_load_b128 v[88:91], v173 offset:32
	;; [unrolled: 1-line block ×3, first 2 shown]
	s_wait_loadcnt_dscnt 0x0
	s_barrier_signal -1
	s_barrier_wait -1
	global_inv scope:SCOPE_SE
	flat_load_b128 v[28:31], v[2:3]
	v_add_co_u32 v2, vcc_lo, v58, s60
	s_wait_alu 0xfffd
	v_add_co_ci_u32_e64 v3, null, s61, v59, vcc_lo
	s_clause 0x2
	flat_load_b128 v[52:55], v[56:57]
	flat_load_b128 v[48:51], v[58:59]
	;; [unrolled: 1-line block ×3, first 2 shown]
	ds_load_b128 v[60:63], v156
	ds_load_b128 v[56:59], v171 offset:256
	v_add_co_u32 v2, vcc_lo, v2, s62
	s_wait_alu 0xfffd
	v_add_co_ci_u32_e64 v3, null, s63, v3, vcc_lo
	v_add_f64_e32 v[80:81], 0, v[80:81]
	v_add_f64_e32 v[82:83], 0, v[82:83]
	s_delay_alu instid0(VALU_DEP_2) | instskip(NEXT) | instid1(VALU_DEP_2)
	v_add_f64_e32 v[80:81], v[80:81], v[84:85]
	v_add_f64_e32 v[82:83], v[82:83], v[86:87]
	s_delay_alu instid0(VALU_DEP_2) | instskip(NEXT) | instid1(VALU_DEP_2)
	;; [unrolled: 3-line block ×3, first 2 shown]
	v_add_f64_e32 v[112:113], v[80:81], v[92:93]
	v_add_f64_e32 v[114:115], v[82:83], v[94:95]
	s_wait_loadcnt_dscnt 0x301
	v_mul_f64_e32 v[64:65], v[30:31], v[62:63]
	v_mul_f64_e32 v[66:67], v[30:31], v[60:61]
	s_wait_loadcnt 0x2
	v_mul_f64_e32 v[68:69], v[54:55], v[62:63]
	v_mul_f64_e32 v[70:71], v[54:55], v[60:61]
	s_wait_loadcnt 0x1
	;; [unrolled: 3-line block ×3, first 2 shown]
	v_mul_f64_e32 v[104:105], v[46:47], v[62:63]
	v_mul_f64_e32 v[106:107], v[46:47], v[60:61]
	v_fma_f64 v[76:77], v[28:29], v[60:61], v[64:65]
	v_fma_f64 v[78:79], v[28:29], v[62:63], -v[66:67]
	v_fma_f64 v[96:97], v[52:53], v[60:61], v[68:69]
	v_fma_f64 v[98:99], v[52:53], v[62:63], -v[70:71]
	;; [unrolled: 2-line block ×4, first 2 shown]
	ds_load_b128 v[72:75], v171 offset:272
	ds_load_b128 v[68:71], v171 offset:288
	;; [unrolled: 1-line block ×3, first 2 shown]
	ds_store_b128 v172, v[76:79]
	ds_store_b128 v172, v[96:99] offset:1072
	ds_store_b128 v172, v[100:103] offset:2144
	;; [unrolled: 1-line block ×3, first 2 shown]
	s_wait_dscnt 0x0
	s_barrier_signal -1
	s_barrier_wait -1
	global_inv scope:SCOPE_SE
	ds_load_b128 v[96:99], v173
	ds_load_b128 v[100:103], v173 offset:16
	ds_load_b128 v[104:107], v173 offset:32
	;; [unrolled: 1-line block ×3, first 2 shown]
	s_wait_loadcnt_dscnt 0x0
	s_barrier_signal -1
	s_barrier_wait -1
	global_inv scope:SCOPE_SE
	flat_load_b128 v[60:63], v[2:3]
	v_add_co_u32 v2, vcc_lo, v2, s60
	s_wait_alu 0xfffd
	v_add_co_ci_u32_e64 v3, null, s61, v3, vcc_lo
	ds_load_b128 v[116:119], v156
	ds_load_b128 v[80:83], v171 offset:512
	flat_load_b128 v[76:79], v[2:3]
	v_add_co_u32 v2, vcc_lo, v2, s60
	s_wait_alu 0xfffd
	v_add_co_ci_u32_e64 v3, null, s61, v3, vcc_lo
	s_delay_alu instid0(VALU_DEP_2) | instskip(SKIP_1) | instid1(VALU_DEP_2)
	v_add_co_u32 v128, vcc_lo, v2, s60
	s_wait_alu 0xfffd
	v_add_co_ci_u32_e64 v129, null, s61, v3, vcc_lo
	s_wait_loadcnt_dscnt 0x102
	v_mul_f64_e32 v[84:85], v[62:63], v[118:119]
	v_mul_f64_e32 v[86:87], v[62:63], v[116:117]
	s_wait_loadcnt_dscnt 0x0
	v_mul_f64_e32 v[88:89], v[78:79], v[118:119]
	s_delay_alu instid0(VALU_DEP_3) | instskip(SKIP_1) | instid1(VALU_DEP_4)
	v_fma_f64 v[92:93], v[60:61], v[116:117], v[84:85]
	v_mul_f64_e32 v[84:85], v[78:79], v[116:117]
	v_fma_f64 v[94:95], v[60:61], v[118:119], -v[86:87]
	s_delay_alu instid0(VALU_DEP_4) | instskip(NEXT) | instid1(VALU_DEP_3)
	v_fma_f64 v[120:121], v[76:77], v[116:117], v[88:89]
	v_fma_f64 v[122:123], v[76:77], v[118:119], -v[84:85]
	flat_load_b128 v[84:87], v[2:3]
	ds_store_b128 v172, v[92:95]
	s_wait_loadcnt_dscnt 0x1
	v_mul_f64_e32 v[88:89], v[86:87], v[116:117]
	v_mul_f64_e32 v[2:3], v[86:87], v[118:119]
	s_delay_alu instid0(VALU_DEP_2)
	v_fma_f64 v[126:127], v[84:85], v[118:119], -v[88:89]
	flat_load_b128 v[88:91], v[128:129]
	v_fma_f64 v[124:125], v[84:85], v[116:117], v[2:3]
	ds_store_b128 v172, v[120:123] offset:1072
	ds_store_b128 v172, v[124:127] offset:2144
	s_wait_loadcnt_dscnt 0x2
	v_mul_f64_e32 v[2:3], v[90:91], v[118:119]
	v_mul_f64_e32 v[130:131], v[90:91], v[116:117]
	s_delay_alu instid0(VALU_DEP_2) | instskip(SKIP_2) | instid1(VALU_DEP_4)
	v_fma_f64 v[116:117], v[88:89], v[116:117], v[2:3]
	v_add_f64_e32 v[2:3], 0, v[96:97]
	v_add_f64_e32 v[96:97], 0, v[98:99]
	v_fma_f64 v[118:119], v[88:89], v[118:119], -v[130:131]
	s_delay_alu instid0(VALU_DEP_3) | instskip(NEXT) | instid1(VALU_DEP_3)
	v_add_f64_e32 v[2:3], v[2:3], v[100:101]
	v_add_f64_e32 v[96:97], v[96:97], v[102:103]
	s_delay_alu instid0(VALU_DEP_2) | instskip(NEXT) | instid1(VALU_DEP_2)
	v_add_f64_e32 v[2:3], v[2:3], v[104:105]
	v_add_f64_e32 v[96:97], v[96:97], v[106:107]
	s_delay_alu instid0(VALU_DEP_2) | instskip(SKIP_3) | instid1(VALU_DEP_4)
	v_add_f64_e32 v[185:186], v[2:3], v[108:109]
	v_add_co_u32 v2, vcc_lo, v128, s62
	s_wait_alu 0xfffd
	v_add_co_ci_u32_e64 v3, null, s63, v129, vcc_lo
	v_add_f64_e32 v[187:188], v[96:97], v[110:111]
	ds_load_b128 v[108:111], v171 offset:528
	ds_load_b128 v[104:107], v171 offset:544
	ds_store_b128 v172, v[116:119] offset:3216
	ds_load_b128 v[100:103], v171 offset:560
	s_wait_dscnt 0x0
	s_barrier_signal -1
	s_barrier_wait -1
	global_inv scope:SCOPE_SE
	ds_load_b128 v[128:131], v173
	ds_load_b128 v[132:135], v173 offset:16
	ds_load_b128 v[136:139], v173 offset:32
	;; [unrolled: 1-line block ×3, first 2 shown]
	s_wait_loadcnt_dscnt 0x0
	s_barrier_signal -1
	s_barrier_wait -1
	global_inv scope:SCOPE_SE
	flat_load_b128 v[92:95], v[2:3]
	ds_load_b128 v[193:196], v156
	ds_load_b128 v[96:99], v171 offset:768
	v_add_co_u32 v201, vcc_lo, v2, s60
	s_wait_alu 0xfffd
	v_add_co_ci_u32_e64 v202, null, s61, v3, vcc_lo
	s_delay_alu instid0(VALU_DEP_2) | instskip(SKIP_1) | instid1(VALU_DEP_2)
	v_add_co_u32 v120, vcc_lo, v201, s60
	s_wait_alu 0xfffd
	v_add_co_ci_u32_e64 v121, null, s61, v202, vcc_lo
	v_add_f64_e32 v[128:129], 0, v[128:129]
	v_add_f64_e32 v[130:131], 0, v[130:131]
	s_delay_alu instid0(VALU_DEP_2) | instskip(NEXT) | instid1(VALU_DEP_2)
	v_add_f64_e32 v[128:129], v[128:129], v[132:133]
	v_add_f64_e32 v[130:131], v[130:131], v[134:135]
	s_delay_alu instid0(VALU_DEP_2) | instskip(NEXT) | instid1(VALU_DEP_2)
	;; [unrolled: 3-line block ×3, first 2 shown]
	v_add_f64_e32 v[189:190], v[128:129], v[189:190]
	v_add_f64_e32 v[191:192], v[130:131], v[191:192]
	s_wait_loadcnt_dscnt 0x1
	v_mul_f64_e32 v[116:117], v[94:95], v[193:194]
	v_mul_f64_e32 v[2:3], v[94:95], v[195:196]
	s_delay_alu instid0(VALU_DEP_2)
	v_fma_f64 v[199:200], v[92:93], v[195:196], -v[116:117]
	flat_load_b128 v[116:119], v[201:202]
	v_fma_f64 v[197:198], v[92:93], v[193:194], v[2:3]
	s_wait_loadcnt_dscnt 0x0
	v_mul_f64_e32 v[2:3], v[118:119], v[195:196]
	v_mul_f64_e32 v[122:123], v[118:119], v[193:194]
	s_delay_alu instid0(VALU_DEP_2) | instskip(SKIP_1) | instid1(VALU_DEP_3)
	v_fma_f64 v[201:202], v[116:117], v[193:194], v[2:3]
	v_add_co_u32 v2, vcc_lo, v120, s60
	v_fma_f64 v[203:204], v[116:117], v[195:196], -v[122:123]
	s_wait_alu 0xfffd
	v_add_co_ci_u32_e64 v3, null, s61, v121, vcc_lo
	flat_load_b128 v[120:123], v[120:121]
	s_wait_loadcnt_dscnt 0x0
	v_mul_f64_e32 v[124:125], v[122:123], v[195:196]
	v_mul_f64_e32 v[126:127], v[122:123], v[193:194]
	s_delay_alu instid0(VALU_DEP_2) | instskip(NEXT) | instid1(VALU_DEP_2)
	v_fma_f64 v[205:206], v[120:121], v[193:194], v[124:125]
	v_fma_f64 v[207:208], v[120:121], v[195:196], -v[126:127]
	flat_load_b128 v[124:127], v[2:3]
	s_wait_loadcnt_dscnt 0x0
	v_mul_f64_e32 v[209:210], v[126:127], v[195:196]
	v_mul_f64_e32 v[211:212], v[126:127], v[193:194]
	s_delay_alu instid0(VALU_DEP_2) | instskip(NEXT) | instid1(VALU_DEP_2)
	v_fma_f64 v[193:194], v[124:125], v[193:194], v[209:210]
	v_fma_f64 v[195:196], v[124:125], v[195:196], -v[211:212]
	ds_store_b128 v172, v[197:200]
	ds_store_b128 v172, v[201:204] offset:1072
	ds_store_b128 v172, v[205:208] offset:2144
	;; [unrolled: 1-line block ×3, first 2 shown]
	ds_load_b128 v[136:139], v171 offset:784
	ds_load_b128 v[132:135], v171 offset:800
	;; [unrolled: 1-line block ×3, first 2 shown]
	s_wait_dscnt 0x0
	s_barrier_signal -1
	s_barrier_wait -1
	global_inv scope:SCOPE_SE
	ds_load_b128 v[193:196], v173
	ds_load_b128 v[197:200], v173 offset:16
	s_wait_dscnt 0x1
	v_add_f64_e32 v[193:194], 0, v[193:194]
	v_add_f64_e32 v[195:196], 0, v[195:196]
	s_wait_dscnt 0x0
	s_delay_alu instid0(VALU_DEP_2) | instskip(NEXT) | instid1(VALU_DEP_2)
	v_add_f64_e32 v[201:202], v[193:194], v[197:198]
	v_add_f64_e32 v[203:204], v[195:196], v[199:200]
	ds_load_b128 v[193:196], v173 offset:32
	ds_load_b128 v[197:200], v173 offset:48
	s_wait_loadcnt_dscnt 0x0
	s_barrier_signal -1
	s_barrier_wait -1
	global_inv scope:SCOPE_SE
	v_add_f64_e32 v[193:194], v[201:202], v[193:194]
	v_add_f64_e32 v[195:196], v[203:204], v[195:196]
	s_delay_alu instid0(VALU_DEP_2) | instskip(NEXT) | instid1(VALU_DEP_2)
	v_add_f64_e32 v[193:194], v[193:194], v[197:198]
	v_add_f64_e32 v[195:196], v[195:196], v[199:200]
	ds_store_b128 v181, v[112:115]
	ds_store_b128 v181, v[185:188] offset:256
	ds_store_b128 v181, v[189:192] offset:512
	;; [unrolled: 1-line block ×3, first 2 shown]
	s_wait_loadcnt_dscnt 0x0
	s_barrier_signal -1
	s_barrier_wait -1
	global_inv scope:SCOPE_SE
	s_and_saveexec_b32 s79, s22
	s_cbranch_execz .LBB58_112
; %bb.116:                              ;   in Loop: Header=BB58_113 Depth=2
	ds_load_b128 v[112:115], v174
	ds_load_b128 v[185:188], v174 offset:16
	s_wait_dscnt 0x0
	v_add_f64_e32 v[189:190], v[185:186], v[112:113]
	v_add_f64_e32 v[191:192], v[187:188], v[114:115]
	ds_load_b128 v[112:115], v174 offset:32
	ds_load_b128 v[185:188], v174 offset:48
	s_wait_dscnt 0x1
	v_add_f64_e32 v[112:113], v[189:190], v[112:113]
	v_add_f64_e32 v[114:115], v[191:192], v[114:115]
	s_wait_dscnt 0x0
	s_delay_alu instid0(VALU_DEP_2) | instskip(NEXT) | instid1(VALU_DEP_2)
	v_add_f64_e32 v[189:190], v[112:113], v[185:186]
	v_add_f64_e32 v[191:192], v[114:115], v[187:188]
	ds_load_b128 v[112:115], v174 offset:64
	ds_load_b128 v[185:188], v174 offset:80
	s_wait_dscnt 0x1
	v_add_f64_e32 v[112:113], v[189:190], v[112:113]
	v_add_f64_e32 v[114:115], v[191:192], v[114:115]
	s_wait_dscnt 0x0
	s_delay_alu instid0(VALU_DEP_2) | instskip(NEXT) | instid1(VALU_DEP_2)
	v_add_f64_e32 v[189:190], v[112:113], v[185:186]
	v_add_f64_e32 v[191:192], v[114:115], v[187:188]
	ds_load_b128 v[112:115], v174 offset:96
	ds_load_b128 v[185:188], v174 offset:112
	s_wait_dscnt 0x1
	v_add_f64_e32 v[112:113], v[189:190], v[112:113]
	v_add_f64_e32 v[114:115], v[191:192], v[114:115]
	s_wait_dscnt 0x0
	s_delay_alu instid0(VALU_DEP_2) | instskip(NEXT) | instid1(VALU_DEP_2)
	v_add_f64_e32 v[189:190], v[112:113], v[185:186]
	v_add_f64_e32 v[191:192], v[114:115], v[187:188]
	ds_load_b128 v[112:115], v174 offset:128
	ds_load_b128 v[185:188], v174 offset:144
	s_wait_dscnt 0x1
	v_add_f64_e32 v[112:113], v[189:190], v[112:113]
	v_add_f64_e32 v[114:115], v[191:192], v[114:115]
	s_wait_dscnt 0x0
	s_delay_alu instid0(VALU_DEP_2) | instskip(NEXT) | instid1(VALU_DEP_2)
	v_add_f64_e32 v[189:190], v[112:113], v[185:186]
	v_add_f64_e32 v[191:192], v[114:115], v[187:188]
	ds_load_b128 v[112:115], v174 offset:160
	ds_load_b128 v[185:188], v174 offset:176
	s_wait_dscnt 0x1
	v_add_f64_e32 v[112:113], v[189:190], v[112:113]
	v_add_f64_e32 v[114:115], v[191:192], v[114:115]
	s_wait_dscnt 0x0
	s_delay_alu instid0(VALU_DEP_2) | instskip(NEXT) | instid1(VALU_DEP_2)
	v_add_f64_e32 v[189:190], v[112:113], v[185:186]
	v_add_f64_e32 v[191:192], v[114:115], v[187:188]
	ds_load_b128 v[112:115], v174 offset:192
	ds_load_b128 v[185:188], v174 offset:208
	s_wait_dscnt 0x1
	v_add_f64_e32 v[112:113], v[189:190], v[112:113]
	v_add_f64_e32 v[114:115], v[191:192], v[114:115]
	s_wait_dscnt 0x0
	s_delay_alu instid0(VALU_DEP_2) | instskip(NEXT) | instid1(VALU_DEP_2)
	v_add_f64_e32 v[189:190], v[112:113], v[185:186]
	v_add_f64_e32 v[191:192], v[114:115], v[187:188]
	ds_load_b128 v[112:115], v174 offset:224
	ds_load_b128 v[185:188], v175
	s_wait_dscnt 0x1
	v_add_f64_e32 v[112:113], v[189:190], v[112:113]
	v_add_f64_e32 v[114:115], v[191:192], v[114:115]
	s_wait_dscnt 0x0
	s_delay_alu instid0(VALU_DEP_2) | instskip(NEXT) | instid1(VALU_DEP_2)
	v_add_f64_e32 v[112:113], v[112:113], v[185:186]
	v_add_f64_e32 v[114:115], v[114:115], v[187:188]
	v_lshlrev_b64_e32 v[185:186], 4, v[0:1]
	s_wait_alu 0xfffe
	s_delay_alu instid0(VALU_DEP_1) | instskip(SKIP_1) | instid1(VALU_DEP_2)
	v_add_co_u32 v185, vcc_lo, s76, v185
	s_wait_alu 0xfffd
	v_add_co_ci_u32_e64 v186, null, s77, v186, vcc_lo
	global_store_b128 v[185:186], v[112:115], off
	s_branch .LBB58_112
.LBB58_117:                             ;   in Loop: Header=BB58_4 Depth=1
	ds_store_b128 v176, v[4:7]
	s_wait_loadcnt_dscnt 0x0
	s_barrier_signal -1
	s_barrier_wait -1
	global_inv scope:SCOPE_SE
	s_and_saveexec_b32 s23, s83
	s_cbranch_execz .LBB58_2
; %bb.118:                              ;   in Loop: Header=BB58_4 Depth=1
	ds_load_b128 v[2:5], v155 offset:1072
	ds_load_b128 v[6:9], v155
	s_wait_dscnt 0x0
	v_add_f64_e32 v[10:11], v[2:3], v[6:7]
	v_add_f64_e32 v[12:13], v[4:5], v[8:9]
	ds_load_b128 v[2:5], v155 offset:2144
	ds_load_b128 v[6:9], v155 offset:3216
	s_wait_dscnt 0x1
	v_add_f64_e32 v[2:3], v[10:11], v[2:3]
	v_add_f64_e32 v[4:5], v[12:13], v[4:5]
	s_wait_dscnt 0x0
	s_delay_alu instid0(VALU_DEP_2) | instskip(NEXT) | instid1(VALU_DEP_2)
	v_add_f64_e32 v[2:3], v[2:3], v[6:7]
	v_add_f64_e32 v[4:5], v[4:5], v[8:9]
	s_wait_alu 0xfffe
	v_add_co_u32 v6, vcc_lo, s76, v152
	s_wait_alu 0xfffd
	v_add_co_ci_u32_e64 v7, null, s77, v153, vcc_lo
	global_store_b128 v[6:7], v[2:5], off
	s_branch .LBB58_2
.LBB58_119:                             ;   in Loop: Header=BB58_4 Depth=1
	flat_load_b128 v[10:13], v[4:5]
	s_wait_loadcnt_dscnt 0x0
	ds_store_2addr_b64 v157, v[10:11], v[12:13] offset1:1
	s_or_b32 exec_lo, exec_lo, s23
	s_and_saveexec_b32 s23, s4
	s_wait_alu 0xfffe
	s_xor_b32 s23, exec_lo, s23
	s_cbranch_execz .LBB58_19
.LBB58_120:                             ;   in Loop: Header=BB58_4 Depth=1
	v_dual_mov_b32 v0, v1 :: v_dual_mov_b32 v3, v1
	v_mov_b32_e32 v2, v1
	ds_store_b128 v158, v[0:3]
	s_wait_alu 0xfffe
	s_and_not1_saveexec_b32 s23, s23
	s_cbranch_execz .LBB58_20
.LBB58_121:                             ;   in Loop: Header=BB58_4 Depth=1
	s_lshl_b64 s[76:77], s[50:51], 4
	s_wait_alu 0xfffe
	v_add_co_u32 v2, vcc_lo, v4, s76
	s_wait_alu 0xfffd
	v_add_co_ci_u32_e64 v3, null, s77, v5, vcc_lo
	flat_load_b128 v[10:13], v[2:3]
	s_wait_loadcnt_dscnt 0x0
	ds_store_2addr_b64 v158, v[10:11], v[12:13] offset1:1
	s_or_b32 exec_lo, exec_lo, s23
	s_and_saveexec_b32 s23, s5
	s_wait_alu 0xfffe
	s_xor_b32 s23, exec_lo, s23
	s_cbranch_execz .LBB58_21
.LBB58_122:                             ;   in Loop: Header=BB58_4 Depth=1
	v_dual_mov_b32 v0, v1 :: v_dual_mov_b32 v3, v1
	v_mov_b32_e32 v2, v1
	ds_store_b128 v159, v[0:3]
	s_wait_alu 0xfffe
	s_and_not1_saveexec_b32 s23, s23
	s_cbranch_execz .LBB58_22
.LBB58_123:                             ;   in Loop: Header=BB58_4 Depth=1
	s_lshl_b64 s[76:77], s[52:53], 4
	s_wait_alu 0xfffe
	v_add_co_u32 v2, vcc_lo, v4, s76
	s_wait_alu 0xfffd
	v_add_co_ci_u32_e64 v3, null, s77, v5, vcc_lo
	flat_load_b128 v[10:13], v[2:3]
	s_wait_loadcnt_dscnt 0x0
	ds_store_2addr_b64 v159, v[10:11], v[12:13] offset1:1
	s_or_b32 exec_lo, exec_lo, s23
	s_and_saveexec_b32 s23, s6
	s_wait_alu 0xfffe
	s_xor_b32 s23, exec_lo, s23
	s_cbranch_execz .LBB58_23
.LBB58_124:                             ;   in Loop: Header=BB58_4 Depth=1
	v_dual_mov_b32 v0, v1 :: v_dual_mov_b32 v3, v1
	v_mov_b32_e32 v2, v1
	ds_store_b128 v160, v[0:3]
	s_wait_alu 0xfffe
	s_and_not1_saveexec_b32 s23, s23
	s_cbranch_execnz .LBB58_24
	s_branch .LBB58_25
.LBB58_125:                             ;   in Loop: Header=BB58_4 Depth=1
	flat_load_b128 v[14:17], v[8:9]
	s_wait_loadcnt_dscnt 0x0
	ds_store_2addr_b64 v157, v[14:15], v[16:17] offset1:1
	s_or_b32 exec_lo, exec_lo, s23
	s_and_saveexec_b32 s23, s18
	s_wait_alu 0xfffe
	s_xor_b32 s23, exec_lo, s23
	s_cbranch_execz .LBB58_59
.LBB58_126:                             ;   in Loop: Header=BB58_4 Depth=1
	v_dual_mov_b32 v0, v1 :: v_dual_mov_b32 v3, v1
	v_mov_b32_e32 v2, v1
	ds_store_b128 v158, v[0:3]
	s_wait_alu 0xfffe
	s_and_not1_saveexec_b32 s23, s23
	s_cbranch_execz .LBB58_60
.LBB58_127:                             ;   in Loop: Header=BB58_4 Depth=1
	s_lshl_b64 s[76:77], s[50:51], 4
	s_wait_alu 0xfffe
	v_add_co_u32 v2, vcc_lo, v8, s76
	s_wait_alu 0xfffd
	v_add_co_ci_u32_e64 v3, null, s77, v9, vcc_lo
	flat_load_b128 v[14:17], v[2:3]
	s_wait_loadcnt_dscnt 0x0
	ds_store_2addr_b64 v158, v[14:15], v[16:17] offset1:1
	s_or_b32 exec_lo, exec_lo, s23
	s_and_saveexec_b32 s23, s19
	s_wait_alu 0xfffe
	s_xor_b32 s23, exec_lo, s23
	s_cbranch_execz .LBB58_61
.LBB58_128:                             ;   in Loop: Header=BB58_4 Depth=1
	v_dual_mov_b32 v0, v1 :: v_dual_mov_b32 v3, v1
	v_mov_b32_e32 v2, v1
	ds_store_b128 v159, v[0:3]
	s_wait_alu 0xfffe
	s_and_not1_saveexec_b32 s23, s23
	s_cbranch_execz .LBB58_62
.LBB58_129:                             ;   in Loop: Header=BB58_4 Depth=1
	s_lshl_b64 s[76:77], s[52:53], 4
	s_wait_alu 0xfffe
	v_add_co_u32 v2, vcc_lo, v8, s76
	s_wait_alu 0xfffd
	v_add_co_ci_u32_e64 v3, null, s77, v9, vcc_lo
	flat_load_b128 v[14:17], v[2:3]
	s_wait_loadcnt_dscnt 0x0
	ds_store_2addr_b64 v159, v[14:15], v[16:17] offset1:1
	s_or_b32 exec_lo, exec_lo, s23
	s_and_saveexec_b32 s23, s20
	s_wait_alu 0xfffe
	s_xor_b32 s23, exec_lo, s23
	s_cbranch_execz .LBB58_63
.LBB58_130:                             ;   in Loop: Header=BB58_4 Depth=1
	v_dual_mov_b32 v0, v1 :: v_dual_mov_b32 v3, v1
	v_mov_b32_e32 v2, v1
	ds_store_b128 v160, v[0:3]
	s_wait_alu 0xfffe
	s_and_not1_saveexec_b32 s23, s23
	s_cbranch_execnz .LBB58_64
	s_branch .LBB58_65
.LBB58_131:                             ;   in Loop: Header=BB58_4 Depth=1
	flat_load_b128 v[10:13], v[8:9]
	s_wait_loadcnt_dscnt 0x0
	ds_store_2addr_b64 v157, v[10:11], v[12:13] offset1:1
	s_or_b32 exec_lo, exec_lo, s23
	s_and_saveexec_b32 s23, s4
	s_wait_alu 0xfffe
	s_xor_b32 s23, exec_lo, s23
	s_cbranch_execz .LBB58_99
.LBB58_132:                             ;   in Loop: Header=BB58_4 Depth=1
	v_dual_mov_b32 v0, v1 :: v_dual_mov_b32 v3, v1
	v_mov_b32_e32 v2, v1
	ds_store_b128 v158, v[0:3]
	s_wait_alu 0xfffe
	s_and_not1_saveexec_b32 s23, s23
	s_cbranch_execz .LBB58_100
.LBB58_133:                             ;   in Loop: Header=BB58_4 Depth=1
	s_lshl_b64 s[76:77], s[50:51], 4
	s_wait_alu 0xfffe
	v_add_co_u32 v2, vcc_lo, v8, s76
	s_wait_alu 0xfffd
	v_add_co_ci_u32_e64 v3, null, s77, v9, vcc_lo
	flat_load_b128 v[10:13], v[2:3]
	s_wait_loadcnt_dscnt 0x0
	ds_store_2addr_b64 v158, v[10:11], v[12:13] offset1:1
	s_or_b32 exec_lo, exec_lo, s23
	s_and_saveexec_b32 s23, s5
	s_wait_alu 0xfffe
	s_xor_b32 s23, exec_lo, s23
	s_cbranch_execz .LBB58_101
.LBB58_134:                             ;   in Loop: Header=BB58_4 Depth=1
	v_dual_mov_b32 v0, v1 :: v_dual_mov_b32 v3, v1
	v_mov_b32_e32 v2, v1
	ds_store_b128 v159, v[0:3]
	s_wait_alu 0xfffe
	s_and_not1_saveexec_b32 s23, s23
	s_cbranch_execz .LBB58_102
.LBB58_135:                             ;   in Loop: Header=BB58_4 Depth=1
	s_lshl_b64 s[76:77], s[52:53], 4
	s_wait_alu 0xfffe
	v_add_co_u32 v2, vcc_lo, v8, s76
	s_wait_alu 0xfffd
	v_add_co_ci_u32_e64 v3, null, s77, v9, vcc_lo
	flat_load_b128 v[10:13], v[2:3]
	s_wait_loadcnt_dscnt 0x0
	ds_store_2addr_b64 v159, v[10:11], v[12:13] offset1:1
	s_or_b32 exec_lo, exec_lo, s23
	s_and_saveexec_b32 s23, s6
	s_wait_alu 0xfffe
	s_xor_b32 s23, exec_lo, s23
	s_cbranch_execz .LBB58_103
.LBB58_136:                             ;   in Loop: Header=BB58_4 Depth=1
	v_dual_mov_b32 v0, v1 :: v_dual_mov_b32 v3, v1
	v_mov_b32_e32 v2, v1
	ds_store_b128 v160, v[0:3]
	s_wait_alu 0xfffe
	s_and_not1_saveexec_b32 s23, s23
	s_cbranch_execnz .LBB58_104
	s_branch .LBB58_105
.LBB58_137:
	s_nop 0
	s_sendmsg sendmsg(MSG_DEALLOC_VGPRS)
	s_endpgm
	.section	.rodata,"a",@progbits
	.p2align	6, 0x0
	.amdhsa_kernel _ZL26rocblas_hemvn_kernel_lowerILb1ELi64ELi4ELi33ELi32ELi16EiPK19rocblas_complex_numIdEPKS3_PS1_EviT6_lT7_lT5_lS8_lS9_lS7_lT8_i
		.amdhsa_group_segment_fixed_size 19200
		.amdhsa_private_segment_fixed_size 0
		.amdhsa_kernarg_size 376
		.amdhsa_user_sgpr_count 2
		.amdhsa_user_sgpr_dispatch_ptr 0
		.amdhsa_user_sgpr_queue_ptr 0
		.amdhsa_user_sgpr_kernarg_segment_ptr 1
		.amdhsa_user_sgpr_dispatch_id 0
		.amdhsa_user_sgpr_private_segment_size 0
		.amdhsa_wavefront_size32 1
		.amdhsa_uses_dynamic_stack 0
		.amdhsa_enable_private_segment 0
		.amdhsa_system_sgpr_workgroup_id_x 1
		.amdhsa_system_sgpr_workgroup_id_y 0
		.amdhsa_system_sgpr_workgroup_id_z 1
		.amdhsa_system_sgpr_workgroup_info 0
		.amdhsa_system_vgpr_workitem_id 1
		.amdhsa_next_free_vgpr 213
		.amdhsa_next_free_sgpr 88
		.amdhsa_reserve_vcc 1
		.amdhsa_float_round_mode_32 0
		.amdhsa_float_round_mode_16_64 0
		.amdhsa_float_denorm_mode_32 3
		.amdhsa_float_denorm_mode_16_64 3
		.amdhsa_fp16_overflow 0
		.amdhsa_workgroup_processor_mode 1
		.amdhsa_memory_ordered 1
		.amdhsa_forward_progress 1
		.amdhsa_inst_pref_size 83
		.amdhsa_round_robin_scheduling 0
		.amdhsa_exception_fp_ieee_invalid_op 0
		.amdhsa_exception_fp_denorm_src 0
		.amdhsa_exception_fp_ieee_div_zero 0
		.amdhsa_exception_fp_ieee_overflow 0
		.amdhsa_exception_fp_ieee_underflow 0
		.amdhsa_exception_fp_ieee_inexact 0
		.amdhsa_exception_int_div_zero 0
	.end_amdhsa_kernel
	.section	.text._ZL26rocblas_hemvn_kernel_lowerILb1ELi64ELi4ELi33ELi32ELi16EiPK19rocblas_complex_numIdEPKS3_PS1_EviT6_lT7_lT5_lS8_lS9_lS7_lT8_i,"axG",@progbits,_ZL26rocblas_hemvn_kernel_lowerILb1ELi64ELi4ELi33ELi32ELi16EiPK19rocblas_complex_numIdEPKS3_PS1_EviT6_lT7_lT5_lS8_lS9_lS7_lT8_i,comdat
.Lfunc_end58:
	.size	_ZL26rocblas_hemvn_kernel_lowerILb1ELi64ELi4ELi33ELi32ELi16EiPK19rocblas_complex_numIdEPKS3_PS1_EviT6_lT7_lT5_lS8_lS9_lS7_lT8_i, .Lfunc_end58-_ZL26rocblas_hemvn_kernel_lowerILb1ELi64ELi4ELi33ELi32ELi16EiPK19rocblas_complex_numIdEPKS3_PS1_EviT6_lT7_lT5_lS8_lS9_lS7_lT8_i
                                        ; -- End function
	.set _ZL26rocblas_hemvn_kernel_lowerILb1ELi64ELi4ELi33ELi32ELi16EiPK19rocblas_complex_numIdEPKS3_PS1_EviT6_lT7_lT5_lS8_lS9_lS7_lT8_i.num_vgpr, 213
	.set _ZL26rocblas_hemvn_kernel_lowerILb1ELi64ELi4ELi33ELi32ELi16EiPK19rocblas_complex_numIdEPKS3_PS1_EviT6_lT7_lT5_lS8_lS9_lS7_lT8_i.num_agpr, 0
	.set _ZL26rocblas_hemvn_kernel_lowerILb1ELi64ELi4ELi33ELi32ELi16EiPK19rocblas_complex_numIdEPKS3_PS1_EviT6_lT7_lT5_lS8_lS9_lS7_lT8_i.numbered_sgpr, 88
	.set _ZL26rocblas_hemvn_kernel_lowerILb1ELi64ELi4ELi33ELi32ELi16EiPK19rocblas_complex_numIdEPKS3_PS1_EviT6_lT7_lT5_lS8_lS9_lS7_lT8_i.num_named_barrier, 0
	.set _ZL26rocblas_hemvn_kernel_lowerILb1ELi64ELi4ELi33ELi32ELi16EiPK19rocblas_complex_numIdEPKS3_PS1_EviT6_lT7_lT5_lS8_lS9_lS7_lT8_i.private_seg_size, 0
	.set _ZL26rocblas_hemvn_kernel_lowerILb1ELi64ELi4ELi33ELi32ELi16EiPK19rocblas_complex_numIdEPKS3_PS1_EviT6_lT7_lT5_lS8_lS9_lS7_lT8_i.uses_vcc, 1
	.set _ZL26rocblas_hemvn_kernel_lowerILb1ELi64ELi4ELi33ELi32ELi16EiPK19rocblas_complex_numIdEPKS3_PS1_EviT6_lT7_lT5_lS8_lS9_lS7_lT8_i.uses_flat_scratch, 1
	.set _ZL26rocblas_hemvn_kernel_lowerILb1ELi64ELi4ELi33ELi32ELi16EiPK19rocblas_complex_numIdEPKS3_PS1_EviT6_lT7_lT5_lS8_lS9_lS7_lT8_i.has_dyn_sized_stack, 0
	.set _ZL26rocblas_hemvn_kernel_lowerILb1ELi64ELi4ELi33ELi32ELi16EiPK19rocblas_complex_numIdEPKS3_PS1_EviT6_lT7_lT5_lS8_lS9_lS7_lT8_i.has_recursion, 0
	.set _ZL26rocblas_hemvn_kernel_lowerILb1ELi64ELi4ELi33ELi32ELi16EiPK19rocblas_complex_numIdEPKS3_PS1_EviT6_lT7_lT5_lS8_lS9_lS7_lT8_i.has_indirect_call, 0
	.section	.AMDGPU.csdata,"",@progbits
; Kernel info:
; codeLenInByte = 10544
; TotalNumSgprs: 90
; NumVgprs: 213
; ScratchSize: 0
; MemoryBound: 0
; FloatMode: 240
; IeeeMode: 1
; LDSByteSize: 19200 bytes/workgroup (compile time only)
; SGPRBlocks: 0
; VGPRBlocks: 26
; NumSGPRsForWavesPerEU: 90
; NumVGPRsForWavesPerEU: 213
; Occupancy: 7
; WaveLimiterHint : 0
; COMPUTE_PGM_RSRC2:SCRATCH_EN: 0
; COMPUTE_PGM_RSRC2:USER_SGPR: 2
; COMPUTE_PGM_RSRC2:TRAP_HANDLER: 0
; COMPUTE_PGM_RSRC2:TGID_X_EN: 1
; COMPUTE_PGM_RSRC2:TGID_Y_EN: 0
; COMPUTE_PGM_RSRC2:TGID_Z_EN: 1
; COMPUTE_PGM_RSRC2:TIDIG_COMP_CNT: 1
	.section	.text._ZL36rocblas_hemvn_kernel_lower_block_sumILi64EiPK19rocblas_complex_numIdEPKPS1_S1_EviT1_lS7_lT2_lT0_lPT3_i,"axG",@progbits,_ZL36rocblas_hemvn_kernel_lower_block_sumILi64EiPK19rocblas_complex_numIdEPKPS1_S1_EviT1_lS7_lT2_lT0_lPT3_i,comdat
	.globl	_ZL36rocblas_hemvn_kernel_lower_block_sumILi64EiPK19rocblas_complex_numIdEPKPS1_S1_EviT1_lS7_lT2_lT0_lPT3_i ; -- Begin function _ZL36rocblas_hemvn_kernel_lower_block_sumILi64EiPK19rocblas_complex_numIdEPKPS1_S1_EviT1_lS7_lT2_lT0_lPT3_i
	.p2align	8
	.type	_ZL36rocblas_hemvn_kernel_lower_block_sumILi64EiPK19rocblas_complex_numIdEPKPS1_S1_EviT1_lS7_lT2_lT0_lPT3_i,@function
_ZL36rocblas_hemvn_kernel_lower_block_sumILi64EiPK19rocblas_complex_numIdEPKPS1_S1_EviT1_lS7_lT2_lT0_lPT3_i: ; @_ZL36rocblas_hemvn_kernel_lower_block_sumILi64EiPK19rocblas_complex_numIdEPKPS1_S1_EviT1_lS7_lT2_lT0_lPT3_i
; %bb.0:
	s_load_b32 s24, s[0:1], 0x50
	s_lshr_b32 s2, ttmp7, 16
	s_wait_kmcnt 0x0
	s_cmp_ge_u32 s2, s24
	s_cbranch_scc1 .LBB59_26
; %bb.1:
	s_clause 0x1
	s_load_b32 s18, s[0:1], 0x0
	s_load_b32 s3, s[0:1], 0x38
	v_lshl_or_b32 v0, ttmp9, 6, v0
	s_clause 0x2
	s_load_b64 s[20:21], s[0:1], 0x48
	s_load_b128 s[12:15], s[0:1], 0x28
	s_load_b256 s[4:11], s[0:1], 0x8
	s_add_nc_u64 s[16:17], s[0:1], 0x58
	v_mov_b32_e32 v18, 0
	s_wait_kmcnt 0x0
	v_mad_co_u64_u32 v[1:2], null, s18, ttmp9, v[0:1]
	v_mul_lo_u32 v3, s3, v0
	v_cmp_gt_i32_e64 s0, s18, v0
	s_ashr_i32 s19, s18, 31
	s_mov_b32 s3, 0
	s_wait_alu 0xfffe
	s_lshl_b64 s[18:19], s[18:19], 4
	s_lshl_b64 s[14:15], s[14:15], 4
	v_ashrrev_i32_e32 v2, 31, v1
	v_ashrrev_i32_e32 v4, 31, v3
	s_delay_alu instid0(VALU_DEP_2) | instskip(NEXT) | instid1(VALU_DEP_2)
	v_lshlrev_b64_e32 v[1:2], 4, v[1:2]
	v_lshlrev_b64_e32 v[12:13], 4, v[3:4]
	s_delay_alu instid0(VALU_DEP_2) | instskip(NEXT) | instid1(VALU_DEP_1)
	v_add_co_u32 v0, vcc_lo, s20, v1
	v_add_co_ci_u32_e64 v1, null, s21, v2, vcc_lo
	s_delay_alu instid0(VALU_DEP_2) | instskip(SKIP_1) | instid1(VALU_DEP_2)
	v_add_co_u32 v14, vcc_lo, v0, 8
	s_wait_alu 0xfffd
	v_add_co_ci_u32_e64 v15, null, 0, v1, vcc_lo
	s_branch .LBB59_4
.LBB59_2:                               ;   in Loop: Header=BB59_4 Depth=1
	s_wait_alu 0xfffe
	s_or_b32 exec_lo, exec_lo, s1
.LBB59_3:                               ;   in Loop: Header=BB59_4 Depth=1
	s_add_co_i32 s2, s2, 0x10000
	s_wait_alu 0xfffe
	s_cmp_lt_u32 s2, s24
	s_cbranch_scc0 .LBB59_26
.LBB59_4:                               ; =>This Loop Header: Depth=1
                                        ;     Child Loop BB59_17 Depth 2
	s_mul_u64 s[20:21], s[6:7], s[2:3]
	s_wait_alu 0xfffe
	s_lshl_b64 s[20:21], s[20:21], 4
	s_wait_alu 0xfffe
	s_add_nc_u64 s[20:21], s[4:5], s[20:21]
	global_load_b128 v[4:7], v18, s[20:21]
	s_mul_u64 s[20:21], s[10:11], s[2:3]
	s_wait_alu 0xfffe
	s_lshl_b64 s[20:21], s[20:21], 4
	s_wait_alu 0xfffe
	s_add_nc_u64 s[20:21], s[8:9], s[20:21]
	s_wait_loadcnt 0x1
	global_load_b128 v[0:3], v18, s[20:21]
	s_wait_loadcnt 0x1
	v_cmp_neq_f64_e32 vcc_lo, 0, v[4:5]
	v_cmp_neq_f64_e64 s1, 0, v[6:7]
	s_or_b32 s20, vcc_lo, s1
	s_mov_b32 s1, -1
	s_wait_alu 0xfffe
	s_and_b32 vcc_lo, exec_lo, s20
	s_wait_alu 0xfffe
	s_cbranch_vccz .LBB59_6
; %bb.5:                                ;   in Loop: Header=BB59_4 Depth=1
	s_and_not1_b32 vcc_lo, exec_lo, s1
	s_wait_alu 0xfffe
	s_cbranch_vccnz .LBB59_3
	s_branch .LBB59_7
.LBB59_6:                               ;   in Loop: Header=BB59_4 Depth=1
	s_wait_loadcnt 0x0
	v_cmp_neq_f64_e32 vcc_lo, 1.0, v[0:1]
	v_cmp_neq_f64_e64 s1, 0, v[2:3]
	s_or_b32 s1, vcc_lo, s1
	s_wait_alu 0xfffe
	s_and_not1_b32 vcc_lo, exec_lo, s1
	s_wait_alu 0xfffe
	s_cbranch_vccnz .LBB59_3
.LBB59_7:                               ;   in Loop: Header=BB59_4 Depth=1
	s_lshl_b64 s[22:23], s[2:3], 3
	s_xor_b32 s1, s20, -1
	s_add_nc_u64 s[22:23], s[12:13], s[22:23]
	s_wait_alu 0xfffe
	s_and_not1_b32 vcc_lo, exec_lo, s1
	s_load_b64 s[22:23], s[22:23], 0x0
	s_wait_kmcnt 0x0
	s_add_nc_u64 s[20:21], s[22:23], s[14:15]
	s_cbranch_vccnz .LBB59_12
; %bb.8:                                ;   in Loop: Header=BB59_4 Depth=1
	s_mov_b32 s22, 0
	s_mov_b32 s25, 0
                                        ; implicit-def: $vgpr10_vgpr11
	s_and_saveexec_b32 s23, s0
	s_cbranch_execz .LBB59_13
; %bb.9:                                ;   in Loop: Header=BB59_4 Depth=1
	s_wait_loadcnt 0x0
	v_cmp_neq_f64_e32 vcc_lo, 0, v[0:1]
	v_cmp_neq_f64_e64 s1, 0, v[2:3]
	v_mov_b32_e32 v10, 0
	v_dual_mov_b32 v11, 0 :: v_dual_mov_b32 v8, 0
	v_mov_b32_e32 v9, 0
	s_or_b32 s1, vcc_lo, s1
	s_wait_alu 0xfffe
	s_and_not1_b32 vcc_lo, exec_lo, s1
	s_wait_alu 0xfffe
	s_cbranch_vccnz .LBB59_11
; %bb.10:                               ;   in Loop: Header=BB59_4 Depth=1
	v_add_co_u32 v8, vcc_lo, s20, v12
	s_wait_alu 0xfffd
	v_add_co_ci_u32_e64 v9, null, s21, v13, vcc_lo
	flat_load_b128 v[19:22], v[8:9]
	s_wait_loadcnt_dscnt 0x0
	v_mul_f64_e32 v[8:9], v[2:3], v[21:22]
	v_mul_f64_e32 v[10:11], v[0:1], v[21:22]
	s_delay_alu instid0(VALU_DEP_2) | instskip(NEXT) | instid1(VALU_DEP_2)
	v_fma_f64 v[8:9], v[0:1], v[19:20], -v[8:9]
	v_fma_f64 v[10:11], v[2:3], v[19:20], v[10:11]
.LBB59_11:                              ;   in Loop: Header=BB59_4 Depth=1
	s_mov_b32 s25, exec_lo
	s_or_b32 exec_lo, exec_lo, s23
	s_delay_alu instid0(SALU_CYCLE_1)
	s_and_b32 vcc_lo, exec_lo, s22
	s_wait_alu 0xfffe
	s_cbranch_vccnz .LBB59_14
	s_branch .LBB59_24
.LBB59_12:                              ;   in Loop: Header=BB59_4 Depth=1
	s_mov_b32 s25, 0
                                        ; implicit-def: $vgpr10_vgpr11
	s_cbranch_execnz .LBB59_14
	s_branch .LBB59_24
.LBB59_13:                              ;   in Loop: Header=BB59_4 Depth=1
	s_or_b32 exec_lo, exec_lo, s23
	s_delay_alu instid0(SALU_CYCLE_1)
	s_and_b32 vcc_lo, exec_lo, s22
	s_wait_alu 0xfffe
	s_cbranch_vccz .LBB59_24
.LBB59_14:                              ;   in Loop: Header=BB59_4 Depth=1
                                        ; implicit-def: $vgpr10_vgpr11
	s_and_saveexec_b32 s26, s0
	s_cbranch_execz .LBB59_23
; %bb.15:                               ;   in Loop: Header=BB59_4 Depth=1
	s_load_b32 s22, s[16:17], 0x0
	v_mov_b32_e32 v8, 0
	v_dual_mov_b32 v9, 0 :: v_dual_mov_b32 v10, 0
	v_mov_b32_e32 v11, 0
	s_wait_kmcnt 0x0
	s_cmp_ge_i32 ttmp9, s22
	s_cbranch_scc1 .LBB59_18
; %bb.16:                               ;   in Loop: Header=BB59_4 Depth=1
	s_mov_b32 s23, s3
	v_mov_b32_e32 v10, 0
	s_mul_u64 s[28:29], s[18:19], s[22:23]
	s_mov_b32 s1, ttmp9
	s_wait_alu 0xfffe
	v_mad_co_u64_u32 v[16:17], null, s28, s2, v[14:15]
	s_delay_alu instid0(VALU_DEP_1) | instskip(NEXT) | instid1(VALU_DEP_1)
	v_dual_mov_b32 v11, 0 :: v_dual_mov_b32 v8, v17
	v_mad_co_u64_u32 v[19:20], null, s29, s2, v[8:9]
	v_mov_b32_e32 v8, 0
	v_mov_b32_e32 v9, 0
	s_delay_alu instid0(VALU_DEP_3)
	v_mov_b32_e32 v17, v19
.LBB59_17:                              ;   Parent Loop BB59_4 Depth=1
                                        ; =>  This Inner Loop Header: Depth=2
	global_load_b128 v[19:22], v[16:17], off offset:-8
	v_add_co_u32 v16, vcc_lo, v16, s18
	s_wait_alu 0xfffd
	v_add_co_ci_u32_e64 v17, null, s19, v17, vcc_lo
	s_wait_alu 0xfffe
	s_add_co_i32 s1, s1, 1
	s_wait_alu 0xfffe
	s_cmp_ge_i32 s1, s22
	s_wait_loadcnt 0x0
	v_add_f64_e32 v[10:11], v[10:11], v[19:20]
	v_add_f64_e32 v[8:9], v[8:9], v[21:22]
	s_cbranch_scc0 .LBB59_17
.LBB59_18:                              ;   in Loop: Header=BB59_4 Depth=1
	s_delay_alu instid0(VALU_DEP_1) | instskip(SKIP_4) | instid1(VALU_DEP_4)
	v_mul_f64_e32 v[16:17], v[6:7], v[8:9]
	v_mul_f64_e32 v[19:20], v[4:5], v[8:9]
	s_wait_loadcnt 0x0
	v_cmp_neq_f64_e32 vcc_lo, 0, v[0:1]
	v_cmp_neq_f64_e64 s1, 0, v[2:3]
	v_fma_f64 v[8:9], v[4:5], v[10:11], -v[16:17]
	s_delay_alu instid0(VALU_DEP_4)
	v_fma_f64 v[10:11], v[6:7], v[10:11], v[19:20]
	s_or_b32 s1, vcc_lo, s1
	s_wait_alu 0xfffe
	s_and_not1_b32 vcc_lo, exec_lo, s1
	s_mov_b32 s1, -1
	s_wait_alu 0xfffe
	s_cbranch_vccz .LBB59_20
; %bb.19:                               ;   in Loop: Header=BB59_4 Depth=1
	s_mov_b32 s1, 0
.LBB59_20:                              ;   in Loop: Header=BB59_4 Depth=1
	s_wait_alu 0xfffe
	s_and_not1_b32 vcc_lo, exec_lo, s1
	s_wait_alu 0xfffe
	s_cbranch_vccnz .LBB59_22
; %bb.21:                               ;   in Loop: Header=BB59_4 Depth=1
	v_add_co_u32 v4, vcc_lo, s20, v12
	s_wait_alu 0xfffd
	v_add_co_ci_u32_e64 v5, null, s21, v13, vcc_lo
	flat_load_b128 v[4:7], v[4:5]
	s_wait_loadcnt_dscnt 0x0
	v_mul_f64_e32 v[16:17], v[2:3], v[6:7]
	v_mul_f64_e32 v[6:7], v[0:1], v[6:7]
	s_delay_alu instid0(VALU_DEP_2) | instskip(NEXT) | instid1(VALU_DEP_2)
	v_fma_f64 v[0:1], v[0:1], v[4:5], -v[16:17]
	v_fma_f64 v[2:3], v[2:3], v[4:5], v[6:7]
	s_delay_alu instid0(VALU_DEP_2) | instskip(NEXT) | instid1(VALU_DEP_2)
	v_add_f64_e32 v[8:9], v[8:9], v[0:1]
	v_add_f64_e32 v[10:11], v[10:11], v[2:3]
.LBB59_22:                              ;   in Loop: Header=BB59_4 Depth=1
	s_or_b32 s25, s25, exec_lo
.LBB59_23:                              ;   in Loop: Header=BB59_4 Depth=1
	s_or_b32 exec_lo, exec_lo, s26
.LBB59_24:                              ;   in Loop: Header=BB59_4 Depth=1
	s_and_saveexec_b32 s1, s25
	s_cbranch_execz .LBB59_2
; %bb.25:                               ;   in Loop: Header=BB59_4 Depth=1
	s_wait_loadcnt 0x0
	s_wait_alu 0xfffe
	v_add_co_u32 v0, vcc_lo, s20, v12
	s_wait_alu 0xfffd
	v_add_co_ci_u32_e64 v1, null, s21, v13, vcc_lo
	flat_store_b128 v[0:1], v[8:11]
	s_branch .LBB59_2
.LBB59_26:
	s_endpgm
	.section	.rodata,"a",@progbits
	.p2align	6, 0x0
	.amdhsa_kernel _ZL36rocblas_hemvn_kernel_lower_block_sumILi64EiPK19rocblas_complex_numIdEPKPS1_S1_EviT1_lS7_lT2_lT0_lPT3_i
		.amdhsa_group_segment_fixed_size 0
		.amdhsa_private_segment_fixed_size 0
		.amdhsa_kernarg_size 344
		.amdhsa_user_sgpr_count 2
		.amdhsa_user_sgpr_dispatch_ptr 0
		.amdhsa_user_sgpr_queue_ptr 0
		.amdhsa_user_sgpr_kernarg_segment_ptr 1
		.amdhsa_user_sgpr_dispatch_id 0
		.amdhsa_user_sgpr_private_segment_size 0
		.amdhsa_wavefront_size32 1
		.amdhsa_uses_dynamic_stack 0
		.amdhsa_enable_private_segment 0
		.amdhsa_system_sgpr_workgroup_id_x 1
		.amdhsa_system_sgpr_workgroup_id_y 0
		.amdhsa_system_sgpr_workgroup_id_z 1
		.amdhsa_system_sgpr_workgroup_info 0
		.amdhsa_system_vgpr_workitem_id 0
		.amdhsa_next_free_vgpr 23
		.amdhsa_next_free_sgpr 30
		.amdhsa_reserve_vcc 1
		.amdhsa_float_round_mode_32 0
		.amdhsa_float_round_mode_16_64 0
		.amdhsa_float_denorm_mode_32 3
		.amdhsa_float_denorm_mode_16_64 3
		.amdhsa_fp16_overflow 0
		.amdhsa_workgroup_processor_mode 1
		.amdhsa_memory_ordered 1
		.amdhsa_forward_progress 1
		.amdhsa_inst_pref_size 9
		.amdhsa_round_robin_scheduling 0
		.amdhsa_exception_fp_ieee_invalid_op 0
		.amdhsa_exception_fp_denorm_src 0
		.amdhsa_exception_fp_ieee_div_zero 0
		.amdhsa_exception_fp_ieee_overflow 0
		.amdhsa_exception_fp_ieee_underflow 0
		.amdhsa_exception_fp_ieee_inexact 0
		.amdhsa_exception_int_div_zero 0
	.end_amdhsa_kernel
	.section	.text._ZL36rocblas_hemvn_kernel_lower_block_sumILi64EiPK19rocblas_complex_numIdEPKPS1_S1_EviT1_lS7_lT2_lT0_lPT3_i,"axG",@progbits,_ZL36rocblas_hemvn_kernel_lower_block_sumILi64EiPK19rocblas_complex_numIdEPKPS1_S1_EviT1_lS7_lT2_lT0_lPT3_i,comdat
.Lfunc_end59:
	.size	_ZL36rocblas_hemvn_kernel_lower_block_sumILi64EiPK19rocblas_complex_numIdEPKPS1_S1_EviT1_lS7_lT2_lT0_lPT3_i, .Lfunc_end59-_ZL36rocblas_hemvn_kernel_lower_block_sumILi64EiPK19rocblas_complex_numIdEPKPS1_S1_EviT1_lS7_lT2_lT0_lPT3_i
                                        ; -- End function
	.set _ZL36rocblas_hemvn_kernel_lower_block_sumILi64EiPK19rocblas_complex_numIdEPKPS1_S1_EviT1_lS7_lT2_lT0_lPT3_i.num_vgpr, 23
	.set _ZL36rocblas_hemvn_kernel_lower_block_sumILi64EiPK19rocblas_complex_numIdEPKPS1_S1_EviT1_lS7_lT2_lT0_lPT3_i.num_agpr, 0
	.set _ZL36rocblas_hemvn_kernel_lower_block_sumILi64EiPK19rocblas_complex_numIdEPKPS1_S1_EviT1_lS7_lT2_lT0_lPT3_i.numbered_sgpr, 30
	.set _ZL36rocblas_hemvn_kernel_lower_block_sumILi64EiPK19rocblas_complex_numIdEPKPS1_S1_EviT1_lS7_lT2_lT0_lPT3_i.num_named_barrier, 0
	.set _ZL36rocblas_hemvn_kernel_lower_block_sumILi64EiPK19rocblas_complex_numIdEPKPS1_S1_EviT1_lS7_lT2_lT0_lPT3_i.private_seg_size, 0
	.set _ZL36rocblas_hemvn_kernel_lower_block_sumILi64EiPK19rocblas_complex_numIdEPKPS1_S1_EviT1_lS7_lT2_lT0_lPT3_i.uses_vcc, 1
	.set _ZL36rocblas_hemvn_kernel_lower_block_sumILi64EiPK19rocblas_complex_numIdEPKPS1_S1_EviT1_lS7_lT2_lT0_lPT3_i.uses_flat_scratch, 0
	.set _ZL36rocblas_hemvn_kernel_lower_block_sumILi64EiPK19rocblas_complex_numIdEPKPS1_S1_EviT1_lS7_lT2_lT0_lPT3_i.has_dyn_sized_stack, 0
	.set _ZL36rocblas_hemvn_kernel_lower_block_sumILi64EiPK19rocblas_complex_numIdEPKPS1_S1_EviT1_lS7_lT2_lT0_lPT3_i.has_recursion, 0
	.set _ZL36rocblas_hemvn_kernel_lower_block_sumILi64EiPK19rocblas_complex_numIdEPKPS1_S1_EviT1_lS7_lT2_lT0_lPT3_i.has_indirect_call, 0
	.section	.AMDGPU.csdata,"",@progbits
; Kernel info:
; codeLenInByte = 1032
; TotalNumSgprs: 32
; NumVgprs: 23
; ScratchSize: 0
; MemoryBound: 0
; FloatMode: 240
; IeeeMode: 1
; LDSByteSize: 0 bytes/workgroup (compile time only)
; SGPRBlocks: 0
; VGPRBlocks: 2
; NumSGPRsForWavesPerEU: 32
; NumVGPRsForWavesPerEU: 23
; Occupancy: 16
; WaveLimiterHint : 1
; COMPUTE_PGM_RSRC2:SCRATCH_EN: 0
; COMPUTE_PGM_RSRC2:USER_SGPR: 2
; COMPUTE_PGM_RSRC2:TRAP_HANDLER: 0
; COMPUTE_PGM_RSRC2:TGID_X_EN: 1
; COMPUTE_PGM_RSRC2:TGID_Y_EN: 0
; COMPUTE_PGM_RSRC2:TGID_Z_EN: 1
; COMPUTE_PGM_RSRC2:TIDIG_COMP_CNT: 0
	.section	.text._ZL26rocblas_hemvn_kernel_lowerILb1ELi64ELi4ELi33ELi32ELi16El19rocblas_complex_numIdEPKPKS1_PS1_EviT6_lT7_lT5_lS8_lS9_lS7_lT8_i,"axG",@progbits,_ZL26rocblas_hemvn_kernel_lowerILb1ELi64ELi4ELi33ELi32ELi16El19rocblas_complex_numIdEPKPKS1_PS1_EviT6_lT7_lT5_lS8_lS9_lS7_lT8_i,comdat
	.globl	_ZL26rocblas_hemvn_kernel_lowerILb1ELi64ELi4ELi33ELi32ELi16El19rocblas_complex_numIdEPKPKS1_PS1_EviT6_lT7_lT5_lS8_lS9_lS7_lT8_i ; -- Begin function _ZL26rocblas_hemvn_kernel_lowerILb1ELi64ELi4ELi33ELi32ELi16El19rocblas_complex_numIdEPKPKS1_PS1_EviT6_lT7_lT5_lS8_lS9_lS7_lT8_i
	.p2align	8
	.type	_ZL26rocblas_hemvn_kernel_lowerILb1ELi64ELi4ELi33ELi32ELi16El19rocblas_complex_numIdEPKPKS1_PS1_EviT6_lT7_lT5_lS8_lS9_lS7_lT8_i,@function
_ZL26rocblas_hemvn_kernel_lowerILb1ELi64ELi4ELi33ELi32ELi16El19rocblas_complex_numIdEPKPKS1_PS1_EviT6_lT7_lT5_lS8_lS9_lS7_lT8_i: ; @_ZL26rocblas_hemvn_kernel_lowerILb1ELi64ELi4ELi33ELi32ELi16El19rocblas_complex_numIdEPKPKS1_PS1_EviT6_lT7_lT5_lS8_lS9_lS7_lT8_i
; %bb.0:
	s_clause 0x1
	s_load_b64 s[2:3], s[0:1], 0x94
	s_load_b32 s23, s[0:1], 0x80
	s_lshr_b32 s34, ttmp7, 16
	s_wait_kmcnt 0x0
	s_lshr_b32 s4, s2, 16
	s_and_b32 s2, s2, 0xffff
	s_and_b32 s3, s3, 0xffff
	s_mul_i32 s2, s4, s2
	s_delay_alu instid0(SALU_CYCLE_1) | instskip(NEXT) | instid1(SALU_CYCLE_1)
	s_mul_i32 s2, s2, s3
	s_cmp_lg_u32 s2, 0x100
	s_cselect_b32 s2, -1, 0
	s_cmp_ge_u32 s34, s23
	s_cselect_b32 s3, -1, 0
	s_delay_alu instid0(SALU_CYCLE_1) | instskip(NEXT) | instid1(SALU_CYCLE_1)
	s_or_b32 s2, s2, s3
	s_and_b32 vcc_lo, exec_lo, s2
	s_cbranch_vccnz .LBB60_137
; %bb.1:
	s_clause 0x3
	s_load_b128 s[4:7], s[0:1], 0x8
	s_load_b128 s[12:15], s[0:1], 0x60
	s_load_b32 s2, s[0:1], 0x0
	s_load_b64 s[8:9], s[0:1], 0x78
	s_add_nc_u64 s[10:11], s[0:1], 0x88
	s_clause 0x3
	s_load_b128 s[24:27], s[0:1], 0x20
	s_load_b64 s[60:61], s[0:1], 0x30
	s_load_b64 s[36:37], s[0:1], 0x50
	s_load_b128 s[28:31], s[0:1], 0x40
	v_bfe_u32 v16, v0, 10, 10
	v_dual_mov_b32 v2, 0 :: v_dual_and_b32 v165, 0x3ff, v0
	s_load_b32 s38, s[10:11], 0x0
	v_and_b32_e32 v1, 31, v0
	s_delay_alu instid0(VALU_DEP_3)
	v_lshlrev_b32_e32 v17, 6, v16
	s_mov_b32 s39, 0
	s_lshl_b32 s62, ttmp9, 6
	v_lshlrev_b32_e32 v166, 4, v165
	v_add_nc_u32_e32 v3, s62, v165
	v_add_nc_u32_e32 v18, v17, v165
	;; [unrolled: 1-line block ×3, first 2 shown]
	v_cmp_eq_u32_e64 s0, 0, v16
	v_or_b32_e32 v17, 0xf0, v166
	s_wait_kmcnt 0x0
	v_cmp_eq_f64_e64 s1, s[4:5], 0
	v_cmp_eq_f64_e64 s5, s[6:7], 0
	v_cmp_neq_f64_e64 s6, s[12:13], 1.0
	v_cmp_neq_f64_e64 s7, s[14:15], 0
	v_lshrrev_b32_e32 v14, 5, v18
	s_ashr_i32 s3, s2, 31
	s_mul_i32 s4, s2, ttmp9
	s_lshr_b32 s11, s3, 26
	v_ashrrev_i32_e32 v4, 31, v3
	v_mad_co_u64_u32 v[7:8], null, s60, v14, v[1:2]
	s_mul_u64 s[42:43], s[38:39], s[2:3]
	s_add_co_i32 s3, s2, s11
	s_add_co_i32 s10, s38, -1
	s_and_not1_b32 s3, s3, 63
	v_lshlrev_b32_e32 v20, 2, v14
	s_sub_co_i32 s2, s2, s3
	v_mad_co_u64_u32 v[9:10], null, s61, v14, v[8:9]
	v_lshlrev_b32_e32 v22, 6, v14
	s_delay_alu instid0(VALU_DEP_3)
	v_or_b32_e32 v23, 1, v20
	v_mul_lo_u32 v11, s36, v4
	v_mul_lo_u32 v12, s37, v3
	v_mad_co_u64_u32 v[5:6], null, s36, v3, 0
	v_dual_mov_b32 v8, v9 :: v_dual_lshlrev_b32 v19, 4, v1
	v_mul_u32_u24_e32 v25, 33, v1
	v_add_nc_u32_e32 v13, 16, v14
	v_sub_co_u32 v10, s3, 0, v1
	s_delay_alu instid0(VALU_DEP_4)
	v_lshl_or_b32 v21, v1, 9, v19
	v_add3_u32 v6, v6, v11, v12
	v_add_nc_u32_e32 v12, 8, v14
	v_lshlrev_b32_e32 v176, 4, v25
	v_mad_u32_u24 v168, 0x210, v14, v19
	v_add_nc_u32_e32 v173, v21, v22
	v_or_b32_e32 v21, 2, v20
	v_sub_co_ci_u32_e64 v11, null, 0, 0, s3
	s_and_b32 s33, s1, s5
	s_or_b32 s72, s6, s7
	s_cmp_eq_u32 ttmp9, s10
	v_cmp_ge_u32_e64 s7, v20, v1
	s_cselect_b32 s44, s2, 0
	v_cmp_ge_u32_e64 s11, v21, v1
	s_cmp_eq_u32 s44, 0
	v_cmp_eq_u32_e64 s12, v21, v1
	s_cselect_b32 s73, -1, 0
	s_cmp_lg_u32 s44, 0
	v_lshlrev_b32_e32 v21, 4, v14
	s_cselect_b32 s2, -1, 0
	s_wait_alu 0xfffe
	s_ashr_i32 s5, s4, 31
	s_sub_co_i32 s20, s44, 32
	s_wait_alu 0xfffe
	s_lshl_b64 s[4:5], s[4:5], 4
	v_cmp_le_i32_e64 s18, s20, v12
	s_wait_alu 0xfffe
	s_add_nc_u64 s[52:53], s[8:9], s[4:5]
	v_cmp_eq_u32_e64 s8, v20, v1
	v_or_b32_e32 v20, 3, v20
	v_cmp_le_i32_e64 s4, s44, v12
	v_cmp_le_i32_e64 s5, s44, v13
	;; [unrolled: 1-line block ×3, first 2 shown]
	v_add_nc_u32_e32 v179, v176, v21
	v_cmp_ge_u32_e64 s13, v20, v1
	v_cmp_eq_u32_e64 s14, v20, v1
	v_or_b32_e32 v20, 32, v1
	v_cmp_le_i32_e32 vcc_lo, s44, v165
	v_add_nc_u32_e32 v15, 24, v14
	v_cmp_le_i32_e64 s3, s44, v14
	v_mul_u32_u24_e32 v24, 0x840, v14
	v_cmp_gt_i32_e64 s16, s44, v20
	v_lshlrev_b32_e32 v20, 2, v16
	v_add_nc_u32_e32 v178, 0x4700, v22
	v_cmp_le_i32_e64 s17, s20, v14
	v_cmp_eq_u32_e64 s21, 1, v14
	v_mul_i32_i24_e32 v22, 0xffffffd0, v14
	v_mad_co_u64_u32 v[12:13], null, s60, v20, 0
	v_mad_u32_u24 v180, v14, 48, v179
	s_and_b32 s2, s2, vcc_lo
	v_cmp_le_i32_e64 s6, s44, v15
	v_cmp_le_i32_e64 s20, s20, v15
	v_and_b32_e32 v25, 15, v0
	v_and_b32_e32 v0, 48, v0
	v_mad_co_u64_u32 v[13:14], null, s61, v20, v[13:14]
	v_lshrrev_b32_e32 v20, 4, v18
	v_sub_co_u32 v14, vcc_lo, 0, v7
	s_delay_alu instid0(VALU_DEP_1) | instskip(NEXT) | instid1(VALU_DEP_3)
	v_sub_co_ci_u32_e64 v15, null, 0, v9, vcc_lo
	v_lshlrev_b32_e32 v9, 6, v20
	v_cmp_ge_u32_e64 s9, v23, v1
	v_cmp_eq_u32_e64 s10, v23, v1
	v_mul_u32_u24_e32 v23, 0x210, v23
	v_lshlrev_b32_e32 v0, 4, v0
	v_mad_u32_u24 v184, 0x430, v25, v9
	v_mul_i32_i24_e32 v9, 0xffffffd0, v20
	s_ashr_i32 s63, s62, 31
	s_lshl_b64 s[54:55], s[60:61], 5
	s_wait_alu 0xfffe
	s_mul_u64 s[50:51], s[60:61], s[62:63]
	s_mul_u64 s[56:57], s[36:37], s[62:63]
	v_lshlrev_b64_e32 v[153:154], 4, v[5:6]
	v_lshlrev_b64_e32 v[155:156], 4, v[7:8]
	;; [unrolled: 1-line block ×6, first 2 shown]
	v_add_nc_u32_e32 v167, 0x4700, v166
	v_add_nc_u32_e32 v169, 0x1080, v168
	v_add_nc_u32_e32 v170, 0x2100, v168
	v_add_nc_u32_e32 v171, 0x3180, v168
	v_cmp_gt_i32_e64 s1, s44, v1
	s_lshl_b64 s[46:47], s[60:61], 7
	s_lshl_b64 s[48:49], s[60:61], 8
	s_ashr_i32 s45, s44, 31
	v_mad_u32_u24 v172, 0x210, v1, v19
	v_add_nc_u32_e32 v174, 16, v173
	v_add_nc_u32_e32 v175, 32, v173
	;; [unrolled: 1-line block ×3, first 2 shown]
	v_cmp_gt_u32_e64 s15, 32, v18
	s_xor_b32 s35, s2, -1
	v_add_nc_u32_e32 v181, 0x4300, v166
	v_mad_u32_u24 v183, 0x10c0, v16, v166
	v_cmp_gt_u32_e64 s22, 64, v18
	v_mad_u32_u24 v185, 0x430, v25, v0
	v_mad_u32_u24 v186, 0x430, v25, v17
	;; [unrolled: 1-line block ×3, first 2 shown]
	v_add_nc_u32_e32 v188, 0x4700, v21
	v_add_nc_u32_e32 v189, v19, v24
	v_add_nc_u32_e32 v190, v19, v23
	v_add_nc_u32_e32 v191, v178, v22
	v_add_nc_u32_e32 v192, v184, v9
	v_lshlrev_b32_e32 v193, 4, v1
	s_sub_nc_u64 s[64:65], 0, s[54:55]
	s_cmp_gt_i32 ttmp9, 0
	s_sub_nc_u64 s[66:67], 0, s[56:57]
	s_sub_nc_u64 s[68:69], 0, s[50:51]
	s_mul_u64 s[40:41], s[60:61], 0x180
	s_cselect_b32 s74, -1, 0
	s_and_b32 s75, s0, s35
	s_wait_alu 0xfffe
	s_sub_nc_u64 s[56:57], 0, s[44:45]
	s_lshl_b64 s[58:59], s[60:61], 4
	s_mul_u64 s[60:61], s[60:61], 0xd0
	s_lshl_b64 s[30:31], s[30:31], 4
	s_lshl_b64 s[26:27], s[26:27], 4
	;; [unrolled: 1-line block ×6, first 2 shown]
	s_branch .LBB60_4
.LBB60_2:                               ;   in Loop: Header=BB60_4 Depth=1
	s_or_b32 exec_lo, exec_lo, s35
.LBB60_3:                               ;   in Loop: Header=BB60_4 Depth=1
	s_add_co_i32 s34, s34, 0x10000
	s_delay_alu instid0(SALU_CYCLE_1)
	s_cmp_lt_u32 s34, s23
	s_cbranch_scc0 .LBB60_137
.LBB60_4:                               ; =>This Loop Header: Depth=1
                                        ;     Child Loop BB60_113 Depth 2
	s_and_not1_b32 vcc_lo, exec_lo, s33
	s_mov_b32 s35, -1
	s_wait_alu 0xfffe
	s_cbranch_vccz .LBB60_6
; %bb.5:                                ;   in Loop: Header=BB60_4 Depth=1
	s_and_not1_b32 vcc_lo, exec_lo, s35
	s_wait_alu 0xfffe
	s_cbranch_vccnz .LBB60_3
	s_branch .LBB60_7
.LBB60_6:                               ;   in Loop: Header=BB60_4 Depth=1
	s_and_b32 vcc_lo, exec_lo, s72
	s_cbranch_execnz .LBB60_3
.LBB60_7:                               ;   in Loop: Header=BB60_4 Depth=1
	s_mov_b32 s35, s39
	s_delay_alu instid0(SALU_CYCLE_1)
	s_lshl_b64 s[70:71], s[34:35], 3
	s_wait_alu 0xfffe
	s_add_nc_u64 s[76:77], s[28:29], s[70:71]
	s_add_nc_u64 s[70:71], s[24:25], s[70:71]
	s_clause 0x1
	global_load_b64 v[0:1], v2, s[76:77]
	global_load_b64 v[5:6], v2, s[70:71]
	s_wait_loadcnt 0x1
	v_add_co_u32 v0, vcc_lo, v0, s30
	s_wait_alu 0xfffd
	v_add_co_ci_u32_e64 v1, null, s31, v1, vcc_lo
	s_delay_alu instid0(VALU_DEP_2) | instskip(SKIP_1) | instid1(VALU_DEP_2)
	v_add_co_u32 v41, vcc_lo, v0, v153
	s_wait_alu 0xfffd
	v_add_co_ci_u32_e64 v42, null, v1, v154, vcc_lo
	s_and_saveexec_b32 s38, s0
	s_cbranch_execz .LBB60_12
; %bb.8:                                ;   in Loop: Header=BB60_4 Depth=1
	s_and_saveexec_b32 s70, s2
	s_wait_alu 0xfffe
	s_xor_b32 s70, exec_lo, s70
; %bb.9:                                ;   in Loop: Header=BB60_4 Depth=1
	v_dual_mov_b32 v1, v2 :: v_dual_mov_b32 v4, v2
	v_mov_b32_e32 v3, v2
	ds_store_b128 v167, v[1:4]
; %bb.10:                               ;   in Loop: Header=BB60_4 Depth=1
	s_wait_alu 0xfffe
	s_and_not1_saveexec_b32 s70, s70
	s_cbranch_execz .LBB60_12
; %bb.11:                               ;   in Loop: Header=BB60_4 Depth=1
	flat_load_b128 v[7:10], v[41:42]
	s_wait_loadcnt_dscnt 0x0
	ds_store_2addr_b64 v167, v[7:8], v[9:10] offset1:1
.LBB60_12:                              ;   in Loop: Header=BB60_4 Depth=1
	s_wait_alu 0xfffe
	s_or_b32 exec_lo, exec_lo, s38
	s_wait_loadcnt 0x0
	v_add_co_u32 v0, vcc_lo, v5, s26
	s_wait_alu 0xfffd
	v_add_co_ci_u32_e64 v1, null, s27, v6, vcc_lo
	s_lshl_b64 s[70:71], s[50:51], 4
	v_add_co_u32 v0, vcc_lo, v0, s62
	s_wait_alu 0xfffd
	v_add_co_ci_u32_e64 v1, null, s63, v1, vcc_lo
	s_mov_b32 s38, -1
	v_add_co_u32 v0, vcc_lo, v0, v155
	s_wait_alu 0xfffd
	v_add_co_ci_u32_e64 v1, null, v1, v156, vcc_lo
	s_wait_alu 0xfffe
	s_delay_alu instid0(VALU_DEP_2) | instskip(SKIP_1) | instid1(VALU_DEP_2)
	v_add_co_u32 v9, vcc_lo, v0, s70
	s_wait_alu 0xfffd
	v_add_co_ci_u32_e64 v10, null, s71, v1, vcc_lo
	s_and_not1_b32 vcc_lo, exec_lo, s73
	s_wait_alu 0xfffe
	s_cbranch_vccnz .LBB60_14
; %bb.13:                               ;   in Loop: Header=BB60_4 Depth=1
	flat_load_b128 v[3:6], v[9:10]
	v_add_co_u32 v0, vcc_lo, v9, s46
	s_wait_alu 0xfffd
	v_add_co_ci_u32_e64 v1, null, s47, v10, vcc_lo
	s_mov_b32 s38, 0
	s_wait_loadcnt_dscnt 0x0
	ds_store_2addr_b64 v168, v[3:4], v[5:6] offset1:1
	flat_load_b128 v[3:6], v[0:1]
	v_add_co_u32 v0, vcc_lo, v0, s46
	s_wait_alu 0xfffd
	v_add_co_ci_u32_e64 v1, null, s47, v1, vcc_lo
	s_wait_loadcnt_dscnt 0x0
	ds_store_2addr_b64 v169, v[3:4], v[5:6] offset1:1
	flat_load_b128 v[3:6], v[0:1]
	v_add_co_u32 v0, vcc_lo, v0, s46
	s_wait_alu 0xfffd
	v_add_co_ci_u32_e64 v1, null, s47, v1, vcc_lo
	s_wait_loadcnt_dscnt 0x0
	ds_store_2addr_b64 v170, v[3:4], v[5:6] offset1:1
	flat_load_b128 v[3:6], v[0:1]
	s_wait_loadcnt_dscnt 0x0
	ds_store_2addr_b64 v171, v[3:4], v[5:6] offset1:1
.LBB60_14:                              ;   in Loop: Header=BB60_4 Depth=1
	s_wait_alu 0xfffe
	s_and_not1_b32 vcc_lo, exec_lo, s38
	s_wait_alu 0xfffe
	s_cbranch_vccnz .LBB60_26
; %bb.15:                               ;   in Loop: Header=BB60_4 Depth=1
	s_and_saveexec_b32 s38, s3
	s_wait_alu 0xfffe
	s_xor_b32 s38, exec_lo, s38
; %bb.16:                               ;   in Loop: Header=BB60_4 Depth=1
	v_dual_mov_b32 v1, v2 :: v_dual_mov_b32 v4, v2
	v_mov_b32_e32 v3, v2
	ds_store_b128 v168, v[1:4]
; %bb.17:                               ;   in Loop: Header=BB60_4 Depth=1
	s_wait_alu 0xfffe
	s_or_saveexec_b32 s38, s38
	v_add_co_u32 v0, vcc_lo, v9, v157
	s_wait_alu 0xfffd
	v_add_co_ci_u32_e64 v1, null, v10, v158, vcc_lo
	s_lshl_b64 s[70:71], s[44:45], 4
	s_wait_alu 0xfffe
	v_add_co_u32 v0, vcc_lo, v0, s70
	s_wait_alu 0xfffd
	v_add_co_ci_u32_e64 v1, null, s71, v1, vcc_lo
	s_delay_alu instid0(VALU_DEP_2) | instskip(SKIP_1) | instid1(VALU_DEP_2)
	v_add_co_u32 v0, vcc_lo, v0, -16
	s_wait_alu 0xfffd
	v_add_co_ci_u32_e64 v1, null, -1, v1, vcc_lo
	s_delay_alu instid0(VALU_DEP_2) | instskip(NEXT) | instid1(VALU_DEP_2)
	v_cndmask_b32_e64 v5, v0, v9, s1
	v_cndmask_b32_e64 v6, v1, v10, s1
	s_xor_b32 exec_lo, exec_lo, s38
	s_cbranch_execnz .LBB60_119
; %bb.18:                               ;   in Loop: Header=BB60_4 Depth=1
	s_or_b32 exec_lo, exec_lo, s38
	s_and_saveexec_b32 s38, s4
	s_wait_alu 0xfffe
	s_xor_b32 s38, exec_lo, s38
	s_cbranch_execnz .LBB60_120
.LBB60_19:                              ;   in Loop: Header=BB60_4 Depth=1
	s_wait_alu 0xfffe
	s_and_not1_saveexec_b32 s38, s38
	s_cbranch_execnz .LBB60_121
.LBB60_20:                              ;   in Loop: Header=BB60_4 Depth=1
	s_wait_alu 0xfffe
	s_or_b32 exec_lo, exec_lo, s38
	s_and_saveexec_b32 s38, s5
	s_wait_alu 0xfffe
	s_xor_b32 s38, exec_lo, s38
	s_cbranch_execnz .LBB60_122
.LBB60_21:                              ;   in Loop: Header=BB60_4 Depth=1
	s_wait_alu 0xfffe
	s_and_not1_saveexec_b32 s38, s38
	s_cbranch_execnz .LBB60_123
.LBB60_22:                              ;   in Loop: Header=BB60_4 Depth=1
	s_wait_alu 0xfffe
	s_or_b32 exec_lo, exec_lo, s38
	s_and_saveexec_b32 s38, s6
	s_wait_alu 0xfffe
	s_xor_b32 s38, exec_lo, s38
	s_cbranch_execnz .LBB60_124
.LBB60_23:                              ;   in Loop: Header=BB60_4 Depth=1
	s_wait_alu 0xfffe
	s_and_not1_saveexec_b32 s38, s38
	s_cbranch_execz .LBB60_25
.LBB60_24:                              ;   in Loop: Header=BB60_4 Depth=1
	v_add_co_u32 v0, vcc_lo, v5, s40
	s_wait_alu 0xfffd
	v_add_co_ci_u32_e64 v1, null, s41, v6, vcc_lo
	flat_load_b128 v[11:14], v[0:1]
	s_wait_loadcnt_dscnt 0x0
	ds_store_2addr_b64 v171, v[11:12], v[13:14] offset1:1
.LBB60_25:                              ;   in Loop: Header=BB60_4 Depth=1
	s_wait_alu 0xfffe
	s_or_b32 exec_lo, exec_lo, s38
	v_add_co_u32 v0, vcc_lo, v5, v193
	s_wait_alu 0xfffd
	v_add_co_ci_u32_e64 v1, null, 0, v6, vcc_lo
	s_lshl_b64 s[70:71], s[56:57], 4
	s_wait_alu 0xfffe
	v_add_co_u32 v0, vcc_lo, v0, s70
	s_wait_alu 0xfffd
	v_add_co_ci_u32_e64 v1, null, s71, v1, vcc_lo
	s_delay_alu instid0(VALU_DEP_2) | instskip(SKIP_1) | instid1(VALU_DEP_2)
	v_add_co_u32 v0, vcc_lo, v0, 16
	s_wait_alu 0xfffd
	v_add_co_ci_u32_e64 v1, null, 0, v1, vcc_lo
	s_delay_alu instid0(VALU_DEP_2) | instskip(NEXT) | instid1(VALU_DEP_2)
	v_cndmask_b32_e64 v9, v0, v9, s1
	v_cndmask_b32_e64 v10, v1, v10, s1
.LBB60_26:                              ;   in Loop: Header=BB60_4 Depth=1
	s_mov_b32 s38, 0
	s_wait_dscnt 0x0
	s_barrier_signal -1
	s_barrier_wait -1
	global_inv scope:SCOPE_SE
	s_and_saveexec_b32 s70, s7
	s_wait_alu 0xfffe
	s_xor_b32 s70, exec_lo, s70
; %bb.27:                               ;   in Loop: Header=BB60_4 Depth=1
	s_and_b32 s38, s8, exec_lo
; %bb.28:                               ;   in Loop: Header=BB60_4 Depth=1
	s_wait_alu 0xfffe
	s_or_saveexec_b32 s70, s70
	v_dual_mov_b32 v5, 0 :: v_dual_mov_b32 v0, v172
	v_mov_b32_e32 v6, 0
	s_wait_alu 0xfffe
	s_xor_b32 exec_lo, exec_lo, s70
	s_cbranch_execz .LBB60_30
; %bb.29:                               ;   in Loop: Header=BB60_4 Depth=1
	ds_load_b128 v[3:6], v189
	v_mov_b32_e32 v0, v173
	s_or_b32 s38, s38, exec_lo
	s_wait_dscnt 0x0
	v_xor_b32_e32 v6, 0x80000000, v6
	ds_store_b64 v173, v[3:4]
.LBB60_30:                              ;   in Loop: Header=BB60_4 Depth=1
	s_or_b32 exec_lo, exec_lo, s70
	s_wait_alu 0xfffe
	s_and_saveexec_b32 s70, s38
; %bb.31:                               ;   in Loop: Header=BB60_4 Depth=1
	ds_store_b64 v0, v[5:6] offset:8
; %bb.32:                               ;   in Loop: Header=BB60_4 Depth=1
	s_wait_alu 0xfffe
	s_or_b32 exec_lo, exec_lo, s70
	s_mov_b32 s38, 0
	s_and_saveexec_b32 s70, s9
	s_wait_alu 0xfffe
	s_xor_b32 s70, exec_lo, s70
; %bb.33:                               ;   in Loop: Header=BB60_4 Depth=1
	s_and_b32 s38, s10, exec_lo
; %bb.34:                               ;   in Loop: Header=BB60_4 Depth=1
	s_wait_alu 0xfffe
	s_or_saveexec_b32 s70, s70
	v_dual_mov_b32 v5, 0 :: v_dual_mov_b32 v0, v172
	v_mov_b32_e32 v6, 0
	s_wait_alu 0xfffe
	s_xor_b32 exec_lo, exec_lo, s70
	s_cbranch_execz .LBB60_36
; %bb.35:                               ;   in Loop: Header=BB60_4 Depth=1
	ds_load_b128 v[3:6], v190
	v_mov_b32_e32 v0, v174
	s_or_b32 s38, s38, exec_lo
	s_wait_dscnt 0x0
	v_xor_b32_e32 v6, 0x80000000, v6
	ds_store_b64 v174, v[3:4]
.LBB60_36:                              ;   in Loop: Header=BB60_4 Depth=1
	s_or_b32 exec_lo, exec_lo, s70
	s_wait_alu 0xfffe
	s_and_saveexec_b32 s70, s38
; %bb.37:                               ;   in Loop: Header=BB60_4 Depth=1
	ds_store_b64 v0, v[5:6] offset:8
; %bb.38:                               ;   in Loop: Header=BB60_4 Depth=1
	s_wait_alu 0xfffe
	s_or_b32 exec_lo, exec_lo, s70
	s_mov_b32 s38, 0
	s_and_saveexec_b32 s70, s11
	s_wait_alu 0xfffe
	s_xor_b32 s70, exec_lo, s70
; %bb.39:                               ;   in Loop: Header=BB60_4 Depth=1
	s_and_b32 s38, s12, exec_lo
; %bb.40:                               ;   in Loop: Header=BB60_4 Depth=1
	s_wait_alu 0xfffe
	s_or_saveexec_b32 s70, s70
	v_dual_mov_b32 v5, 0 :: v_dual_mov_b32 v0, v172
	v_mov_b32_e32 v6, 0
	s_wait_alu 0xfffe
	s_xor_b32 exec_lo, exec_lo, s70
	s_cbranch_execz .LBB60_42
; %bb.41:                               ;   in Loop: Header=BB60_4 Depth=1
	ds_load_b128 v[3:6], v190 offset:528
	v_mov_b32_e32 v0, v175
	s_or_b32 s38, s38, exec_lo
	s_wait_dscnt 0x0
	v_xor_b32_e32 v6, 0x80000000, v6
	ds_store_b64 v175, v[3:4]
.LBB60_42:                              ;   in Loop: Header=BB60_4 Depth=1
	s_or_b32 exec_lo, exec_lo, s70
	s_wait_alu 0xfffe
	s_and_saveexec_b32 s70, s38
; %bb.43:                               ;   in Loop: Header=BB60_4 Depth=1
	ds_store_b64 v0, v[5:6] offset:8
; %bb.44:                               ;   in Loop: Header=BB60_4 Depth=1
	s_wait_alu 0xfffe
	s_or_b32 exec_lo, exec_lo, s70
	s_mov_b32 s38, 0
	s_and_saveexec_b32 s70, s13
	s_wait_alu 0xfffe
	s_xor_b32 s70, exec_lo, s70
; %bb.45:                               ;   in Loop: Header=BB60_4 Depth=1
	s_and_b32 s38, s14, exec_lo
; %bb.46:                               ;   in Loop: Header=BB60_4 Depth=1
	s_wait_alu 0xfffe
	s_or_saveexec_b32 s70, s70
	v_dual_mov_b32 v5, 0 :: v_dual_mov_b32 v0, v172
	v_mov_b32_e32 v6, 0
	s_wait_alu 0xfffe
	s_xor_b32 exec_lo, exec_lo, s70
	s_cbranch_execz .LBB60_48
; %bb.47:                               ;   in Loop: Header=BB60_4 Depth=1
	ds_load_b128 v[3:6], v190 offset:1056
	v_mov_b32_e32 v0, v177
	s_or_b32 s38, s38, exec_lo
	s_wait_dscnt 0x0
	v_xor_b32_e32 v6, 0x80000000, v6
	ds_store_b64 v177, v[3:4]
.LBB60_48:                              ;   in Loop: Header=BB60_4 Depth=1
	s_or_b32 exec_lo, exec_lo, s70
	s_wait_alu 0xfffe
	s_and_saveexec_b32 s70, s38
; %bb.49:                               ;   in Loop: Header=BB60_4 Depth=1
	ds_store_b64 v0, v[5:6] offset:8
; %bb.50:                               ;   in Loop: Header=BB60_4 Depth=1
	s_wait_alu 0xfffe
	s_or_b32 exec_lo, exec_lo, s70
	s_wait_loadcnt_dscnt 0x0
	s_barrier_signal -1
	s_barrier_wait -1
	global_inv scope:SCOPE_SE
	ds_load_b128 v[3:6], v189
	ds_load_b128 v[11:14], v178
	ds_load_b128 v[15:18], v178 offset:16
	ds_load_b128 v[19:22], v190
	s_wait_dscnt 0x2
	v_mul_f64_e32 v[0:1], v[13:14], v[5:6]
	v_mul_f64_e32 v[5:6], v[11:12], v[5:6]
	s_wait_dscnt 0x0
	v_mul_f64_e32 v[7:8], v[17:18], v[21:22]
	v_mul_f64_e32 v[29:30], v[15:16], v[21:22]
	s_delay_alu instid0(VALU_DEP_4) | instskip(NEXT) | instid1(VALU_DEP_4)
	v_fma_f64 v[0:1], v[11:12], v[3:4], -v[0:1]
	v_fma_f64 v[31:32], v[13:14], v[3:4], v[5:6]
	ds_load_b128 v[3:6], v190 offset:528
	ds_load_b128 v[11:14], v178 offset:32
	;; [unrolled: 1-line block ×4, first 2 shown]
	v_fma_f64 v[7:8], v[15:16], v[19:20], -v[7:8]
	v_fma_f64 v[15:16], v[17:18], v[19:20], v[29:30]
	s_wait_loadcnt_dscnt 0x0
	s_barrier_signal -1
	s_barrier_wait -1
	global_inv scope:SCOPE_SE
	v_mul_f64_e32 v[33:34], v[13:14], v[5:6]
	v_mul_f64_e32 v[5:6], v[11:12], v[5:6]
	;; [unrolled: 1-line block ×4, first 2 shown]
	v_add_f64_e32 v[0:1], 0, v[0:1]
	v_add_f64_e32 v[17:18], 0, v[31:32]
	v_fma_f64 v[11:12], v[11:12], v[3:4], -v[33:34]
	v_fma_f64 v[3:4], v[13:14], v[3:4], v[5:6]
	v_fma_f64 v[13:14], v[23:24], v[25:26], v[27:28]
	v_add_f64_e32 v[0:1], v[0:1], v[7:8]
	v_add_f64_e32 v[5:6], v[17:18], v[15:16]
	v_fma_f64 v[7:8], v[21:22], v[25:26], -v[19:20]
	s_delay_alu instid0(VALU_DEP_3) | instskip(NEXT) | instid1(VALU_DEP_3)
	v_add_f64_e32 v[0:1], v[0:1], v[11:12]
	v_add_f64_e32 v[3:4], v[5:6], v[3:4]
	v_mov_b32_e32 v5, 0
	v_mov_b32_e32 v6, 0
	s_delay_alu instid0(VALU_DEP_4) | instskip(NEXT) | instid1(VALU_DEP_4)
	v_add_f64_e32 v[11:12], v[0:1], v[7:8]
	v_add_f64_e32 v[13:14], v[3:4], v[13:14]
	v_mov_b32_e32 v7, 0
	v_mov_b32_e32 v8, 0
	ds_store_b128 v179, v[11:14]
	s_wait_loadcnt_dscnt 0x0
	s_barrier_signal -1
	s_barrier_wait -1
	global_inv scope:SCOPE_SE
	s_and_saveexec_b32 s38, s15
	s_cbranch_execz .LBB60_52
; %bb.51:                               ;   in Loop: Header=BB60_4 Depth=1
	ds_load_b128 v[3:6], v176
	ds_load_b128 v[11:14], v176 offset:16
	s_wait_dscnt 0x0
	v_add_f64_e32 v[0:1], v[11:12], v[3:4]
	v_add_f64_e32 v[7:8], v[13:14], v[5:6]
	ds_load_b128 v[3:6], v176 offset:32
	ds_load_b128 v[11:14], v176 offset:48
	s_wait_dscnt 0x1
	v_add_f64_e32 v[0:1], v[0:1], v[3:4]
	v_add_f64_e32 v[3:4], v[7:8], v[5:6]
	s_wait_dscnt 0x0
	s_delay_alu instid0(VALU_DEP_2) | instskip(NEXT) | instid1(VALU_DEP_2)
	v_add_f64_e32 v[0:1], v[0:1], v[11:12]
	v_add_f64_e32 v[7:8], v[3:4], v[13:14]
	ds_load_b128 v[3:6], v176 offset:64
	ds_load_b128 v[11:14], v176 offset:80
	s_wait_dscnt 0x1
	v_add_f64_e32 v[0:1], v[0:1], v[3:4]
	v_add_f64_e32 v[3:4], v[7:8], v[5:6]
	s_wait_dscnt 0x0
	s_delay_alu instid0(VALU_DEP_2) | instskip(NEXT) | instid1(VALU_DEP_2)
	;; [unrolled: 9-line block ×3, first 2 shown]
	v_add_f64_e32 v[5:6], v[0:1], v[11:12]
	v_add_f64_e32 v[7:8], v[3:4], v[13:14]
.LBB60_52:                              ;   in Loop: Header=BB60_4 Depth=1
	s_wait_alu 0xfffe
	s_or_b32 exec_lo, exec_lo, s38
	s_lshl_b64 s[70:71], s[54:55], 4
	s_mov_b32 s38, -1
	s_wait_alu 0xfffe
	v_add_co_u32 v0, vcc_lo, v9, s70
	s_wait_alu 0xfffd
	v_add_co_ci_u32_e64 v9, null, s71, v10, vcc_lo
	s_wait_loadcnt 0x0
	s_delay_alu instid0(VALU_DEP_2) | instskip(SKIP_1) | instid1(VALU_DEP_2)
	v_add_co_u32 v13, vcc_lo, 0x200, v0
	s_wait_alu 0xfffd
	v_add_co_ci_u32_e64 v14, null, 0, v9, vcc_lo
	s_and_not1_b32 vcc_lo, exec_lo, s73
	s_barrier_signal -1
	s_barrier_wait -1
	global_inv scope:SCOPE_SE
	s_wait_alu 0xfffe
	s_cbranch_vccnz .LBB60_54
; %bb.53:                               ;   in Loop: Header=BB60_4 Depth=1
	flat_load_b128 v[15:18], v[13:14]
	v_add_co_u32 v3, vcc_lo, v0, s46
	s_wait_alu 0xfffd
	v_add_co_ci_u32_e64 v4, null, s47, v9, vcc_lo
	s_mov_b32 s38, 0
	s_wait_loadcnt_dscnt 0x0
	ds_store_2addr_b64 v168, v[15:16], v[17:18] offset1:1
	flat_load_b128 v[15:18], v[3:4] offset:512
	v_add_co_u32 v3, vcc_lo, v3, s46
	s_wait_alu 0xfffd
	v_add_co_ci_u32_e64 v4, null, s47, v4, vcc_lo
	s_wait_loadcnt_dscnt 0x0
	ds_store_2addr_b64 v169, v[15:16], v[17:18] offset1:1
	flat_load_b128 v[15:18], v[3:4] offset:512
	v_add_co_u32 v3, vcc_lo, v3, s46
	s_wait_alu 0xfffd
	v_add_co_ci_u32_e64 v4, null, s47, v4, vcc_lo
	s_wait_loadcnt_dscnt 0x0
	ds_store_2addr_b64 v170, v[15:16], v[17:18] offset1:1
	flat_load_b128 v[15:18], v[3:4] offset:512
	s_wait_loadcnt_dscnt 0x0
	ds_store_2addr_b64 v171, v[15:16], v[17:18] offset1:1
.LBB60_54:                              ;   in Loop: Header=BB60_4 Depth=1
	s_wait_alu 0xfffe
	s_and_not1_b32 vcc_lo, exec_lo, s38
	s_wait_alu 0xfffe
	s_cbranch_vccnz .LBB60_66
; %bb.55:                               ;   in Loop: Header=BB60_4 Depth=1
	s_and_saveexec_b32 s38, s17
	s_wait_alu 0xfffe
	s_xor_b32 s38, exec_lo, s38
; %bb.56:                               ;   in Loop: Header=BB60_4 Depth=1
	v_dual_mov_b32 v1, v2 :: v_dual_mov_b32 v4, v2
	v_mov_b32_e32 v3, v2
	ds_store_b128 v168, v[1:4]
; %bb.57:                               ;   in Loop: Header=BB60_4 Depth=1
	s_wait_alu 0xfffe
	s_or_saveexec_b32 s38, s38
	v_add_co_u32 v0, vcc_lo, v0, v157
	s_wait_alu 0xfffd
	v_add_co_ci_u32_e64 v1, null, v9, v158, vcc_lo
	s_lshl_b64 s[70:71], s[44:45], 4
	s_wait_alu 0xfffe
	v_add_co_u32 v0, vcc_lo, v0, s70
	s_wait_alu 0xfffd
	v_add_co_ci_u32_e64 v1, null, s71, v1, vcc_lo
	s_delay_alu instid0(VALU_DEP_2) | instskip(SKIP_1) | instid1(VALU_DEP_2)
	v_add_co_u32 v0, vcc_lo, v0, -16
	s_wait_alu 0xfffd
	v_add_co_ci_u32_e64 v1, null, -1, v1, vcc_lo
	s_delay_alu instid0(VALU_DEP_2) | instskip(NEXT) | instid1(VALU_DEP_2)
	v_cndmask_b32_e64 v9, v0, v13, s16
	v_cndmask_b32_e64 v10, v1, v14, s16
	s_xor_b32 exec_lo, exec_lo, s38
	s_cbranch_execnz .LBB60_125
; %bb.58:                               ;   in Loop: Header=BB60_4 Depth=1
	s_or_b32 exec_lo, exec_lo, s38
	s_and_saveexec_b32 s38, s18
	s_wait_alu 0xfffe
	s_xor_b32 s38, exec_lo, s38
	s_cbranch_execnz .LBB60_126
.LBB60_59:                              ;   in Loop: Header=BB60_4 Depth=1
	s_wait_alu 0xfffe
	s_and_not1_saveexec_b32 s38, s38
	s_cbranch_execnz .LBB60_127
.LBB60_60:                              ;   in Loop: Header=BB60_4 Depth=1
	s_wait_alu 0xfffe
	s_or_b32 exec_lo, exec_lo, s38
	s_and_saveexec_b32 s38, s19
	s_wait_alu 0xfffe
	s_xor_b32 s38, exec_lo, s38
	s_cbranch_execnz .LBB60_128
.LBB60_61:                              ;   in Loop: Header=BB60_4 Depth=1
	s_wait_alu 0xfffe
	s_and_not1_saveexec_b32 s38, s38
	s_cbranch_execnz .LBB60_129
.LBB60_62:                              ;   in Loop: Header=BB60_4 Depth=1
	s_wait_alu 0xfffe
	s_or_b32 exec_lo, exec_lo, s38
	s_and_saveexec_b32 s38, s20
	s_wait_alu 0xfffe
	s_xor_b32 s38, exec_lo, s38
	s_cbranch_execnz .LBB60_130
.LBB60_63:                              ;   in Loop: Header=BB60_4 Depth=1
	s_wait_alu 0xfffe
	s_and_not1_saveexec_b32 s38, s38
	s_cbranch_execz .LBB60_65
.LBB60_64:                              ;   in Loop: Header=BB60_4 Depth=1
	v_add_co_u32 v0, vcc_lo, v9, s40
	s_wait_alu 0xfffd
	v_add_co_ci_u32_e64 v1, null, s41, v10, vcc_lo
	flat_load_b128 v[15:18], v[0:1]
	s_wait_loadcnt_dscnt 0x0
	ds_store_2addr_b64 v171, v[15:16], v[17:18] offset1:1
.LBB60_65:                              ;   in Loop: Header=BB60_4 Depth=1
	s_wait_alu 0xfffe
	s_or_b32 exec_lo, exec_lo, s38
	v_add_co_u32 v0, vcc_lo, v9, v193
	s_wait_alu 0xfffd
	v_add_co_ci_u32_e64 v1, null, 0, v10, vcc_lo
	s_lshl_b64 s[70:71], s[56:57], 4
	s_wait_alu 0xfffe
	v_add_co_u32 v0, vcc_lo, v0, s70
	s_wait_alu 0xfffd
	v_add_co_ci_u32_e64 v1, null, s71, v1, vcc_lo
	s_delay_alu instid0(VALU_DEP_2) | instskip(SKIP_1) | instid1(VALU_DEP_2)
	v_add_co_u32 v0, vcc_lo, 0x210, v0
	s_wait_alu 0xfffd
	v_add_co_ci_u32_e64 v1, null, 0, v1, vcc_lo
	s_delay_alu instid0(VALU_DEP_2) | instskip(NEXT) | instid1(VALU_DEP_2)
	v_cndmask_b32_e64 v13, v0, v13, s16
	v_cndmask_b32_e64 v14, v1, v14, s16
.LBB60_66:                              ;   in Loop: Header=BB60_4 Depth=1
	s_mov_b32 s38, 0
	s_wait_loadcnt_dscnt 0x0
	s_barrier_signal -1
	s_barrier_wait -1
	global_inv scope:SCOPE_SE
	s_and_saveexec_b32 s70, s7
	s_wait_alu 0xfffe
	s_xor_b32 s70, exec_lo, s70
; %bb.67:                               ;   in Loop: Header=BB60_4 Depth=1
	s_and_b32 s38, s8, exec_lo
; %bb.68:                               ;   in Loop: Header=BB60_4 Depth=1
	s_wait_alu 0xfffe
	s_or_saveexec_b32 s70, s70
	v_dual_mov_b32 v11, 0 :: v_dual_mov_b32 v0, v172
	v_mov_b32_e32 v12, 0
	s_wait_alu 0xfffe
	s_xor_b32 exec_lo, exec_lo, s70
	s_cbranch_execz .LBB60_70
; %bb.69:                               ;   in Loop: Header=BB60_4 Depth=1
	ds_load_b128 v[9:12], v189
	v_mov_b32_e32 v0, v173
	s_or_b32 s38, s38, exec_lo
	s_wait_dscnt 0x0
	v_xor_b32_e32 v12, 0x80000000, v12
	ds_store_b64 v173, v[9:10]
.LBB60_70:                              ;   in Loop: Header=BB60_4 Depth=1
	s_or_b32 exec_lo, exec_lo, s70
	s_wait_alu 0xfffe
	s_and_saveexec_b32 s70, s38
; %bb.71:                               ;   in Loop: Header=BB60_4 Depth=1
	ds_store_b64 v0, v[11:12] offset:8
; %bb.72:                               ;   in Loop: Header=BB60_4 Depth=1
	s_wait_alu 0xfffe
	s_or_b32 exec_lo, exec_lo, s70
	s_mov_b32 s38, 0
	s_and_saveexec_b32 s70, s9
	s_wait_alu 0xfffe
	s_xor_b32 s70, exec_lo, s70
; %bb.73:                               ;   in Loop: Header=BB60_4 Depth=1
	s_and_b32 s38, s10, exec_lo
; %bb.74:                               ;   in Loop: Header=BB60_4 Depth=1
	s_wait_alu 0xfffe
	s_or_saveexec_b32 s70, s70
	v_dual_mov_b32 v11, 0 :: v_dual_mov_b32 v0, v172
	v_mov_b32_e32 v12, 0
	s_wait_alu 0xfffe
	s_xor_b32 exec_lo, exec_lo, s70
	s_cbranch_execz .LBB60_76
; %bb.75:                               ;   in Loop: Header=BB60_4 Depth=1
	ds_load_b128 v[9:12], v190
	v_mov_b32_e32 v0, v174
	s_or_b32 s38, s38, exec_lo
	s_wait_dscnt 0x0
	v_xor_b32_e32 v12, 0x80000000, v12
	ds_store_b64 v174, v[9:10]
.LBB60_76:                              ;   in Loop: Header=BB60_4 Depth=1
	s_or_b32 exec_lo, exec_lo, s70
	s_wait_alu 0xfffe
	s_and_saveexec_b32 s70, s38
; %bb.77:                               ;   in Loop: Header=BB60_4 Depth=1
	ds_store_b64 v0, v[11:12] offset:8
; %bb.78:                               ;   in Loop: Header=BB60_4 Depth=1
	s_wait_alu 0xfffe
	s_or_b32 exec_lo, exec_lo, s70
	s_mov_b32 s38, 0
	s_and_saveexec_b32 s70, s11
	s_wait_alu 0xfffe
	s_xor_b32 s70, exec_lo, s70
; %bb.79:                               ;   in Loop: Header=BB60_4 Depth=1
	s_and_b32 s38, s12, exec_lo
; %bb.80:                               ;   in Loop: Header=BB60_4 Depth=1
	s_wait_alu 0xfffe
	s_or_saveexec_b32 s70, s70
	v_dual_mov_b32 v11, 0 :: v_dual_mov_b32 v0, v172
	v_mov_b32_e32 v12, 0
	s_wait_alu 0xfffe
	s_xor_b32 exec_lo, exec_lo, s70
	s_cbranch_execz .LBB60_82
; %bb.81:                               ;   in Loop: Header=BB60_4 Depth=1
	ds_load_b128 v[9:12], v190 offset:528
	v_mov_b32_e32 v0, v175
	s_or_b32 s38, s38, exec_lo
	s_wait_dscnt 0x0
	v_xor_b32_e32 v12, 0x80000000, v12
	ds_store_b64 v175, v[9:10]
.LBB60_82:                              ;   in Loop: Header=BB60_4 Depth=1
	s_or_b32 exec_lo, exec_lo, s70
	s_wait_alu 0xfffe
	s_and_saveexec_b32 s70, s38
; %bb.83:                               ;   in Loop: Header=BB60_4 Depth=1
	ds_store_b64 v0, v[11:12] offset:8
; %bb.84:                               ;   in Loop: Header=BB60_4 Depth=1
	s_wait_alu 0xfffe
	s_or_b32 exec_lo, exec_lo, s70
	s_mov_b32 s38, 0
	s_and_saveexec_b32 s70, s13
	s_wait_alu 0xfffe
	s_xor_b32 s70, exec_lo, s70
; %bb.85:                               ;   in Loop: Header=BB60_4 Depth=1
	s_and_b32 s38, s14, exec_lo
; %bb.86:                               ;   in Loop: Header=BB60_4 Depth=1
	s_wait_alu 0xfffe
	s_or_saveexec_b32 s70, s70
	v_dual_mov_b32 v11, 0 :: v_dual_mov_b32 v0, v172
	v_mov_b32_e32 v12, 0
	s_wait_alu 0xfffe
	s_xor_b32 exec_lo, exec_lo, s70
	s_cbranch_execz .LBB60_88
; %bb.87:                               ;   in Loop: Header=BB60_4 Depth=1
	ds_load_b128 v[9:12], v190 offset:1056
	v_mov_b32_e32 v0, v177
	s_or_b32 s38, s38, exec_lo
	s_wait_dscnt 0x0
	v_xor_b32_e32 v12, 0x80000000, v12
	ds_store_b64 v177, v[9:10]
.LBB60_88:                              ;   in Loop: Header=BB60_4 Depth=1
	s_or_b32 exec_lo, exec_lo, s70
	s_wait_alu 0xfffe
	s_and_saveexec_b32 s70, s38
; %bb.89:                               ;   in Loop: Header=BB60_4 Depth=1
	ds_store_b64 v0, v[11:12] offset:8
; %bb.90:                               ;   in Loop: Header=BB60_4 Depth=1
	s_wait_alu 0xfffe
	s_or_b32 exec_lo, exec_lo, s70
	s_wait_loadcnt_dscnt 0x0
	s_barrier_signal -1
	s_barrier_wait -1
	global_inv scope:SCOPE_SE
	ds_load_b128 v[9:12], v189
	ds_load_b128 v[15:18], v178 offset:512
	ds_load_b128 v[19:22], v178 offset:528
	ds_load_b128 v[23:26], v190
	s_wait_dscnt 0x2
	v_mul_f64_e32 v[0:1], v[17:18], v[11:12]
	v_mul_f64_e32 v[3:4], v[15:16], v[11:12]
	s_wait_dscnt 0x0
	v_mul_f64_e32 v[33:34], v[21:22], v[25:26]
	v_mul_f64_e32 v[35:36], v[19:20], v[25:26]
	s_delay_alu instid0(VALU_DEP_4) | instskip(NEXT) | instid1(VALU_DEP_4)
	v_fma_f64 v[0:1], v[15:16], v[9:10], -v[0:1]
	v_fma_f64 v[3:4], v[17:18], v[9:10], v[3:4]
	ds_load_b128 v[9:12], v190 offset:528
	ds_load_b128 v[15:18], v178 offset:544
	;; [unrolled: 1-line block ×4, first 2 shown]
	v_fma_f64 v[19:20], v[19:20], v[23:24], -v[33:34]
	v_fma_f64 v[21:22], v[21:22], v[23:24], v[35:36]
	s_wait_loadcnt_dscnt 0x0
	s_barrier_signal -1
	s_barrier_wait -1
	global_inv scope:SCOPE_SE
	v_mul_f64_e32 v[37:38], v[17:18], v[11:12]
	v_mul_f64_e32 v[11:12], v[15:16], v[11:12]
	;; [unrolled: 1-line block ×4, first 2 shown]
	v_add_f64_e32 v[0:1], 0, v[0:1]
	v_add_f64_e32 v[3:4], 0, v[3:4]
	v_fma_f64 v[15:16], v[15:16], v[9:10], -v[37:38]
	v_fma_f64 v[9:10], v[17:18], v[9:10], v[11:12]
	v_fma_f64 v[11:12], v[25:26], v[29:30], -v[23:24]
	v_fma_f64 v[17:18], v[27:28], v[29:30], v[31:32]
	v_add_f64_e32 v[0:1], v[0:1], v[19:20]
	v_add_f64_e32 v[3:4], v[3:4], v[21:22]
	s_delay_alu instid0(VALU_DEP_2) | instskip(NEXT) | instid1(VALU_DEP_2)
	v_add_f64_e32 v[0:1], v[0:1], v[15:16]
	v_add_f64_e32 v[3:4], v[3:4], v[9:10]
	s_delay_alu instid0(VALU_DEP_2) | instskip(NEXT) | instid1(VALU_DEP_2)
	v_add_f64_e32 v[9:10], v[0:1], v[11:12]
	v_add_f64_e32 v[11:12], v[3:4], v[17:18]
	ds_store_b128 v179, v[9:12]
	s_wait_loadcnt_dscnt 0x0
	s_barrier_signal -1
	s_barrier_wait -1
	global_inv scope:SCOPE_SE
	s_and_saveexec_b32 s38, s21
	s_cbranch_execz .LBB60_92
; %bb.91:                               ;   in Loop: Header=BB60_4 Depth=1
	ds_load_b128 v[3:6], v176
	ds_load_b128 v[7:10], v176 offset:16
	s_wait_dscnt 0x0
	v_add_f64_e32 v[0:1], v[7:8], v[3:4]
	v_add_f64_e32 v[11:12], v[9:10], v[5:6]
	ds_load_b128 v[3:6], v176 offset:32
	ds_load_b128 v[7:10], v176 offset:48
	s_wait_dscnt 0x1
	v_add_f64_e32 v[0:1], v[0:1], v[3:4]
	v_add_f64_e32 v[3:4], v[11:12], v[5:6]
	s_wait_dscnt 0x0
	s_delay_alu instid0(VALU_DEP_2) | instskip(NEXT) | instid1(VALU_DEP_2)
	v_add_f64_e32 v[0:1], v[0:1], v[7:8]
	v_add_f64_e32 v[11:12], v[3:4], v[9:10]
	ds_load_b128 v[3:6], v176 offset:64
	ds_load_b128 v[7:10], v176 offset:80
	s_wait_dscnt 0x1
	v_add_f64_e32 v[0:1], v[0:1], v[3:4]
	v_add_f64_e32 v[3:4], v[11:12], v[5:6]
	s_wait_dscnt 0x0
	s_delay_alu instid0(VALU_DEP_2) | instskip(NEXT) | instid1(VALU_DEP_2)
	;; [unrolled: 9-line block ×3, first 2 shown]
	v_add_f64_e32 v[5:6], v[0:1], v[7:8]
	v_add_f64_e32 v[7:8], v[3:4], v[9:10]
.LBB60_92:                              ;   in Loop: Header=BB60_4 Depth=1
	s_wait_alu 0xfffe
	s_or_b32 exec_lo, exec_lo, s38
	v_add_co_u32 v43, vcc_lo, v13, s64
	s_wait_alu 0xfffd
	v_add_co_ci_u32_e64 v44, null, s65, v14, vcc_lo
	s_and_not1_b32 vcc_lo, exec_lo, s73
	s_mov_b32 s38, -1
	s_wait_loadcnt 0x0
	s_barrier_signal -1
	s_barrier_wait -1
	global_inv scope:SCOPE_SE
	s_wait_alu 0xfffe
	s_cbranch_vccnz .LBB60_94
; %bb.93:                               ;   in Loop: Header=BB60_4 Depth=1
	flat_load_b128 v[9:12], v[43:44]
	v_add_co_u32 v0, vcc_lo, v43, s46
	s_wait_alu 0xfffd
	v_add_co_ci_u32_e64 v1, null, s47, v44, vcc_lo
	s_mov_b32 s38, 0
	s_wait_loadcnt_dscnt 0x0
	ds_store_2addr_b64 v168, v[9:10], v[11:12] offset1:1
	flat_load_b128 v[9:12], v[0:1]
	v_add_co_u32 v0, vcc_lo, v0, s46
	s_wait_alu 0xfffd
	v_add_co_ci_u32_e64 v1, null, s47, v1, vcc_lo
	s_wait_loadcnt_dscnt 0x0
	ds_store_2addr_b64 v169, v[9:10], v[11:12] offset1:1
	flat_load_b128 v[9:12], v[0:1]
	v_add_co_u32 v0, vcc_lo, v0, s46
	s_wait_alu 0xfffd
	v_add_co_ci_u32_e64 v1, null, s47, v1, vcc_lo
	s_wait_loadcnt_dscnt 0x0
	ds_store_2addr_b64 v170, v[9:10], v[11:12] offset1:1
	flat_load_b128 v[9:12], v[0:1]
	s_wait_loadcnt_dscnt 0x0
	ds_store_2addr_b64 v171, v[9:10], v[11:12] offset1:1
.LBB60_94:                              ;   in Loop: Header=BB60_4 Depth=1
	s_wait_alu 0xfffe
	s_and_not1_b32 vcc_lo, exec_lo, s38
	s_wait_alu 0xfffe
	s_cbranch_vccnz .LBB60_106
; %bb.95:                               ;   in Loop: Header=BB60_4 Depth=1
	s_and_saveexec_b32 s38, s3
	s_wait_alu 0xfffe
	s_xor_b32 s38, exec_lo, s38
; %bb.96:                               ;   in Loop: Header=BB60_4 Depth=1
	v_dual_mov_b32 v1, v2 :: v_dual_mov_b32 v4, v2
	v_mov_b32_e32 v3, v2
	ds_store_b128 v168, v[1:4]
; %bb.97:                               ;   in Loop: Header=BB60_4 Depth=1
	s_wait_alu 0xfffe
	s_or_saveexec_b32 s38, s38
	v_add_co_u32 v0, vcc_lo, v43, v157
	s_wait_alu 0xfffd
	v_add_co_ci_u32_e64 v1, null, v44, v158, vcc_lo
	s_lshl_b64 s[70:71], s[44:45], 4
	s_wait_alu 0xfffe
	v_add_co_u32 v0, vcc_lo, v0, s70
	s_wait_alu 0xfffd
	v_add_co_ci_u32_e64 v1, null, s71, v1, vcc_lo
	s_delay_alu instid0(VALU_DEP_2) | instskip(SKIP_1) | instid1(VALU_DEP_2)
	v_add_co_u32 v0, vcc_lo, 0xfffffdf0, v0
	s_wait_alu 0xfffd
	v_add_co_ci_u32_e64 v1, null, -1, v1, vcc_lo
	s_delay_alu instid0(VALU_DEP_2) | instskip(NEXT) | instid1(VALU_DEP_2)
	v_cndmask_b32_e64 v9, v0, v43, s16
	v_cndmask_b32_e64 v10, v1, v44, s16
	s_xor_b32 exec_lo, exec_lo, s38
	s_cbranch_execnz .LBB60_131
; %bb.98:                               ;   in Loop: Header=BB60_4 Depth=1
	s_or_b32 exec_lo, exec_lo, s38
	s_and_saveexec_b32 s38, s4
	s_wait_alu 0xfffe
	s_xor_b32 s38, exec_lo, s38
	s_cbranch_execnz .LBB60_132
.LBB60_99:                              ;   in Loop: Header=BB60_4 Depth=1
	s_wait_alu 0xfffe
	s_and_not1_saveexec_b32 s38, s38
	s_cbranch_execnz .LBB60_133
.LBB60_100:                             ;   in Loop: Header=BB60_4 Depth=1
	s_wait_alu 0xfffe
	s_or_b32 exec_lo, exec_lo, s38
	s_and_saveexec_b32 s38, s5
	s_wait_alu 0xfffe
	s_xor_b32 s38, exec_lo, s38
	s_cbranch_execnz .LBB60_134
.LBB60_101:                             ;   in Loop: Header=BB60_4 Depth=1
	s_wait_alu 0xfffe
	s_and_not1_saveexec_b32 s38, s38
	s_cbranch_execnz .LBB60_135
.LBB60_102:                             ;   in Loop: Header=BB60_4 Depth=1
	s_wait_alu 0xfffe
	s_or_b32 exec_lo, exec_lo, s38
	s_and_saveexec_b32 s38, s6
	s_wait_alu 0xfffe
	s_xor_b32 s38, exec_lo, s38
	s_cbranch_execnz .LBB60_136
.LBB60_103:                             ;   in Loop: Header=BB60_4 Depth=1
	s_wait_alu 0xfffe
	s_and_not1_saveexec_b32 s38, s38
	s_cbranch_execz .LBB60_105
.LBB60_104:                             ;   in Loop: Header=BB60_4 Depth=1
	v_add_co_u32 v0, vcc_lo, v9, s40
	s_wait_alu 0xfffd
	v_add_co_ci_u32_e64 v1, null, s41, v10, vcc_lo
	flat_load_b128 v[11:14], v[0:1]
	s_wait_loadcnt_dscnt 0x0
	ds_store_2addr_b64 v171, v[11:12], v[13:14] offset1:1
.LBB60_105:                             ;   in Loop: Header=BB60_4 Depth=1
	s_wait_alu 0xfffe
	s_or_b32 exec_lo, exec_lo, s38
	v_add_co_u32 v0, vcc_lo, v9, v193
	s_wait_alu 0xfffd
	v_add_co_ci_u32_e64 v1, null, 0, v10, vcc_lo
	s_lshl_b64 s[70:71], s[56:57], 4
	s_wait_alu 0xfffe
	v_add_co_u32 v0, vcc_lo, v0, s70
	s_wait_alu 0xfffd
	v_add_co_ci_u32_e64 v1, null, s71, v1, vcc_lo
	s_delay_alu instid0(VALU_DEP_2) | instskip(SKIP_1) | instid1(VALU_DEP_2)
	v_add_co_u32 v0, vcc_lo, 0x210, v0
	s_wait_alu 0xfffd
	v_add_co_ci_u32_e64 v1, null, 0, v1, vcc_lo
	s_delay_alu instid0(VALU_DEP_2) | instskip(NEXT) | instid1(VALU_DEP_2)
	v_cndmask_b32_e64 v43, v0, v43, s16
	v_cndmask_b32_e64 v44, v1, v44, s16
.LBB60_106:                             ;   in Loop: Header=BB60_4 Depth=1
	s_wait_loadcnt_dscnt 0x0
	s_barrier_signal -1
	s_barrier_wait -1
	global_inv scope:SCOPE_SE
	ds_load_b128 v[9:12], v191
	ds_load_b128 v[13:16], v168
	;; [unrolled: 1-line block ×3, first 2 shown]
	ds_load_b128 v[21:24], v188 offset:384
	ds_load_b128 v[25:28], v188 offset:128
	;; [unrolled: 1-line block ×3, first 2 shown]
	s_wait_dscnt 0x4
	v_mul_f64_e32 v[0:1], v[11:12], v[15:16]
	v_mul_f64_e32 v[3:4], v[9:10], v[15:16]
	s_wait_dscnt 0x1
	v_mul_f64_e32 v[33:34], v[27:28], v[19:20]
	v_mul_f64_e32 v[19:20], v[25:26], v[19:20]
	s_delay_alu instid0(VALU_DEP_4) | instskip(NEXT) | instid1(VALU_DEP_4)
	v_fma_f64 v[0:1], v[9:10], v[13:14], -v[0:1]
	v_fma_f64 v[3:4], v[11:12], v[13:14], v[3:4]
	ds_load_b128 v[9:12], v170
	ds_load_b128 v[13:16], v171
	v_fma_f64 v[25:26], v[25:26], v[17:18], -v[33:34]
	v_fma_f64 v[17:18], v[27:28], v[17:18], v[19:20]
	s_wait_dscnt 0x1
	v_mul_f64_e32 v[35:36], v[31:32], v[11:12]
	v_mul_f64_e32 v[11:12], v[29:30], v[11:12]
	s_wait_dscnt 0x0
	v_mul_f64_e32 v[19:20], v[23:24], v[15:16]
	v_mul_f64_e32 v[15:16], v[21:22], v[15:16]
	v_add_f64_e32 v[0:1], 0, v[0:1]
	v_add_f64_e32 v[3:4], 0, v[3:4]
	v_fma_f64 v[27:28], v[29:30], v[9:10], -v[35:36]
	v_fma_f64 v[9:10], v[31:32], v[9:10], v[11:12]
	v_fma_f64 v[11:12], v[21:22], v[13:14], -v[19:20]
	v_fma_f64 v[13:14], v[23:24], v[13:14], v[15:16]
	v_add_f64_e32 v[0:1], v[0:1], v[25:26]
	v_add_f64_e32 v[3:4], v[3:4], v[17:18]
	s_delay_alu instid0(VALU_DEP_2) | instskip(NEXT) | instid1(VALU_DEP_2)
	v_add_f64_e32 v[0:1], v[0:1], v[27:28]
	v_add_f64_e32 v[3:4], v[3:4], v[9:10]
	s_delay_alu instid0(VALU_DEP_2) | instskip(NEXT) | instid1(VALU_DEP_2)
	v_add_f64_e32 v[45:46], v[0:1], v[11:12]
	v_add_f64_e32 v[47:48], v[3:4], v[13:14]
	ds_load_b128 v[33:36], v180
	ds_load_b128 v[25:28], v180 offset:16
	ds_load_b128 v[13:16], v180 offset:32
	;; [unrolled: 1-line block ×7, first 2 shown]
	s_wait_loadcnt_dscnt 0x0
	s_barrier_signal -1
	s_barrier_wait -1
	global_inv scope:SCOPE_SE
	ds_store_b128 v179, v[45:48]
	s_wait_loadcnt_dscnt 0x0
	s_barrier_signal -1
	s_barrier_wait -1
	global_inv scope:SCOPE_SE
	s_and_saveexec_b32 s38, s21
	s_cbranch_execz .LBB60_108
; %bb.107:                              ;   in Loop: Header=BB60_4 Depth=1
	ds_load_b128 v[45:48], v176
	ds_load_b128 v[49:52], v176 offset:16
	s_wait_dscnt 0x1
	v_add_f64_e32 v[0:1], v[5:6], v[45:46]
	v_add_f64_e32 v[3:4], v[7:8], v[47:48]
	s_wait_dscnt 0x0
	s_delay_alu instid0(VALU_DEP_2) | instskip(NEXT) | instid1(VALU_DEP_2)
	v_add_f64_e32 v[0:1], v[0:1], v[49:50]
	v_add_f64_e32 v[7:8], v[3:4], v[51:52]
	ds_load_b128 v[3:6], v176 offset:32
	ds_load_b128 v[45:48], v176 offset:48
	s_wait_dscnt 0x1
	v_add_f64_e32 v[0:1], v[0:1], v[3:4]
	v_add_f64_e32 v[3:4], v[7:8], v[5:6]
	s_wait_dscnt 0x0
	s_delay_alu instid0(VALU_DEP_2) | instskip(NEXT) | instid1(VALU_DEP_2)
	v_add_f64_e32 v[0:1], v[0:1], v[45:46]
	v_add_f64_e32 v[7:8], v[3:4], v[47:48]
	ds_load_b128 v[3:6], v176 offset:64
	;; [unrolled: 9-line block ×3, first 2 shown]
	ds_load_b128 v[45:48], v176 offset:112
	s_wait_dscnt 0x1
	v_add_f64_e32 v[0:1], v[0:1], v[3:4]
	v_add_f64_e32 v[3:4], v[7:8], v[5:6]
	s_wait_dscnt 0x0
	s_delay_alu instid0(VALU_DEP_2) | instskip(NEXT) | instid1(VALU_DEP_2)
	v_add_f64_e32 v[5:6], v[0:1], v[45:46]
	v_add_f64_e32 v[7:8], v[3:4], v[47:48]
.LBB60_108:                             ;   in Loop: Header=BB60_4 Depth=1
	s_wait_alu 0xfffe
	s_or_b32 exec_lo, exec_lo, s38
	v_mul_f64_e32 v[0:1], v[35:36], v[39:40]
	v_mul_f64_e32 v[3:4], v[35:36], v[37:38]
	;; [unrolled: 1-line block ×4, first 2 shown]
	s_wait_loadcnt 0x0
	s_barrier_signal -1
	s_barrier_wait -1
	global_inv scope:SCOPE_SE
	v_fma_f64 v[0:1], v[33:34], v[37:38], v[0:1]
	v_fma_f64 v[3:4], v[33:34], v[39:40], -v[3:4]
	v_mul_f64_e32 v[33:34], v[15:16], v[23:24]
	v_mul_f64_e32 v[15:16], v[15:16], v[21:22]
	v_fma_f64 v[29:30], v[25:26], v[29:30], v[35:36]
	v_fma_f64 v[25:26], v[25:26], v[31:32], -v[27:28]
	v_mul_f64_e32 v[27:28], v[11:12], v[19:20]
	v_mul_f64_e32 v[11:12], v[11:12], v[17:18]
	v_add_f64_e32 v[0:1], 0, v[0:1]
	v_add_f64_e32 v[3:4], 0, v[3:4]
	v_fma_f64 v[21:22], v[13:14], v[21:22], v[33:34]
	v_fma_f64 v[13:14], v[13:14], v[23:24], -v[15:16]
	v_fma_f64 v[15:16], v[9:10], v[17:18], v[27:28]
	v_fma_f64 v[11:12], v[9:10], v[19:20], -v[11:12]
	v_add_f64_e32 v[0:1], v[0:1], v[29:30]
	v_add_f64_e32 v[3:4], v[3:4], v[25:26]
	s_delay_alu instid0(VALU_DEP_2) | instskip(NEXT) | instid1(VALU_DEP_2)
	v_add_f64_e32 v[0:1], v[0:1], v[21:22]
	v_add_f64_e32 v[3:4], v[3:4], v[13:14]
	s_delay_alu instid0(VALU_DEP_2) | instskip(NEXT) | instid1(VALU_DEP_2)
	v_add_f64_e32 v[9:10], v[0:1], v[15:16]
	v_add_f64_e32 v[11:12], v[3:4], v[11:12]
	ds_store_b128 v179, v[9:12]
	s_wait_loadcnt_dscnt 0x0
	s_barrier_signal -1
	s_barrier_wait -1
	global_inv scope:SCOPE_SE
	s_and_saveexec_b32 s38, s15
	s_cbranch_execz .LBB60_110
; %bb.109:                              ;   in Loop: Header=BB60_4 Depth=1
	ds_load_b128 v[9:12], v176
	ds_load_b128 v[13:16], v176 offset:16
	s_wait_dscnt 0x1
	v_add_f64_e32 v[0:1], v[5:6], v[9:10]
	v_add_f64_e32 v[3:4], v[7:8], v[11:12]
	s_wait_dscnt 0x0
	s_delay_alu instid0(VALU_DEP_2) | instskip(NEXT) | instid1(VALU_DEP_2)
	v_add_f64_e32 v[0:1], v[0:1], v[13:14]
	v_add_f64_e32 v[11:12], v[3:4], v[15:16]
	ds_load_b128 v[3:6], v176 offset:32
	ds_load_b128 v[7:10], v176 offset:48
	s_wait_dscnt 0x1
	v_add_f64_e32 v[0:1], v[0:1], v[3:4]
	v_add_f64_e32 v[3:4], v[11:12], v[5:6]
	s_wait_dscnt 0x0
	s_delay_alu instid0(VALU_DEP_2) | instskip(NEXT) | instid1(VALU_DEP_2)
	v_add_f64_e32 v[0:1], v[0:1], v[7:8]
	v_add_f64_e32 v[11:12], v[3:4], v[9:10]
	ds_load_b128 v[3:6], v176 offset:64
	;; [unrolled: 9-line block ×3, first 2 shown]
	ds_load_b128 v[7:10], v176 offset:112
	s_wait_dscnt 0x1
	v_add_f64_e32 v[0:1], v[0:1], v[3:4]
	v_add_f64_e32 v[3:4], v[11:12], v[5:6]
	s_wait_dscnt 0x0
	s_delay_alu instid0(VALU_DEP_2) | instskip(NEXT) | instid1(VALU_DEP_2)
	v_add_f64_e32 v[5:6], v[0:1], v[7:8]
	v_add_f64_e32 v[7:8], v[3:4], v[9:10]
.LBB60_110:                             ;   in Loop: Header=BB60_4 Depth=1
	s_wait_alu 0xfffe
	s_or_b32 exec_lo, exec_lo, s38
	s_mul_u64 s[70:71], s[42:43], s[34:35]
	s_and_not1_b32 vcc_lo, exec_lo, s74
	s_wait_alu 0xfffe
	s_lshl_b64 s[70:71], s[70:71], 4
	s_wait_loadcnt 0x0
	s_wait_alu 0xfffe
	s_add_nc_u64 s[70:71], s[52:53], s[70:71]
	s_barrier_signal -1
	s_barrier_wait -1
	global_inv scope:SCOPE_SE
	s_cbranch_vccnz .LBB60_117
; %bb.111:                              ;   in Loop: Header=BB60_4 Depth=1
	v_add_co_u32 v0, vcc_lo, v43, s68
	s_wait_alu 0xfffd
	v_add_co_ci_u32_e64 v1, null, s69, v44, vcc_lo
	v_lshlrev_b32_e32 v3, 4, v165
	s_delay_alu instid0(VALU_DEP_3) | instskip(SKIP_1) | instid1(VALU_DEP_3)
	v_add_co_u32 v0, vcc_lo, v0, v159
	s_wait_alu 0xfffd
	v_add_co_ci_u32_e64 v1, null, v1, v160, vcc_lo
	s_lshl_b64 s[76:77], s[44:45], 4
	v_add_co_u32 v0, vcc_lo, v0, v161
	s_wait_alu 0xfffd
	v_add_co_ci_u32_e64 v1, null, v1, v162, vcc_lo
	s_mov_b32 s35, ttmp9
	s_wait_alu 0xfffe
	v_add_co_u32 v4, vcc_lo, v0, s76
	s_wait_alu 0xfffd
	v_add_co_ci_u32_e64 v9, null, s77, v1, vcc_lo
	v_add_co_u32 v0, vcc_lo, v0, v3
	s_wait_alu 0xfffd
	v_add_co_ci_u32_e64 v1, null, 0, v1, vcc_lo
	v_add_co_u32 v3, vcc_lo, 0xfffffdf0, v4
	s_wait_alu 0xfffd
	v_add_co_ci_u32_e64 v4, null, -1, v9, vcc_lo
	v_add_co_u32 v0, vcc_lo, 0xfffffe00, v0
	s_wait_alu 0xfffd
	v_add_co_ci_u32_e64 v1, null, -1, v1, vcc_lo
	v_add_co_u32 v194, vcc_lo, v41, s66
	s_wait_alu 0xfffd
	v_add_co_ci_u32_e64 v195, null, s67, v42, vcc_lo
	s_delay_alu instid0(VALU_DEP_3)
	v_cndmask_b32_e64 v1, v1, v4, s2
	v_cndmask_b32_e64 v0, v0, v3, s2
	s_mov_b32 s38, 0
	s_branch .LBB60_113
.LBB60_112:                             ;   in Loop: Header=BB60_113 Depth=2
	s_wait_alu 0xfffe
	s_or_b32 exec_lo, exec_lo, s76
	v_mul_f64_e32 v[0:1], v[19:20], v[27:28]
	v_mul_f64_e32 v[27:28], v[17:18], v[27:28]
	v_mul_f64_e32 v[89:90], v[23:24], v[43:44]
	v_mul_f64_e32 v[43:44], v[21:22], v[43:44]
	s_add_co_i32 s35, s35, -1
	s_add_co_i32 s38, s38, 64
	s_cmp_eq_u32 s35, 0
	s_wait_loadcnt 0x0
	s_wait_storecnt 0x0
	s_barrier_signal -1
	s_barrier_wait -1
	global_inv scope:SCOPE_SE
	v_fma_f64 v[0:1], v[17:18], v[25:26], -v[0:1]
	v_fma_f64 v[17:18], v[19:20], v[25:26], v[27:28]
	v_mul_f64_e32 v[19:20], v[15:16], v[39:40]
	v_mul_f64_e32 v[25:26], v[13:14], v[39:40]
	v_fma_f64 v[21:22], v[21:22], v[41:42], -v[89:90]
	v_fma_f64 v[23:24], v[23:24], v[41:42], v[43:44]
	v_add_f64_e32 v[0:1], v[5:6], v[0:1]
	v_add_f64_e32 v[5:6], v[7:8], v[17:18]
	v_mul_f64_e32 v[7:8], v[11:12], v[35:36]
	v_mul_f64_e32 v[17:18], v[9:10], v[35:36]
	v_fma_f64 v[13:14], v[13:14], v[37:38], -v[19:20]
	v_fma_f64 v[15:16], v[15:16], v[37:38], v[25:26]
	v_mul_f64_e32 v[19:20], v[31:32], v[59:60]
	v_add_f64_e32 v[0:1], v[0:1], v[21:22]
	v_add_f64_e32 v[5:6], v[5:6], v[23:24]
	v_mul_f64_e32 v[21:22], v[29:30], v[59:60]
	v_fma_f64 v[7:8], v[9:10], v[33:34], -v[7:8]
	v_fma_f64 v[9:10], v[11:12], v[33:34], v[17:18]
	v_mul_f64_e32 v[11:12], v[55:56], v[75:76]
	v_add_f64_e32 v[0:1], v[0:1], v[13:14]
	v_add_f64_e32 v[5:6], v[5:6], v[15:16]
	v_mul_f64_e32 v[13:14], v[53:54], v[75:76]
	v_fma_f64 v[15:16], v[29:30], v[57:58], -v[19:20]
	v_fma_f64 v[17:18], v[31:32], v[57:58], v[21:22]
	v_fma_f64 v[11:12], v[53:54], v[73:74], -v[11:12]
	v_add_f64_e32 v[0:1], v[0:1], v[7:8]
	v_add_f64_e32 v[5:6], v[5:6], v[9:10]
	v_mul_f64_e32 v[7:8], v[51:52], v[71:72]
	v_mul_f64_e32 v[9:10], v[49:50], v[71:72]
	v_fma_f64 v[13:14], v[55:56], v[73:74], v[13:14]
	v_add_f64_e32 v[0:1], v[0:1], v[15:16]
	v_add_f64_e32 v[5:6], v[5:6], v[17:18]
	v_mul_f64_e32 v[15:16], v[47:48], v[67:68]
	v_mul_f64_e32 v[17:18], v[45:46], v[67:68]
	v_fma_f64 v[7:8], v[49:50], v[69:70], -v[7:8]
	v_fma_f64 v[9:10], v[51:52], v[69:70], v[9:10]
	v_add_f64_e32 v[0:1], v[0:1], v[11:12]
	v_add_f64_e32 v[5:6], v[5:6], v[13:14]
	v_mul_f64_e32 v[11:12], v[63:64], v[95:96]
	v_mul_f64_e32 v[13:14], v[61:62], v[95:96]
	v_fma_f64 v[15:16], v[45:46], v[65:66], -v[15:16]
	;; [unrolled: 6-line block ×9, first 2 shown]
	v_fma_f64 v[13:14], v[127:128], v[145:146], v[13:14]
	v_add_f64_e32 v[0:1], v[0:1], v[15:16]
	v_add_f64_e32 v[5:6], v[5:6], v[17:18]
	v_fma_f64 v[7:8], v[133:134], v[141:142], -v[7:8]
	v_fma_f64 v[9:10], v[135:136], v[141:142], v[9:10]
	s_delay_alu instid0(VALU_DEP_4) | instskip(NEXT) | instid1(VALU_DEP_4)
	v_add_f64_e32 v[0:1], v[0:1], v[11:12]
	v_add_f64_e32 v[11:12], v[5:6], v[13:14]
	s_delay_alu instid0(VALU_DEP_2) | instskip(NEXT) | instid1(VALU_DEP_2)
	v_add_f64_e32 v[5:6], v[0:1], v[7:8]
	v_add_f64_e32 v[7:8], v[11:12], v[9:10]
	v_add_co_u32 v0, vcc_lo, v3, s60
	s_wait_alu 0xfffd
	v_add_co_ci_u32_e64 v1, null, s61, v4, vcc_lo
	s_cbranch_scc1 .LBB60_117
.LBB60_113:                             ;   Parent Loop BB60_4 Depth=1
                                        ; =>  This Inner Loop Header: Depth=2
	s_and_saveexec_b32 s76, s0
	s_cbranch_execz .LBB60_115
; %bb.114:                              ;   in Loop: Header=BB60_113 Depth=2
	s_wait_alu 0xfffe
	s_mul_u64 s[78:79], s[36:37], s[38:39]
	s_wait_alu 0xfffe
	s_lshl_b64 s[78:79], s[78:79], 4
	s_wait_alu 0xfffe
	v_add_co_u32 v3, vcc_lo, v194, s78
	s_wait_alu 0xfffd
	v_add_co_ci_u32_e64 v4, null, s79, v195, vcc_lo
	flat_load_b128 v[9:12], v[3:4]
	s_wait_loadcnt_dscnt 0x0
	ds_store_2addr_b64 v181, v[9:10], v[11:12] offset1:1
.LBB60_115:                             ;   in Loop: Header=BB60_113 Depth=2
	s_wait_alu 0xfffe
	s_or_b32 exec_lo, exec_lo, s76
	v_add_co_u32 v3, vcc_lo, v0, s58
	s_wait_alu 0xfffd
	v_add_co_ci_u32_e64 v4, null, s59, v1, vcc_lo
	s_wait_loadcnt_dscnt 0x0
	s_delay_alu instid0(VALU_DEP_2) | instskip(SKIP_1) | instid1(VALU_DEP_2)
	v_add_co_u32 v9, vcc_lo, v3, s58
	s_wait_alu 0xfffd
	v_add_co_ci_u32_e64 v10, null, s59, v4, vcc_lo
	s_barrier_signal -1
	s_barrier_wait -1
	global_inv scope:SCOPE_SE
	flat_load_b128 v[17:20], v[0:1]
	v_add_co_u32 v0, vcc_lo, v9, s58
	s_wait_alu 0xfffd
	v_add_co_ci_u32_e64 v1, null, s59, v10, vcc_lo
	s_clause 0x2
	flat_load_b128 v[21:24], v[3:4]
	flat_load_b128 v[13:16], v[9:10]
	;; [unrolled: 1-line block ×3, first 2 shown]
	ds_load_b128 v[29:32], v167
	ds_load_b128 v[25:28], v182
	v_add_co_u32 v0, vcc_lo, v0, s60
	s_wait_alu 0xfffd
	v_add_co_ci_u32_e64 v1, null, s61, v1, vcc_lo
	s_wait_loadcnt_dscnt 0x301
	v_mul_f64_e32 v[3:4], v[19:20], v[31:32]
	v_mul_f64_e32 v[33:34], v[19:20], v[29:30]
	s_wait_loadcnt 0x2
	v_mul_f64_e32 v[35:36], v[23:24], v[31:32]
	v_mul_f64_e32 v[37:38], v[23:24], v[29:30]
	s_wait_loadcnt 0x1
	;; [unrolled: 3-line block ×3, first 2 shown]
	v_mul_f64_e32 v[43:44], v[11:12], v[31:32]
	v_mul_f64_e32 v[57:58], v[11:12], v[29:30]
	v_fma_f64 v[45:46], v[17:18], v[29:30], v[3:4]
	v_fma_f64 v[47:48], v[17:18], v[31:32], -v[33:34]
	v_add_co_u32 v3, vcc_lo, v0, s58
	v_fma_f64 v[49:50], v[21:22], v[29:30], v[35:36]
	v_fma_f64 v[51:52], v[21:22], v[31:32], -v[37:38]
	v_fma_f64 v[53:54], v[13:14], v[29:30], v[39:40]
	v_fma_f64 v[55:56], v[13:14], v[31:32], -v[41:42]
	;; [unrolled: 2-line block ×3, first 2 shown]
	s_wait_alu 0xfffd
	v_add_co_ci_u32_e64 v4, null, s59, v1, vcc_lo
	v_add_co_u32 v57, vcc_lo, v3, s58
	ds_load_b128 v[41:44], v182 offset:16
	ds_load_b128 v[37:40], v182 offset:32
	s_wait_alu 0xfffd
	v_add_co_ci_u32_e64 v58, null, s59, v4, vcc_lo
	ds_load_b128 v[33:36], v182 offset:48
	ds_store_b128 v183, v[45:48]
	ds_store_b128 v183, v[49:52] offset:1072
	ds_store_b128 v183, v[53:56] offset:2144
	;; [unrolled: 1-line block ×3, first 2 shown]
	s_wait_dscnt 0x0
	s_barrier_signal -1
	s_barrier_wait -1
	global_inv scope:SCOPE_SE
	ds_load_b128 v[105:108], v184
	ds_load_b128 v[101:104], v184 offset:16
	ds_load_b128 v[97:100], v184 offset:32
	;; [unrolled: 1-line block ×3, first 2 shown]
	s_wait_loadcnt_dscnt 0x0
	s_barrier_signal -1
	s_barrier_wait -1
	global_inv scope:SCOPE_SE
	flat_load_b128 v[29:32], v[0:1]
	v_add_co_u32 v0, vcc_lo, v57, s58
	s_wait_alu 0xfffd
	v_add_co_ci_u32_e64 v1, null, s59, v58, vcc_lo
	s_clause 0x2
	flat_load_b128 v[53:56], v[3:4]
	flat_load_b128 v[49:52], v[57:58]
	;; [unrolled: 1-line block ×3, first 2 shown]
	ds_load_b128 v[61:64], v167
	ds_load_b128 v[57:60], v182 offset:256
	v_add_co_u32 v0, vcc_lo, v0, s60
	s_wait_alu 0xfffd
	v_add_co_ci_u32_e64 v1, null, s61, v1, vcc_lo
	s_wait_loadcnt_dscnt 0x301
	v_mul_f64_e32 v[3:4], v[31:32], v[63:64]
	v_mul_f64_e32 v[65:66], v[31:32], v[61:62]
	s_wait_loadcnt 0x2
	v_mul_f64_e32 v[67:68], v[55:56], v[63:64]
	v_mul_f64_e32 v[69:70], v[55:56], v[61:62]
	s_wait_loadcnt 0x1
	v_mul_f64_e32 v[71:72], v[51:52], v[63:64]
	v_mul_f64_e32 v[73:74], v[51:52], v[61:62]
	s_wait_loadcnt 0x0
	v_mul_f64_e32 v[75:76], v[47:48], v[63:64]
	v_mul_f64_e32 v[93:94], v[47:48], v[61:62]
	v_fma_f64 v[77:78], v[29:30], v[61:62], v[3:4]
	v_fma_f64 v[79:80], v[29:30], v[63:64], -v[65:66]
	v_add_co_u32 v3, vcc_lo, v0, s58
	v_fma_f64 v[81:82], v[53:54], v[61:62], v[67:68]
	v_fma_f64 v[83:84], v[53:54], v[63:64], -v[69:70]
	v_fma_f64 v[85:86], v[49:50], v[61:62], v[71:72]
	v_fma_f64 v[87:88], v[49:50], v[63:64], -v[73:74]
	;; [unrolled: 2-line block ×3, first 2 shown]
	s_wait_alu 0xfffd
	v_add_co_ci_u32_e64 v4, null, s59, v1, vcc_lo
	v_add_co_u32 v93, vcc_lo, v3, s58
	ds_load_b128 v[73:76], v182 offset:272
	ds_load_b128 v[69:72], v182 offset:288
	;; [unrolled: 1-line block ×3, first 2 shown]
	s_wait_alu 0xfffd
	v_add_co_ci_u32_e64 v94, null, s59, v4, vcc_lo
	ds_store_b128 v183, v[77:80]
	ds_store_b128 v183, v[81:84] offset:1072
	ds_store_b128 v183, v[85:88] offset:2144
	;; [unrolled: 1-line block ×3, first 2 shown]
	s_wait_dscnt 0x0
	s_barrier_signal -1
	s_barrier_wait -1
	global_inv scope:SCOPE_SE
	ds_load_b128 v[196:199], v184
	ds_load_b128 v[200:203], v184 offset:16
	ds_load_b128 v[204:207], v184 offset:32
	;; [unrolled: 1-line block ×3, first 2 shown]
	s_wait_loadcnt_dscnt 0x0
	s_barrier_signal -1
	s_barrier_wait -1
	global_inv scope:SCOPE_SE
	flat_load_b128 v[61:64], v[0:1]
	v_add_co_u32 v0, vcc_lo, v93, s58
	s_wait_alu 0xfffd
	v_add_co_ci_u32_e64 v1, null, s59, v94, vcc_lo
	s_clause 0x1
	flat_load_b128 v[85:88], v[3:4]
	flat_load_b128 v[77:80], v[93:94]
	;; [unrolled: 1-line block ×3, first 2 shown]
	ds_load_b128 v[109:112], v167
	ds_load_b128 v[93:96], v182 offset:512
	v_add_co_u32 v0, vcc_lo, v0, s60
	s_wait_alu 0xfffd
	v_add_co_ci_u32_e64 v1, null, s61, v1, vcc_lo
	v_add_f64_e32 v[196:197], 0, v[196:197]
	v_add_f64_e32 v[198:199], 0, v[198:199]
	s_delay_alu instid0(VALU_DEP_2) | instskip(NEXT) | instid1(VALU_DEP_2)
	v_add_f64_e32 v[196:197], v[196:197], v[200:201]
	v_add_f64_e32 v[198:199], v[198:199], v[202:203]
	s_delay_alu instid0(VALU_DEP_2) | instskip(NEXT) | instid1(VALU_DEP_2)
	v_add_f64_e32 v[196:197], v[196:197], v[204:205]
	v_add_f64_e32 v[198:199], v[198:199], v[206:207]
	s_wait_loadcnt_dscnt 0x301
	v_mul_f64_e32 v[3:4], v[63:64], v[111:112]
	v_mul_f64_e32 v[113:114], v[63:64], v[109:110]
	s_wait_loadcnt 0x2
	v_mul_f64_e32 v[115:116], v[87:88], v[111:112]
	v_mul_f64_e32 v[121:122], v[87:88], v[109:110]
	s_wait_loadcnt 0x1
	;; [unrolled: 3-line block ×3, first 2 shown]
	v_mul_f64_e32 v[131:132], v[83:84], v[111:112]
	v_mul_f64_e32 v[137:138], v[83:84], v[109:110]
	v_fma_f64 v[117:118], v[61:62], v[109:110], v[3:4]
	v_fma_f64 v[119:120], v[61:62], v[111:112], -v[113:114]
	v_fma_f64 v[125:126], v[85:86], v[109:110], v[115:116]
	v_fma_f64 v[127:128], v[85:86], v[111:112], -v[121:122]
	;; [unrolled: 2-line block ×4, first 2 shown]
	v_add_co_u32 v137, vcc_lo, v0, s58
	s_wait_alu 0xfffd
	v_add_co_ci_u32_e64 v138, null, s59, v1, vcc_lo
	ds_load_b128 v[129:132], v182 offset:528
	ds_load_b128 v[121:124], v182 offset:544
	;; [unrolled: 1-line block ×3, first 2 shown]
	v_add_co_u32 v139, vcc_lo, v137, s58
	s_wait_alu 0xfffd
	v_add_co_ci_u32_e64 v140, null, s59, v138, vcc_lo
	ds_store_b128 v183, v[117:120]
	ds_store_b128 v183, v[125:128] offset:1072
	ds_store_b128 v183, v[133:136] offset:2144
	;; [unrolled: 1-line block ×3, first 2 shown]
	v_add_co_u32 v3, vcc_lo, v139, s58
	s_wait_dscnt 0x0
	s_barrier_signal -1
	s_barrier_wait -1
	global_inv scope:SCOPE_SE
	ds_load_b128 v[212:215], v184
	ds_load_b128 v[216:219], v184 offset:16
	ds_load_b128 v[220:223], v184 offset:32
	;; [unrolled: 1-line block ×3, first 2 shown]
	s_wait_loadcnt_dscnt 0x0
	s_barrier_signal -1
	s_barrier_wait -1
	global_inv scope:SCOPE_SE
	flat_load_b128 v[109:112], v[0:1]
	s_wait_alu 0xfffd
	v_add_co_ci_u32_e64 v4, null, s59, v140, vcc_lo
	flat_load_b128 v[117:120], v[137:138]
	flat_load_b128 v[125:128], v[139:140]
	;; [unrolled: 1-line block ×3, first 2 shown]
	ds_load_b128 v[141:144], v167
	ds_load_b128 v[137:140], v182 offset:768
	v_add_f64_e32 v[212:213], 0, v[212:213]
	v_add_f64_e32 v[214:215], 0, v[214:215]
	s_delay_alu instid0(VALU_DEP_2) | instskip(NEXT) | instid1(VALU_DEP_2)
	v_add_f64_e32 v[200:201], v[212:213], v[216:217]
	v_add_f64_e32 v[202:203], v[214:215], v[218:219]
	s_delay_alu instid0(VALU_DEP_2) | instskip(NEXT) | instid1(VALU_DEP_2)
	v_add_f64_e32 v[200:201], v[200:201], v[220:221]
	v_add_f64_e32 v[202:203], v[202:203], v[222:223]
	s_wait_loadcnt_dscnt 0x301
	v_mul_f64_e32 v[0:1], v[111:112], v[143:144]
	v_mul_f64_e32 v[145:146], v[111:112], v[141:142]
	s_wait_loadcnt 0x2
	v_mul_f64_e32 v[147:148], v[119:120], v[143:144]
	v_mul_f64_e32 v[149:150], v[119:120], v[141:142]
	s_wait_loadcnt 0x1
	;; [unrolled: 3-line block ×3, first 2 shown]
	v_mul_f64_e32 v[240:241], v[135:136], v[143:144]
	v_mul_f64_e32 v[242:243], v[135:136], v[141:142]
	v_fma_f64 v[228:229], v[109:110], v[141:142], v[0:1]
	v_fma_f64 v[230:231], v[109:110], v[143:144], -v[145:146]
	v_fma_f64 v[232:233], v[117:118], v[141:142], v[147:148]
	v_fma_f64 v[234:235], v[117:118], v[143:144], -v[149:150]
	;; [unrolled: 2-line block ×4, first 2 shown]
	ds_load_b128 v[149:152], v182 offset:784
	ds_load_b128 v[145:148], v182 offset:800
	;; [unrolled: 1-line block ×3, first 2 shown]
	ds_store_b128 v183, v[228:231]
	ds_store_b128 v183, v[232:235] offset:1072
	ds_store_b128 v183, v[236:239] offset:2144
	;; [unrolled: 1-line block ×3, first 2 shown]
	s_wait_dscnt 0x0
	s_barrier_signal -1
	s_barrier_wait -1
	global_inv scope:SCOPE_SE
	ds_load_b128 v[228:231], v184
	v_add_f64_e32 v[0:1], 0, v[105:106]
	v_add_f64_e32 v[232:233], 0, v[107:108]
	ds_load_b128 v[105:108], v184 offset:16
	s_wait_dscnt 0x1
	v_add_f64_e32 v[228:229], 0, v[228:229]
	v_add_f64_e32 v[230:231], 0, v[230:231]
	;; [unrolled: 1-line block ×4, first 2 shown]
	ds_load_b128 v[101:104], v184 offset:32
	s_wait_dscnt 0x1
	v_add_f64_e32 v[105:106], v[228:229], v[105:106]
	v_add_f64_e32 v[107:108], v[230:231], v[107:108]
	;; [unrolled: 1-line block ×4, first 2 shown]
	ds_load_b128 v[97:100], v184 offset:48
	s_wait_loadcnt_dscnt 0x0
	s_barrier_signal -1
	s_barrier_wait -1
	global_inv scope:SCOPE_SE
	v_add_f64_e32 v[204:205], v[105:106], v[101:102]
	v_add_f64_e32 v[206:207], v[107:108], v[103:104]
	;; [unrolled: 1-line block ×10, first 2 shown]
	ds_store_b128 v192, v[89:92]
	ds_store_b128 v192, v[101:104] offset:256
	ds_store_b128 v192, v[105:108] offset:512
	ds_store_b128 v192, v[97:100] offset:768
	s_wait_loadcnt_dscnt 0x0
	s_barrier_signal -1
	s_barrier_wait -1
	global_inv scope:SCOPE_SE
	s_and_saveexec_b32 s76, s22
	s_cbranch_execz .LBB60_112
; %bb.116:                              ;   in Loop: Header=BB60_113 Depth=2
	ds_load_b128 v[89:92], v185
	ds_load_b128 v[97:100], v185 offset:16
	s_wait_dscnt 0x0
	v_add_f64_e32 v[0:1], v[97:98], v[89:90]
	v_add_f64_e32 v[101:102], v[99:100], v[91:92]
	ds_load_b128 v[89:92], v185 offset:32
	ds_load_b128 v[97:100], v185 offset:48
	s_wait_dscnt 0x1
	v_add_f64_e32 v[0:1], v[0:1], v[89:90]
	v_add_f64_e32 v[89:90], v[101:102], v[91:92]
	s_wait_dscnt 0x0
	s_delay_alu instid0(VALU_DEP_2) | instskip(NEXT) | instid1(VALU_DEP_2)
	v_add_f64_e32 v[0:1], v[0:1], v[97:98]
	v_add_f64_e32 v[101:102], v[89:90], v[99:100]
	ds_load_b128 v[89:92], v185 offset:64
	ds_load_b128 v[97:100], v185 offset:80
	s_wait_dscnt 0x1
	v_add_f64_e32 v[0:1], v[0:1], v[89:90]
	v_add_f64_e32 v[89:90], v[101:102], v[91:92]
	s_wait_dscnt 0x0
	s_delay_alu instid0(VALU_DEP_2) | instskip(NEXT) | instid1(VALU_DEP_2)
	;; [unrolled: 9-line block ×6, first 2 shown]
	v_add_f64_e32 v[0:1], v[0:1], v[97:98]
	v_add_f64_e32 v[101:102], v[89:90], v[99:100]
	ds_load_b128 v[89:92], v185 offset:224
	ds_load_b128 v[97:100], v186
	s_wait_dscnt 0x1
	v_add_f64_e32 v[0:1], v[0:1], v[89:90]
	v_add_f64_e32 v[91:92], v[101:102], v[91:92]
	s_wait_dscnt 0x0
	s_delay_alu instid0(VALU_DEP_2) | instskip(NEXT) | instid1(VALU_DEP_2)
	v_add_f64_e32 v[89:90], v[0:1], v[97:98]
	v_add_f64_e32 v[91:92], v[91:92], v[99:100]
	v_add_nc_u32_e32 v1, s38, v165
	s_delay_alu instid0(VALU_DEP_1) | instskip(NEXT) | instid1(VALU_DEP_1)
	v_lshlrev_b64_e32 v[0:1], 4, v[1:2]
	v_add_co_u32 v0, vcc_lo, s70, v0
	s_wait_alu 0xfffd
	s_delay_alu instid0(VALU_DEP_2)
	v_add_co_ci_u32_e64 v1, null, s71, v1, vcc_lo
	global_store_b128 v[0:1], v[89:92], off
	s_branch .LBB60_112
.LBB60_117:                             ;   in Loop: Header=BB60_4 Depth=1
	ds_store_b128 v187, v[5:8]
	s_wait_loadcnt_dscnt 0x0
	s_barrier_signal -1
	s_barrier_wait -1
	global_inv scope:SCOPE_SE
	s_and_saveexec_b32 s35, s75
	s_cbranch_execz .LBB60_2
; %bb.118:                              ;   in Loop: Header=BB60_4 Depth=1
	ds_load_b128 v[3:6], v166 offset:1072
	ds_load_b128 v[7:10], v166
	s_wait_dscnt 0x0
	v_add_f64_e32 v[0:1], v[3:4], v[7:8]
	v_add_f64_e32 v[11:12], v[5:6], v[9:10]
	ds_load_b128 v[3:6], v166 offset:2144
	ds_load_b128 v[7:10], v166 offset:3216
	s_wait_dscnt 0x1
	v_add_f64_e32 v[0:1], v[0:1], v[3:4]
	v_add_f64_e32 v[5:6], v[11:12], v[5:6]
	s_wait_dscnt 0x0
	s_delay_alu instid0(VALU_DEP_2) | instskip(NEXT) | instid1(VALU_DEP_2)
	v_add_f64_e32 v[3:4], v[0:1], v[7:8]
	v_add_f64_e32 v[5:6], v[5:6], v[9:10]
	s_wait_alu 0xfffe
	v_add_co_u32 v0, vcc_lo, s70, v163
	s_wait_alu 0xfffd
	v_add_co_ci_u32_e64 v1, null, s71, v164, vcc_lo
	global_store_b128 v[0:1], v[3:6], off
	s_branch .LBB60_2
.LBB60_119:                             ;   in Loop: Header=BB60_4 Depth=1
	flat_load_b128 v[11:14], v[5:6]
	s_wait_loadcnt_dscnt 0x0
	ds_store_2addr_b64 v168, v[11:12], v[13:14] offset1:1
	s_or_b32 exec_lo, exec_lo, s38
	s_and_saveexec_b32 s38, s4
	s_wait_alu 0xfffe
	s_xor_b32 s38, exec_lo, s38
	s_cbranch_execz .LBB60_19
.LBB60_120:                             ;   in Loop: Header=BB60_4 Depth=1
	v_dual_mov_b32 v1, v2 :: v_dual_mov_b32 v4, v2
	v_mov_b32_e32 v3, v2
	ds_store_b128 v169, v[1:4]
	s_wait_alu 0xfffe
	s_and_not1_saveexec_b32 s38, s38
	s_cbranch_execz .LBB60_20
.LBB60_121:                             ;   in Loop: Header=BB60_4 Depth=1
	v_add_co_u32 v0, vcc_lo, v5, s46
	s_wait_alu 0xfffd
	v_add_co_ci_u32_e64 v1, null, s47, v6, vcc_lo
	flat_load_b128 v[11:14], v[0:1]
	s_wait_loadcnt_dscnt 0x0
	ds_store_2addr_b64 v169, v[11:12], v[13:14] offset1:1
	s_wait_alu 0xfffe
	s_or_b32 exec_lo, exec_lo, s38
	s_and_saveexec_b32 s38, s5
	s_wait_alu 0xfffe
	s_xor_b32 s38, exec_lo, s38
	s_cbranch_execz .LBB60_21
.LBB60_122:                             ;   in Loop: Header=BB60_4 Depth=1
	v_dual_mov_b32 v1, v2 :: v_dual_mov_b32 v4, v2
	v_mov_b32_e32 v3, v2
	ds_store_b128 v170, v[1:4]
	s_wait_alu 0xfffe
	s_and_not1_saveexec_b32 s38, s38
	s_cbranch_execz .LBB60_22
.LBB60_123:                             ;   in Loop: Header=BB60_4 Depth=1
	v_add_co_u32 v0, vcc_lo, v5, s48
	s_wait_alu 0xfffd
	v_add_co_ci_u32_e64 v1, null, s49, v6, vcc_lo
	flat_load_b128 v[11:14], v[0:1]
	s_wait_loadcnt_dscnt 0x0
	ds_store_2addr_b64 v170, v[11:12], v[13:14] offset1:1
	s_wait_alu 0xfffe
	s_or_b32 exec_lo, exec_lo, s38
	s_and_saveexec_b32 s38, s6
	s_wait_alu 0xfffe
	s_xor_b32 s38, exec_lo, s38
	s_cbranch_execz .LBB60_23
.LBB60_124:                             ;   in Loop: Header=BB60_4 Depth=1
	v_dual_mov_b32 v1, v2 :: v_dual_mov_b32 v4, v2
	v_mov_b32_e32 v3, v2
	ds_store_b128 v171, v[1:4]
	s_wait_alu 0xfffe
	s_and_not1_saveexec_b32 s38, s38
	s_cbranch_execnz .LBB60_24
	s_branch .LBB60_25
.LBB60_125:                             ;   in Loop: Header=BB60_4 Depth=1
	flat_load_b128 v[15:18], v[9:10]
	s_wait_loadcnt_dscnt 0x0
	ds_store_2addr_b64 v168, v[15:16], v[17:18] offset1:1
	s_or_b32 exec_lo, exec_lo, s38
	s_and_saveexec_b32 s38, s18
	s_wait_alu 0xfffe
	s_xor_b32 s38, exec_lo, s38
	s_cbranch_execz .LBB60_59
.LBB60_126:                             ;   in Loop: Header=BB60_4 Depth=1
	v_dual_mov_b32 v1, v2 :: v_dual_mov_b32 v4, v2
	v_mov_b32_e32 v3, v2
	ds_store_b128 v169, v[1:4]
	s_wait_alu 0xfffe
	s_and_not1_saveexec_b32 s38, s38
	s_cbranch_execz .LBB60_60
.LBB60_127:                             ;   in Loop: Header=BB60_4 Depth=1
	v_add_co_u32 v0, vcc_lo, v9, s46
	s_wait_alu 0xfffd
	v_add_co_ci_u32_e64 v1, null, s47, v10, vcc_lo
	flat_load_b128 v[15:18], v[0:1]
	s_wait_loadcnt_dscnt 0x0
	ds_store_2addr_b64 v169, v[15:16], v[17:18] offset1:1
	s_wait_alu 0xfffe
	s_or_b32 exec_lo, exec_lo, s38
	s_and_saveexec_b32 s38, s19
	s_wait_alu 0xfffe
	s_xor_b32 s38, exec_lo, s38
	s_cbranch_execz .LBB60_61
.LBB60_128:                             ;   in Loop: Header=BB60_4 Depth=1
	v_dual_mov_b32 v1, v2 :: v_dual_mov_b32 v4, v2
	v_mov_b32_e32 v3, v2
	ds_store_b128 v170, v[1:4]
	s_wait_alu 0xfffe
	s_and_not1_saveexec_b32 s38, s38
	s_cbranch_execz .LBB60_62
.LBB60_129:                             ;   in Loop: Header=BB60_4 Depth=1
	v_add_co_u32 v0, vcc_lo, v9, s48
	s_wait_alu 0xfffd
	v_add_co_ci_u32_e64 v1, null, s49, v10, vcc_lo
	flat_load_b128 v[15:18], v[0:1]
	s_wait_loadcnt_dscnt 0x0
	ds_store_2addr_b64 v170, v[15:16], v[17:18] offset1:1
	s_wait_alu 0xfffe
	s_or_b32 exec_lo, exec_lo, s38
	s_and_saveexec_b32 s38, s20
	s_wait_alu 0xfffe
	s_xor_b32 s38, exec_lo, s38
	s_cbranch_execz .LBB60_63
.LBB60_130:                             ;   in Loop: Header=BB60_4 Depth=1
	v_dual_mov_b32 v1, v2 :: v_dual_mov_b32 v4, v2
	v_mov_b32_e32 v3, v2
	ds_store_b128 v171, v[1:4]
	s_wait_alu 0xfffe
	s_and_not1_saveexec_b32 s38, s38
	s_cbranch_execnz .LBB60_64
	s_branch .LBB60_65
.LBB60_131:                             ;   in Loop: Header=BB60_4 Depth=1
	flat_load_b128 v[11:14], v[9:10]
	s_wait_loadcnt_dscnt 0x0
	ds_store_2addr_b64 v168, v[11:12], v[13:14] offset1:1
	s_or_b32 exec_lo, exec_lo, s38
	s_and_saveexec_b32 s38, s4
	s_wait_alu 0xfffe
	s_xor_b32 s38, exec_lo, s38
	s_cbranch_execz .LBB60_99
.LBB60_132:                             ;   in Loop: Header=BB60_4 Depth=1
	v_dual_mov_b32 v1, v2 :: v_dual_mov_b32 v4, v2
	v_mov_b32_e32 v3, v2
	ds_store_b128 v169, v[1:4]
	s_wait_alu 0xfffe
	s_and_not1_saveexec_b32 s38, s38
	s_cbranch_execz .LBB60_100
.LBB60_133:                             ;   in Loop: Header=BB60_4 Depth=1
	v_add_co_u32 v0, vcc_lo, v9, s46
	s_wait_alu 0xfffd
	v_add_co_ci_u32_e64 v1, null, s47, v10, vcc_lo
	flat_load_b128 v[11:14], v[0:1]
	s_wait_loadcnt_dscnt 0x0
	ds_store_2addr_b64 v169, v[11:12], v[13:14] offset1:1
	s_wait_alu 0xfffe
	s_or_b32 exec_lo, exec_lo, s38
	s_and_saveexec_b32 s38, s5
	s_wait_alu 0xfffe
	s_xor_b32 s38, exec_lo, s38
	s_cbranch_execz .LBB60_101
.LBB60_134:                             ;   in Loop: Header=BB60_4 Depth=1
	v_dual_mov_b32 v1, v2 :: v_dual_mov_b32 v4, v2
	v_mov_b32_e32 v3, v2
	ds_store_b128 v170, v[1:4]
	s_wait_alu 0xfffe
	s_and_not1_saveexec_b32 s38, s38
	s_cbranch_execz .LBB60_102
.LBB60_135:                             ;   in Loop: Header=BB60_4 Depth=1
	v_add_co_u32 v0, vcc_lo, v9, s48
	s_wait_alu 0xfffd
	v_add_co_ci_u32_e64 v1, null, s49, v10, vcc_lo
	flat_load_b128 v[11:14], v[0:1]
	s_wait_loadcnt_dscnt 0x0
	ds_store_2addr_b64 v170, v[11:12], v[13:14] offset1:1
	s_wait_alu 0xfffe
	s_or_b32 exec_lo, exec_lo, s38
	s_and_saveexec_b32 s38, s6
	s_wait_alu 0xfffe
	s_xor_b32 s38, exec_lo, s38
	s_cbranch_execz .LBB60_103
.LBB60_136:                             ;   in Loop: Header=BB60_4 Depth=1
	v_dual_mov_b32 v1, v2 :: v_dual_mov_b32 v4, v2
	v_mov_b32_e32 v3, v2
	ds_store_b128 v171, v[1:4]
	s_wait_alu 0xfffe
	s_and_not1_saveexec_b32 s38, s38
	s_cbranch_execnz .LBB60_104
	s_branch .LBB60_105
.LBB60_137:
	s_nop 0
	s_sendmsg sendmsg(MSG_DEALLOC_VGPRS)
	s_endpgm
	.section	.rodata,"a",@progbits
	.p2align	6, 0x0
	.amdhsa_kernel _ZL26rocblas_hemvn_kernel_lowerILb1ELi64ELi4ELi33ELi32ELi16El19rocblas_complex_numIdEPKPKS1_PS1_EviT6_lT7_lT5_lS8_lS9_lS7_lT8_i
		.amdhsa_group_segment_fixed_size 19200
		.amdhsa_private_segment_fixed_size 0
		.amdhsa_kernarg_size 392
		.amdhsa_user_sgpr_count 2
		.amdhsa_user_sgpr_dispatch_ptr 0
		.amdhsa_user_sgpr_queue_ptr 0
		.amdhsa_user_sgpr_kernarg_segment_ptr 1
		.amdhsa_user_sgpr_dispatch_id 0
		.amdhsa_user_sgpr_private_segment_size 0
		.amdhsa_wavefront_size32 1
		.amdhsa_uses_dynamic_stack 0
		.amdhsa_enable_private_segment 0
		.amdhsa_system_sgpr_workgroup_id_x 1
		.amdhsa_system_sgpr_workgroup_id_y 0
		.amdhsa_system_sgpr_workgroup_id_z 1
		.amdhsa_system_sgpr_workgroup_info 0
		.amdhsa_system_vgpr_workitem_id 1
		.amdhsa_next_free_vgpr 244
		.amdhsa_next_free_sgpr 80
		.amdhsa_reserve_vcc 1
		.amdhsa_float_round_mode_32 0
		.amdhsa_float_round_mode_16_64 0
		.amdhsa_float_denorm_mode_32 3
		.amdhsa_float_denorm_mode_16_64 3
		.amdhsa_fp16_overflow 0
		.amdhsa_workgroup_processor_mode 1
		.amdhsa_memory_ordered 1
		.amdhsa_forward_progress 1
		.amdhsa_inst_pref_size 81
		.amdhsa_round_robin_scheduling 0
		.amdhsa_exception_fp_ieee_invalid_op 0
		.amdhsa_exception_fp_denorm_src 0
		.amdhsa_exception_fp_ieee_div_zero 0
		.amdhsa_exception_fp_ieee_overflow 0
		.amdhsa_exception_fp_ieee_underflow 0
		.amdhsa_exception_fp_ieee_inexact 0
		.amdhsa_exception_int_div_zero 0
	.end_amdhsa_kernel
	.section	.text._ZL26rocblas_hemvn_kernel_lowerILb1ELi64ELi4ELi33ELi32ELi16El19rocblas_complex_numIdEPKPKS1_PS1_EviT6_lT7_lT5_lS8_lS9_lS7_lT8_i,"axG",@progbits,_ZL26rocblas_hemvn_kernel_lowerILb1ELi64ELi4ELi33ELi32ELi16El19rocblas_complex_numIdEPKPKS1_PS1_EviT6_lT7_lT5_lS8_lS9_lS7_lT8_i,comdat
.Lfunc_end60:
	.size	_ZL26rocblas_hemvn_kernel_lowerILb1ELi64ELi4ELi33ELi32ELi16El19rocblas_complex_numIdEPKPKS1_PS1_EviT6_lT7_lT5_lS8_lS9_lS7_lT8_i, .Lfunc_end60-_ZL26rocblas_hemvn_kernel_lowerILb1ELi64ELi4ELi33ELi32ELi16El19rocblas_complex_numIdEPKPKS1_PS1_EviT6_lT7_lT5_lS8_lS9_lS7_lT8_i
                                        ; -- End function
	.set _ZL26rocblas_hemvn_kernel_lowerILb1ELi64ELi4ELi33ELi32ELi16El19rocblas_complex_numIdEPKPKS1_PS1_EviT6_lT7_lT5_lS8_lS9_lS7_lT8_i.num_vgpr, 244
	.set _ZL26rocblas_hemvn_kernel_lowerILb1ELi64ELi4ELi33ELi32ELi16El19rocblas_complex_numIdEPKPKS1_PS1_EviT6_lT7_lT5_lS8_lS9_lS7_lT8_i.num_agpr, 0
	.set _ZL26rocblas_hemvn_kernel_lowerILb1ELi64ELi4ELi33ELi32ELi16El19rocblas_complex_numIdEPKPKS1_PS1_EviT6_lT7_lT5_lS8_lS9_lS7_lT8_i.numbered_sgpr, 80
	.set _ZL26rocblas_hemvn_kernel_lowerILb1ELi64ELi4ELi33ELi32ELi16El19rocblas_complex_numIdEPKPKS1_PS1_EviT6_lT7_lT5_lS8_lS9_lS7_lT8_i.num_named_barrier, 0
	.set _ZL26rocblas_hemvn_kernel_lowerILb1ELi64ELi4ELi33ELi32ELi16El19rocblas_complex_numIdEPKPKS1_PS1_EviT6_lT7_lT5_lS8_lS9_lS7_lT8_i.private_seg_size, 0
	.set _ZL26rocblas_hemvn_kernel_lowerILb1ELi64ELi4ELi33ELi32ELi16El19rocblas_complex_numIdEPKPKS1_PS1_EviT6_lT7_lT5_lS8_lS9_lS7_lT8_i.uses_vcc, 1
	.set _ZL26rocblas_hemvn_kernel_lowerILb1ELi64ELi4ELi33ELi32ELi16El19rocblas_complex_numIdEPKPKS1_PS1_EviT6_lT7_lT5_lS8_lS9_lS7_lT8_i.uses_flat_scratch, 1
	.set _ZL26rocblas_hemvn_kernel_lowerILb1ELi64ELi4ELi33ELi32ELi16El19rocblas_complex_numIdEPKPKS1_PS1_EviT6_lT7_lT5_lS8_lS9_lS7_lT8_i.has_dyn_sized_stack, 0
	.set _ZL26rocblas_hemvn_kernel_lowerILb1ELi64ELi4ELi33ELi32ELi16El19rocblas_complex_numIdEPKPKS1_PS1_EviT6_lT7_lT5_lS8_lS9_lS7_lT8_i.has_recursion, 0
	.set _ZL26rocblas_hemvn_kernel_lowerILb1ELi64ELi4ELi33ELi32ELi16El19rocblas_complex_numIdEPKPKS1_PS1_EviT6_lT7_lT5_lS8_lS9_lS7_lT8_i.has_indirect_call, 0
	.section	.AMDGPU.csdata,"",@progbits
; Kernel info:
; codeLenInByte = 10352
; TotalNumSgprs: 82
; NumVgprs: 244
; ScratchSize: 0
; MemoryBound: 0
; FloatMode: 240
; IeeeMode: 1
; LDSByteSize: 19200 bytes/workgroup (compile time only)
; SGPRBlocks: 0
; VGPRBlocks: 30
; NumSGPRsForWavesPerEU: 82
; NumVGPRsForWavesPerEU: 244
; Occupancy: 5
; WaveLimiterHint : 1
; COMPUTE_PGM_RSRC2:SCRATCH_EN: 0
; COMPUTE_PGM_RSRC2:USER_SGPR: 2
; COMPUTE_PGM_RSRC2:TRAP_HANDLER: 0
; COMPUTE_PGM_RSRC2:TGID_X_EN: 1
; COMPUTE_PGM_RSRC2:TGID_Y_EN: 0
; COMPUTE_PGM_RSRC2:TGID_Z_EN: 1
; COMPUTE_PGM_RSRC2:TIDIG_COMP_CNT: 1
	.section	.text._ZL36rocblas_hemvn_kernel_lower_block_sumILi64El19rocblas_complex_numIdEPKPS1_S1_EviT1_lS5_lT2_lT0_lPT3_i,"axG",@progbits,_ZL36rocblas_hemvn_kernel_lower_block_sumILi64El19rocblas_complex_numIdEPKPS1_S1_EviT1_lS5_lT2_lT0_lPT3_i,comdat
	.globl	_ZL36rocblas_hemvn_kernel_lower_block_sumILi64El19rocblas_complex_numIdEPKPS1_S1_EviT1_lS5_lT2_lT0_lPT3_i ; -- Begin function _ZL36rocblas_hemvn_kernel_lower_block_sumILi64El19rocblas_complex_numIdEPKPS1_S1_EviT1_lS5_lT2_lT0_lPT3_i
	.p2align	8
	.type	_ZL36rocblas_hemvn_kernel_lower_block_sumILi64El19rocblas_complex_numIdEPKPS1_S1_EviT1_lS5_lT2_lT0_lPT3_i,@function
_ZL36rocblas_hemvn_kernel_lower_block_sumILi64El19rocblas_complex_numIdEPKPS1_S1_EviT1_lS5_lT2_lT0_lPT3_i: ; @_ZL36rocblas_hemvn_kernel_lower_block_sumILi64El19rocblas_complex_numIdEPKPS1_S1_EviT1_lS5_lT2_lT0_lPT3_i
; %bb.0:
	s_load_b32 s24, s[0:1], 0x60
	s_lshr_b32 s2, ttmp7, 16
	s_wait_kmcnt 0x0
	s_cmp_ge_u32 s2, s24
	s_cbranch_scc1 .LBB61_24
; %bb.1:
	s_clause 0x3
	s_load_b128 s[4:7], s[0:1], 0x8
	s_load_b128 s[8:11], s[0:1], 0x20
	s_load_b32 s20, s[0:1], 0x0
	s_load_b128 s[12:15], s[0:1], 0x40
	s_lshl_b32 s21, ttmp9, 6
	s_clause 0x1
	s_load_b64 s[22:23], s[0:1], 0x58
	s_load_b64 s[16:17], s[0:1], 0x38
	v_or_b32_e32 v0, s21, v0
	s_add_nc_u64 s[18:19], s[0:1], 0x68
	s_ashr_i32 s1, s21, 31
	s_wait_kmcnt 0x0
	v_cmp_neq_f64_e64 s3, s[4:5], 0
	v_cmp_neq_f64_e64 s26, s[10:11], 0
	v_cmp_neq_f64_e64 s27, s[8:9], 0
	v_cmp_neq_f64_e64 s25, s[6:7], 0
	v_cmp_neq_f64_e64 s28, s[8:9], 1.0
	v_mad_co_u64_u32 v[1:2], null, s20, ttmp9, v[0:1]
	v_mul_lo_u32 v5, s15, v0
	v_mad_co_u64_u32 v[3:4], null, s14, v0, 0
	s_mul_i32 s1, s14, s1
	v_cmp_gt_i32_e64 s0, s20, v0
	s_ashr_i32 s21, s20, 31
	v_ashrrev_i32_e32 v2, 31, v1
	s_lshl_b64 s[12:13], s[12:13], 4
	s_wait_alu 0xfffe
	v_add3_u32 v4, v4, s1, v5
	s_delay_alu instid0(VALU_DEP_2) | instskip(NEXT) | instid1(VALU_DEP_2)
	v_lshlrev_b64_e32 v[1:2], 4, v[1:2]
	v_lshlrev_b64_e32 v[4:5], 4, v[3:4]
	s_delay_alu instid0(VALU_DEP_2) | instskip(NEXT) | instid1(VALU_DEP_1)
	v_add_co_u32 v0, vcc_lo, s22, v1
	v_add_co_ci_u32_e64 v1, null, s23, v2, vcc_lo
	s_delay_alu instid0(VALU_DEP_2) | instskip(SKIP_1) | instid1(VALU_DEP_2)
	v_add_co_u32 v6, vcc_lo, v0, 8
	s_wait_alu 0xfffd
	v_add_co_ci_u32_e64 v7, null, 0, v1, vcc_lo
	s_or_b32 s1, s27, s26
	s_or_b32 s3, s3, s25
	s_wait_alu 0xfffe
	v_cndmask_b32_e64 v10, 0, 1, s1
	s_or_b32 s14, s3, s28
	s_xor_b32 s1, s1, -1
	s_wait_alu 0xfffe
	s_or_b32 s25, s14, s26
	s_xor_b32 s26, s3, -1
	s_lshl_b64 s[14:15], s[20:21], 4
	s_mov_b32 s3, 0
	s_branch .LBB61_4
.LBB61_2:                               ;   in Loop: Header=BB61_4 Depth=1
	s_wait_alu 0xfffe
	s_or_b32 exec_lo, exec_lo, s22
.LBB61_3:                               ;   in Loop: Header=BB61_4 Depth=1
	s_add_co_i32 s2, s2, 0x10000
	s_wait_alu 0xfffe
	s_cmp_lt_u32 s2, s24
	s_cbranch_scc0 .LBB61_24
.LBB61_4:                               ; =>This Loop Header: Depth=1
                                        ;     Child Loop BB61_15 Depth 2
	s_and_not1_b32 vcc_lo, exec_lo, s25
	s_wait_alu 0xfffe
	s_cbranch_vccnz .LBB61_3
; %bb.5:                                ;   in Loop: Header=BB61_4 Depth=1
	s_lshl_b64 s[20:21], s[2:3], 3
	s_and_not1_b32 vcc_lo, exec_lo, s26
	s_wait_alu 0xfffe
	s_add_nc_u64 s[20:21], s[16:17], s[20:21]
	s_load_b64 s[20:21], s[20:21], 0x0
	s_wait_kmcnt 0x0
	s_add_nc_u64 s[20:21], s[20:21], s[12:13]
	s_cbranch_vccnz .LBB61_10
; %bb.6:                                ;   in Loop: Header=BB61_4 Depth=1
	s_mov_b32 s22, 0
	s_mov_b32 s27, 0
                                        ; implicit-def: $vgpr2_vgpr3
	s_and_saveexec_b32 s23, s0
	s_cbranch_execz .LBB61_11
; %bb.7:                                ;   in Loop: Header=BB61_4 Depth=1
	v_cmp_ne_u32_e32 vcc_lo, 1, v10
	v_mov_b32_e32 v2, 0
	v_dual_mov_b32 v3, 0 :: v_dual_mov_b32 v0, 0
	v_mov_b32_e32 v1, 0
	s_cbranch_vccnz .LBB61_9
; %bb.8:                                ;   in Loop: Header=BB61_4 Depth=1
	s_wait_alu 0xfffe
	v_add_co_u32 v0, vcc_lo, s20, v4
	s_wait_alu 0xfffd
	v_add_co_ci_u32_e64 v1, null, s21, v5, vcc_lo
	flat_load_b128 v[11:14], v[0:1]
	s_wait_loadcnt_dscnt 0x0
	v_mul_f64_e32 v[0:1], s[10:11], v[13:14]
	v_mul_f64_e32 v[2:3], s[8:9], v[13:14]
	s_delay_alu instid0(VALU_DEP_2) | instskip(NEXT) | instid1(VALU_DEP_2)
	v_fma_f64 v[0:1], s[8:9], v[11:12], -v[0:1]
	v_fma_f64 v[2:3], s[10:11], v[11:12], v[2:3]
.LBB61_9:                               ;   in Loop: Header=BB61_4 Depth=1
	s_mov_b32 s27, exec_lo
	s_wait_alu 0xfffe
	s_or_b32 exec_lo, exec_lo, s23
	s_delay_alu instid0(SALU_CYCLE_1)
	s_and_b32 vcc_lo, exec_lo, s22
	s_wait_alu 0xfffe
	s_cbranch_vccnz .LBB61_12
	s_branch .LBB61_22
.LBB61_10:                              ;   in Loop: Header=BB61_4 Depth=1
	s_mov_b32 s27, 0
                                        ; implicit-def: $vgpr2_vgpr3
	s_cbranch_execnz .LBB61_12
	s_branch .LBB61_22
.LBB61_11:                              ;   in Loop: Header=BB61_4 Depth=1
	s_wait_alu 0xfffe
	s_or_b32 exec_lo, exec_lo, s23
	s_delay_alu instid0(SALU_CYCLE_1)
	s_and_b32 vcc_lo, exec_lo, s22
	s_wait_alu 0xfffe
	s_cbranch_vccz .LBB61_22
.LBB61_12:                              ;   in Loop: Header=BB61_4 Depth=1
                                        ; implicit-def: $vgpr2_vgpr3
	s_and_saveexec_b32 s28, s0
	s_cbranch_execz .LBB61_21
; %bb.13:                               ;   in Loop: Header=BB61_4 Depth=1
	s_load_b32 s22, s[18:19], 0x0
	v_mov_b32_e32 v0, 0
	v_dual_mov_b32 v1, 0 :: v_dual_mov_b32 v2, 0
	v_mov_b32_e32 v3, 0
	s_wait_kmcnt 0x0
	s_cmp_ge_i32 ttmp9, s22
	s_cbranch_scc1 .LBB61_16
; %bb.14:                               ;   in Loop: Header=BB61_4 Depth=1
	s_mov_b32 s23, s3
	v_mov_b32_e32 v2, 0
	s_wait_alu 0xfffe
	s_mul_u64 s[30:31], s[14:15], s[22:23]
	s_mov_b32 s29, ttmp9
	s_wait_alu 0xfffe
	v_mad_co_u64_u32 v[8:9], null, s30, s2, v[6:7]
	s_delay_alu instid0(VALU_DEP_1) | instskip(NEXT) | instid1(VALU_DEP_1)
	v_dual_mov_b32 v3, 0 :: v_dual_mov_b32 v0, v9
	v_mad_co_u64_u32 v[11:12], null, s31, s2, v[0:1]
	v_mov_b32_e32 v0, 0
	v_mov_b32_e32 v1, 0
	s_delay_alu instid0(VALU_DEP_3)
	v_mov_b32_e32 v9, v11
.LBB61_15:                              ;   Parent Loop BB61_4 Depth=1
                                        ; =>  This Inner Loop Header: Depth=2
	global_load_b128 v[11:14], v[8:9], off offset:-8
	v_add_co_u32 v8, vcc_lo, v8, s14
	s_wait_alu 0xfffd
	v_add_co_ci_u32_e64 v9, null, s15, v9, vcc_lo
	s_add_co_i32 s29, s29, 1
	s_delay_alu instid0(SALU_CYCLE_1)
	s_cmp_ge_i32 s29, s22
	s_wait_loadcnt 0x0
	v_add_f64_e32 v[2:3], v[2:3], v[11:12]
	v_add_f64_e32 v[0:1], v[0:1], v[13:14]
	s_cbranch_scc0 .LBB61_15
.LBB61_16:                              ;   in Loop: Header=BB61_4 Depth=1
	s_delay_alu instid0(VALU_DEP_1) | instskip(SKIP_3) | instid1(VALU_DEP_2)
	v_mul_f64_e32 v[8:9], s[6:7], v[0:1]
	v_mul_f64_e32 v[11:12], s[4:5], v[0:1]
	s_and_b32 vcc_lo, exec_lo, s1
	s_mov_b32 s22, -1
	v_fma_f64 v[0:1], s[4:5], v[2:3], -v[8:9]
	s_delay_alu instid0(VALU_DEP_2)
	v_fma_f64 v[2:3], s[6:7], v[2:3], v[11:12]
	s_wait_alu 0xfffe
	s_cbranch_vccz .LBB61_18
; %bb.17:                               ;   in Loop: Header=BB61_4 Depth=1
	s_mov_b32 s22, 0
.LBB61_18:                              ;   in Loop: Header=BB61_4 Depth=1
	s_wait_alu 0xfffe
	s_and_not1_b32 vcc_lo, exec_lo, s22
	s_wait_alu 0xfffe
	s_cbranch_vccnz .LBB61_20
; %bb.19:                               ;   in Loop: Header=BB61_4 Depth=1
	v_add_co_u32 v8, vcc_lo, s20, v4
	s_wait_alu 0xfffd
	v_add_co_ci_u32_e64 v9, null, s21, v5, vcc_lo
	flat_load_b128 v[11:14], v[8:9]
	s_wait_loadcnt_dscnt 0x0
	v_mul_f64_e32 v[8:9], s[10:11], v[13:14]
	v_mul_f64_e32 v[13:14], s[8:9], v[13:14]
	s_delay_alu instid0(VALU_DEP_2) | instskip(NEXT) | instid1(VALU_DEP_2)
	v_fma_f64 v[8:9], s[8:9], v[11:12], -v[8:9]
	v_fma_f64 v[11:12], s[10:11], v[11:12], v[13:14]
	s_delay_alu instid0(VALU_DEP_2) | instskip(NEXT) | instid1(VALU_DEP_2)
	v_add_f64_e32 v[0:1], v[0:1], v[8:9]
	v_add_f64_e32 v[2:3], v[2:3], v[11:12]
.LBB61_20:                              ;   in Loop: Header=BB61_4 Depth=1
	s_or_b32 s27, s27, exec_lo
.LBB61_21:                              ;   in Loop: Header=BB61_4 Depth=1
	s_or_b32 exec_lo, exec_lo, s28
.LBB61_22:                              ;   in Loop: Header=BB61_4 Depth=1
	s_and_saveexec_b32 s22, s27
	s_cbranch_execz .LBB61_2
; %bb.23:                               ;   in Loop: Header=BB61_4 Depth=1
	s_wait_alu 0xfffe
	v_add_co_u32 v8, vcc_lo, s20, v4
	s_wait_alu 0xfffd
	v_add_co_ci_u32_e64 v9, null, s21, v5, vcc_lo
	flat_store_b128 v[8:9], v[0:3]
	s_branch .LBB61_2
.LBB61_24:
	s_endpgm
	.section	.rodata,"a",@progbits
	.p2align	6, 0x0
	.amdhsa_kernel _ZL36rocblas_hemvn_kernel_lower_block_sumILi64El19rocblas_complex_numIdEPKPS1_S1_EviT1_lS5_lT2_lT0_lPT3_i
		.amdhsa_group_segment_fixed_size 0
		.amdhsa_private_segment_fixed_size 0
		.amdhsa_kernarg_size 360
		.amdhsa_user_sgpr_count 2
		.amdhsa_user_sgpr_dispatch_ptr 0
		.amdhsa_user_sgpr_queue_ptr 0
		.amdhsa_user_sgpr_kernarg_segment_ptr 1
		.amdhsa_user_sgpr_dispatch_id 0
		.amdhsa_user_sgpr_private_segment_size 0
		.amdhsa_wavefront_size32 1
		.amdhsa_uses_dynamic_stack 0
		.amdhsa_enable_private_segment 0
		.amdhsa_system_sgpr_workgroup_id_x 1
		.amdhsa_system_sgpr_workgroup_id_y 0
		.amdhsa_system_sgpr_workgroup_id_z 1
		.amdhsa_system_sgpr_workgroup_info 0
		.amdhsa_system_vgpr_workitem_id 0
		.amdhsa_next_free_vgpr 15
		.amdhsa_next_free_sgpr 32
		.amdhsa_reserve_vcc 1
		.amdhsa_float_round_mode_32 0
		.amdhsa_float_round_mode_16_64 0
		.amdhsa_float_denorm_mode_32 3
		.amdhsa_float_denorm_mode_16_64 3
		.amdhsa_fp16_overflow 0
		.amdhsa_workgroup_processor_mode 1
		.amdhsa_memory_ordered 1
		.amdhsa_forward_progress 1
		.amdhsa_inst_pref_size 8
		.amdhsa_round_robin_scheduling 0
		.amdhsa_exception_fp_ieee_invalid_op 0
		.amdhsa_exception_fp_denorm_src 0
		.amdhsa_exception_fp_ieee_div_zero 0
		.amdhsa_exception_fp_ieee_overflow 0
		.amdhsa_exception_fp_ieee_underflow 0
		.amdhsa_exception_fp_ieee_inexact 0
		.amdhsa_exception_int_div_zero 0
	.end_amdhsa_kernel
	.section	.text._ZL36rocblas_hemvn_kernel_lower_block_sumILi64El19rocblas_complex_numIdEPKPS1_S1_EviT1_lS5_lT2_lT0_lPT3_i,"axG",@progbits,_ZL36rocblas_hemvn_kernel_lower_block_sumILi64El19rocblas_complex_numIdEPKPS1_S1_EviT1_lS5_lT2_lT0_lPT3_i,comdat
.Lfunc_end61:
	.size	_ZL36rocblas_hemvn_kernel_lower_block_sumILi64El19rocblas_complex_numIdEPKPS1_S1_EviT1_lS5_lT2_lT0_lPT3_i, .Lfunc_end61-_ZL36rocblas_hemvn_kernel_lower_block_sumILi64El19rocblas_complex_numIdEPKPS1_S1_EviT1_lS5_lT2_lT0_lPT3_i
                                        ; -- End function
	.set _ZL36rocblas_hemvn_kernel_lower_block_sumILi64El19rocblas_complex_numIdEPKPS1_S1_EviT1_lS5_lT2_lT0_lPT3_i.num_vgpr, 15
	.set _ZL36rocblas_hemvn_kernel_lower_block_sumILi64El19rocblas_complex_numIdEPKPS1_S1_EviT1_lS5_lT2_lT0_lPT3_i.num_agpr, 0
	.set _ZL36rocblas_hemvn_kernel_lower_block_sumILi64El19rocblas_complex_numIdEPKPS1_S1_EviT1_lS5_lT2_lT0_lPT3_i.numbered_sgpr, 32
	.set _ZL36rocblas_hemvn_kernel_lower_block_sumILi64El19rocblas_complex_numIdEPKPS1_S1_EviT1_lS5_lT2_lT0_lPT3_i.num_named_barrier, 0
	.set _ZL36rocblas_hemvn_kernel_lower_block_sumILi64El19rocblas_complex_numIdEPKPS1_S1_EviT1_lS5_lT2_lT0_lPT3_i.private_seg_size, 0
	.set _ZL36rocblas_hemvn_kernel_lower_block_sumILi64El19rocblas_complex_numIdEPKPS1_S1_EviT1_lS5_lT2_lT0_lPT3_i.uses_vcc, 1
	.set _ZL36rocblas_hemvn_kernel_lower_block_sumILi64El19rocblas_complex_numIdEPKPS1_S1_EviT1_lS5_lT2_lT0_lPT3_i.uses_flat_scratch, 0
	.set _ZL36rocblas_hemvn_kernel_lower_block_sumILi64El19rocblas_complex_numIdEPKPS1_S1_EviT1_lS5_lT2_lT0_lPT3_i.has_dyn_sized_stack, 0
	.set _ZL36rocblas_hemvn_kernel_lower_block_sumILi64El19rocblas_complex_numIdEPKPS1_S1_EviT1_lS5_lT2_lT0_lPT3_i.has_recursion, 0
	.set _ZL36rocblas_hemvn_kernel_lower_block_sumILi64El19rocblas_complex_numIdEPKPS1_S1_EviT1_lS5_lT2_lT0_lPT3_i.has_indirect_call, 0
	.section	.AMDGPU.csdata,"",@progbits
; Kernel info:
; codeLenInByte = 940
; TotalNumSgprs: 34
; NumVgprs: 15
; ScratchSize: 0
; MemoryBound: 0
; FloatMode: 240
; IeeeMode: 1
; LDSByteSize: 0 bytes/workgroup (compile time only)
; SGPRBlocks: 0
; VGPRBlocks: 1
; NumSGPRsForWavesPerEU: 34
; NumVGPRsForWavesPerEU: 15
; Occupancy: 16
; WaveLimiterHint : 1
; COMPUTE_PGM_RSRC2:SCRATCH_EN: 0
; COMPUTE_PGM_RSRC2:USER_SGPR: 2
; COMPUTE_PGM_RSRC2:TRAP_HANDLER: 0
; COMPUTE_PGM_RSRC2:TGID_X_EN: 1
; COMPUTE_PGM_RSRC2:TGID_Y_EN: 0
; COMPUTE_PGM_RSRC2:TGID_Z_EN: 1
; COMPUTE_PGM_RSRC2:TIDIG_COMP_CNT: 0
	.section	.text._ZL26rocblas_hemvn_kernel_lowerILb1ELi64ELi4ELi33ELi32ELi16Ei19rocblas_complex_numIdEPKPKS1_PS1_EviT6_lT7_lT5_lS8_lS9_lS7_lT8_i,"axG",@progbits,_ZL26rocblas_hemvn_kernel_lowerILb1ELi64ELi4ELi33ELi32ELi16Ei19rocblas_complex_numIdEPKPKS1_PS1_EviT6_lT7_lT5_lS8_lS9_lS7_lT8_i,comdat
	.globl	_ZL26rocblas_hemvn_kernel_lowerILb1ELi64ELi4ELi33ELi32ELi16Ei19rocblas_complex_numIdEPKPKS1_PS1_EviT6_lT7_lT5_lS8_lS9_lS7_lT8_i ; -- Begin function _ZL26rocblas_hemvn_kernel_lowerILb1ELi64ELi4ELi33ELi32ELi16Ei19rocblas_complex_numIdEPKPKS1_PS1_EviT6_lT7_lT5_lS8_lS9_lS7_lT8_i
	.p2align	8
	.type	_ZL26rocblas_hemvn_kernel_lowerILb1ELi64ELi4ELi33ELi32ELi16Ei19rocblas_complex_numIdEPKPKS1_PS1_EviT6_lT7_lT5_lS8_lS9_lS7_lT8_i,@function
_ZL26rocblas_hemvn_kernel_lowerILb1ELi64ELi4ELi33ELi32ELi16Ei19rocblas_complex_numIdEPKPKS1_PS1_EviT6_lT7_lT5_lS8_lS9_lS7_lT8_i: ; @_ZL26rocblas_hemvn_kernel_lowerILb1ELi64ELi4ELi33ELi32ELi16Ei19rocblas_complex_numIdEPKPKS1_PS1_EviT6_lT7_lT5_lS8_lS9_lS7_lT8_i
; %bb.0:
	s_clause 0x1
	s_load_b64 s[2:3], s[0:1], 0x94
	s_load_b32 s23, s[0:1], 0x80
	s_lshr_b32 s34, ttmp7, 16
	s_wait_kmcnt 0x0
	s_lshr_b32 s4, s2, 16
	s_and_b32 s2, s2, 0xffff
	s_and_b32 s3, s3, 0xffff
	s_mul_i32 s2, s4, s2
	s_delay_alu instid0(SALU_CYCLE_1) | instskip(NEXT) | instid1(SALU_CYCLE_1)
	s_mul_i32 s2, s2, s3
	s_cmp_lg_u32 s2, 0x100
	s_cselect_b32 s2, -1, 0
	s_cmp_ge_u32 s34, s23
	s_cselect_b32 s3, -1, 0
	s_delay_alu instid0(SALU_CYCLE_1) | instskip(NEXT) | instid1(SALU_CYCLE_1)
	s_or_b32 s2, s2, s3
	s_and_b32 vcc_lo, exec_lo, s2
	s_cbranch_vccnz .LBB62_137
; %bb.1:
	s_clause 0x7
	s_load_b128 s[8:11], s[0:1], 0x8
	s_load_b128 s[12:15], s[0:1], 0x60
	s_load_b32 s2, s[0:1], 0x0
	s_load_b64 s[4:5], s[0:1], 0x78
	s_load_b128 s[24:27], s[0:1], 0x20
	s_load_b32 s54, s[0:1], 0x30
	s_load_b128 s[28:31], s[0:1], 0x40
	s_load_b32 s22, s[0:1], 0x50
	s_add_nc_u64 s[0:1], s[0:1], 0x88
	v_bfe_u32 v4, v0, 10, 10
	s_load_b32 s6, s[0:1], 0x0
	v_dual_mov_b32 v1, 0 :: v_dual_and_b32 v166, 0x3ff, v0
	s_mov_b32 s35, 0
	s_delay_alu instid0(VALU_DEP_2)
	v_lshlrev_b32_e32 v17, 6, v4
	v_and_b32_e32 v2, 31, v0
	s_mov_b32 s7, s35
	s_lshl_b32 s56, ttmp9, 6
	v_lshlrev_b32_e32 v167, 4, v166
	v_add_nc_u32_e32 v18, v17, v166
	v_mul_u32_u24_e32 v23, 33, v2
	s_wait_kmcnt 0x0
	v_cmp_eq_f64_e64 s9, s[8:9], 0
	v_cmp_eq_f64_e64 s10, s[10:11], 0
	v_cmp_neq_f64_e64 s11, s[12:13], 1.0
	v_cmp_neq_f64_e64 s12, s[14:15], 0
	s_ashr_i32 s3, s2, 31
	v_lshrrev_b32_e32 v11, 5, v18
	s_lshr_b32 s13, s3, 26
	s_ashr_i32 s55, s54, 31
	s_mul_i32 s8, s2, ttmp9
	s_mul_u64 s[38:39], s[6:7], s[2:3]
	s_wait_alu 0xfffe
	s_add_co_i32 s3, s2, s13
	s_add_co_i32 s1, s6, -1
	s_and_not1_b32 s3, s3, 63
	v_lshlrev_b32_e32 v19, 4, v2
	s_sub_co_i32 s2, s2, s3
	v_lshlrev_b32_e32 v24, 4, v11
	v_lshlrev_b32_e32 v177, 4, v23
	v_add_nc_u32_e32 v3, s56, v166
	v_lshl_or_b32 v16, v2, 9, v19
	v_lshlrev_b32_e32 v20, 6, v11
	v_lshlrev_b32_e32 v15, 2, v11
	v_add_nc_u32_e32 v180, v177, v24
	v_sub_co_u32 v9, s3, 0, v2
	v_mad_co_u64_u32 v[7:8], null, s54, v11, v[2:3]
	v_mad_u32_u24 v169, 0x210, v11, v19
	v_sub_co_ci_u32_e64 v10, null, 0, 0, s3
	v_add_nc_u32_e32 v12, 8, v11
	v_add_nc_u32_e32 v13, 16, v11
	;; [unrolled: 1-line block ×3, first 2 shown]
	v_mul_u32_u24_e32 v22, 0x840, v11
	v_add_nc_u32_e32 v174, v16, v20
	v_add_nc_u32_e32 v179, 0x4700, v20
	v_cmp_eq_u32_e64 s21, 1, v11
	v_mul_i32_i24_e32 v20, 0xffffffd0, v11
	v_mad_u32_u24 v181, v11, 48, v180
	v_or_b32_e32 v21, 1, v15
	s_and_b32 s33, s9, s10
	v_or_b32_e32 v16, 2, v15
	s_or_b32 s72, s11, s12
	s_cmp_eq_u32 ttmp9, s1
	v_lshrrev_b32_e32 v23, 4, v18
	s_cselect_b32 s40, s2, 0
	v_mul_lo_u32 v5, s22, v3
	s_cmp_eq_u32 s40, 0
	v_cmp_le_i32_e64 s3, s40, v11
	s_cselect_b32 s73, -1, 0
	s_cmp_lg_u32 s40, 0
	v_cmp_le_i32_e32 vcc_lo, s40, v166
	s_cselect_b32 s2, -1, 0
	s_ashr_i32 s9, s8, 31
	s_sub_co_i32 s20, s40, 32
	s_wait_alu 0xfffe
	s_lshl_b64 s[6:7], s[8:9], 4
	v_cmp_le_i32_e64 s17, s20, v11
	v_mul_lo_u32 v11, v4, s54
	s_add_nc_u64 s[46:47], s[4:5], s[6:7]
	v_cmp_ge_u32_e64 s7, v15, v2
	v_cmp_eq_u32_e64 s8, v15, v2
	v_or_b32_e32 v15, 3, v15
	s_mul_i32 s48, s22, s56
	v_ashrrev_i32_e32 v8, 31, v7
	s_ashr_i32 s49, s48, 31
	v_lshl_add_u32 v11, v11, 2, v166
	v_cmp_ge_u32_e64 s13, v15, v2
	v_cmp_eq_u32_e64 s14, v15, v2
	v_or_b32_e32 v15, 32, v2
	v_and_b32_e32 v25, 15, v0
	v_and_b32_e32 v0, 48, v0
	v_lshlrev_b32_e32 v26, 6, v23
	s_and_b32 s2, s2, vcc_lo
	v_cmp_le_i32_e64 s5, s40, v13
	v_cmp_gt_i32_e64 s16, s40, v15
	v_cmp_le_i32_e64 s19, s20, v13
	s_sub_nc_u64 s[64:65], 0, s[48:49]
	v_sub_co_u32 v13, vcc_lo, 0, v7
	v_sub_co_u32 v15, s48, 0, v166
	v_cmp_eq_u32_e64 s0, 0, v4
	v_ashrrev_i32_e32 v6, 31, v5
	v_cmp_le_i32_e64 s4, s40, v12
	v_cmp_le_i32_e64 s6, s40, v14
	v_cmp_ge_u32_e64 s11, v16, v2
	v_cmp_eq_u32_e64 s12, v16, v2
	v_cmp_le_i32_e64 s18, s20, v12
	v_cmp_le_i32_e64 s20, s20, v14
	v_sub_co_ci_u32_e64 v14, null, 0, v8, vcc_lo
	v_ashrrev_i32_e32 v12, 31, v11
	v_sub_co_ci_u32_e64 v16, null, 0, 0, s48
	v_mad_u32_u24 v184, 0x10c0, v4, v167
	v_mad_u32_u24 v188, 0x430, v4, v167
	v_ashrrev_i32_e32 v4, 31, v3
	s_mul_i32 s58, s54, s56
	s_mul_i32 s36, s54, 24
	s_lshl_b32 s42, s54, 3
	s_lshl_b32 s44, s54, 4
	v_cmp_ge_u32_e64 s9, v21, v2
	v_cmp_eq_u32_e64 s10, v21, v2
	v_mul_u32_u24_e32 v21, 0x210, v21
	s_lshl_b32 s60, s54, 5
	v_add_nc_u32_e32 v183, 0x4300, v17
	v_lshlrev_b32_e32 v0, 4, v0
	v_or_b32_e32 v17, 0xf0, v167
	v_mad_u32_u24 v185, 0x430, v25, v26
	v_mul_i32_i24_e32 v23, 0xffffffd0, v23
	s_ashr_i32 s57, s56, 31
	s_ashr_i32 s59, s58, 31
	;; [unrolled: 1-line block ×7, first 2 shown]
	s_wait_alu 0xfffe
	s_xor_b32 s50, s2, -1
	s_cmp_gt_i32 ttmp9, 0
	v_lshlrev_b64_e32 v[152:153], 4, v[5:6]
	v_lshlrev_b64_e32 v[154:155], 4, v[7:8]
	;; [unrolled: 1-line block ×7, first 2 shown]
	v_add_nc_u32_e32 v168, 0x4700, v167
	v_add_nc_u32_e32 v170, 0x1080, v169
	;; [unrolled: 1-line block ×4, first 2 shown]
	v_cmp_gt_i32_e64 s1, s40, v2
	v_mad_u32_u24 v173, 0x210, v2, v19
	v_add_nc_u32_e32 v175, 16, v174
	v_add_nc_u32_e32 v176, 32, v174
	;; [unrolled: 1-line block ×3, first 2 shown]
	v_cmp_gt_u32_e64 s15, 32, v18
	s_cselect_b32 s74, -1, 0
	s_lshl_b32 s75, s22, 6
	v_add_nc_u32_e32 v182, 0x4300, v167
	v_cmp_gt_u32_e64 s22, 64, v18
	v_mad_u32_u24 v186, 0x430, v25, v0
	v_mad_u32_u24 v187, 0x430, v25, v17
	v_add_nc_u32_e32 v189, 0x4700, v24
	v_add_nc_u32_e32 v190, v19, v22
	;; [unrolled: 1-line block ×5, first 2 shown]
	v_lshlrev_b32_e32 v194, 4, v2
	s_sub_nc_u64 s[62:63], 0, s[60:61]
	s_sub_nc_u64 s[66:67], 0, s[58:59]
	s_and_b32 s76, s0, s50
	s_lshl_b64 s[48:49], s[54:55], 7
	s_sub_nc_u64 s[50:51], 0, s[40:41]
	s_lshl_b64 s[52:53], s[54:55], 4
	s_mul_u64 s[54:55], s[54:55], 0xd0
	s_lshl_b64 s[30:31], s[30:31], 4
	s_lshl_b64 s[26:27], s[26:27], 4
	;; [unrolled: 1-line block ×8, first 2 shown]
	s_branch .LBB62_4
.LBB62_2:                               ;   in Loop: Header=BB62_4 Depth=1
	s_wait_alu 0xfffe
	s_or_b32 exec_lo, exec_lo, s70
.LBB62_3:                               ;   in Loop: Header=BB62_4 Depth=1
	s_add_co_i32 s34, s34, 0x10000
	s_delay_alu instid0(SALU_CYCLE_1)
	s_cmp_lt_u32 s34, s23
	s_cbranch_scc0 .LBB62_137
.LBB62_4:                               ; =>This Loop Header: Depth=1
                                        ;     Child Loop BB62_113 Depth 2
	s_and_not1_b32 vcc_lo, exec_lo, s33
	s_mov_b32 s68, -1
	s_wait_alu 0xfffe
	s_cbranch_vccz .LBB62_6
; %bb.5:                                ;   in Loop: Header=BB62_4 Depth=1
	s_and_not1_b32 vcc_lo, exec_lo, s68
	s_wait_alu 0xfffe
	s_cbranch_vccnz .LBB62_3
	s_branch .LBB62_7
.LBB62_6:                               ;   in Loop: Header=BB62_4 Depth=1
	s_and_b32 vcc_lo, exec_lo, s72
	s_cbranch_execnz .LBB62_3
.LBB62_7:                               ;   in Loop: Header=BB62_4 Depth=1
	s_lshl_b64 s[68:69], s[34:35], 3
	s_wait_alu 0xfffe
	s_add_nc_u64 s[70:71], s[28:29], s[68:69]
	s_add_nc_u64 s[68:69], s[24:25], s[68:69]
	s_clause 0x1
	global_load_b64 v[2:3], v1, s[70:71]
	global_load_b64 v[4:5], v1, s[68:69]
	s_wait_loadcnt 0x1
	v_add_co_u32 v0, vcc_lo, v2, s30
	s_wait_alu 0xfffd
	v_add_co_ci_u32_e64 v2, null, s31, v3, vcc_lo
	s_delay_alu instid0(VALU_DEP_2) | instskip(SKIP_1) | instid1(VALU_DEP_2)
	v_add_co_u32 v40, vcc_lo, v0, v152
	s_wait_alu 0xfffd
	v_add_co_ci_u32_e64 v41, null, v2, v153, vcc_lo
	s_and_saveexec_b32 s68, s0
	s_cbranch_execz .LBB62_12
; %bb.8:                                ;   in Loop: Header=BB62_4 Depth=1
	s_and_saveexec_b32 s69, s2
	s_wait_alu 0xfffe
	s_xor_b32 s69, exec_lo, s69
; %bb.9:                                ;   in Loop: Header=BB62_4 Depth=1
	v_dual_mov_b32 v0, v1 :: v_dual_mov_b32 v3, v1
	v_mov_b32_e32 v2, v1
	ds_store_b128 v168, v[0:3]
; %bb.10:                               ;   in Loop: Header=BB62_4 Depth=1
	s_wait_alu 0xfffe
	s_and_not1_saveexec_b32 s69, s69
	s_cbranch_execz .LBB62_12
; %bb.11:                               ;   in Loop: Header=BB62_4 Depth=1
	flat_load_b128 v[6:9], v[40:41]
	s_wait_loadcnt_dscnt 0x0
	ds_store_2addr_b64 v168, v[6:7], v[8:9] offset1:1
.LBB62_12:                              ;   in Loop: Header=BB62_4 Depth=1
	s_wait_alu 0xfffe
	s_or_b32 exec_lo, exec_lo, s68
	s_wait_loadcnt 0x0
	v_add_co_u32 v0, vcc_lo, v4, s26
	s_wait_alu 0xfffd
	v_add_co_ci_u32_e64 v2, null, s27, v5, vcc_lo
	s_mov_b32 s68, -1
	v_add_co_u32 v0, vcc_lo, v0, s56
	s_wait_alu 0xfffd
	v_add_co_ci_u32_e64 v2, null, s57, v2, vcc_lo
	s_delay_alu instid0(VALU_DEP_2) | instskip(SKIP_1) | instid1(VALU_DEP_2)
	v_add_co_u32 v0, vcc_lo, v0, v154
	s_wait_alu 0xfffd
	v_add_co_ci_u32_e64 v2, null, v2, v155, vcc_lo
	s_delay_alu instid0(VALU_DEP_2) | instskip(SKIP_1) | instid1(VALU_DEP_2)
	v_add_co_u32 v8, vcc_lo, v0, s58
	s_wait_alu 0xfffd
	v_add_co_ci_u32_e64 v9, null, s59, v2, vcc_lo
	s_and_not1_b32 vcc_lo, exec_lo, s73
	s_wait_alu 0xfffe
	s_cbranch_vccnz .LBB62_14
; %bb.13:                               ;   in Loop: Header=BB62_4 Depth=1
	flat_load_b128 v[2:5], v[8:9]
	s_lshl_b64 s[68:69], s[42:43], 4
	s_wait_alu 0xfffe
	v_add_co_u32 v6, vcc_lo, v8, s68
	s_wait_alu 0xfffd
	v_add_co_ci_u32_e64 v7, null, s69, v9, vcc_lo
	s_mov_b32 s68, 0
	s_wait_loadcnt_dscnt 0x0
	ds_store_2addr_b64 v169, v[2:3], v[4:5] offset1:1
	flat_load_b128 v[2:5], v[6:7]
	v_add_co_u32 v6, vcc_lo, v6, s48
	s_wait_alu 0xfffd
	v_add_co_ci_u32_e64 v7, null, s49, v7, vcc_lo
	s_wait_loadcnt_dscnt 0x0
	ds_store_2addr_b64 v170, v[2:3], v[4:5] offset1:1
	flat_load_b128 v[2:5], v[6:7]
	v_add_co_u32 v6, vcc_lo, v6, s48
	s_wait_alu 0xfffd
	v_add_co_ci_u32_e64 v7, null, s49, v7, vcc_lo
	s_wait_loadcnt_dscnt 0x0
	ds_store_2addr_b64 v171, v[2:3], v[4:5] offset1:1
	flat_load_b128 v[2:5], v[6:7]
	s_wait_loadcnt_dscnt 0x0
	ds_store_2addr_b64 v172, v[2:3], v[4:5] offset1:1
.LBB62_14:                              ;   in Loop: Header=BB62_4 Depth=1
	s_wait_alu 0xfffe
	s_and_not1_b32 vcc_lo, exec_lo, s68
	s_wait_alu 0xfffe
	s_cbranch_vccnz .LBB62_26
; %bb.15:                               ;   in Loop: Header=BB62_4 Depth=1
	s_and_saveexec_b32 s68, s3
	s_wait_alu 0xfffe
	s_xor_b32 s68, exec_lo, s68
; %bb.16:                               ;   in Loop: Header=BB62_4 Depth=1
	v_dual_mov_b32 v0, v1 :: v_dual_mov_b32 v3, v1
	v_mov_b32_e32 v2, v1
	ds_store_b128 v169, v[0:3]
; %bb.17:                               ;   in Loop: Header=BB62_4 Depth=1
	s_wait_alu 0xfffe
	s_or_saveexec_b32 s68, s68
	v_add_co_u32 v0, vcc_lo, v8, v156
	s_wait_alu 0xfffd
	v_add_co_ci_u32_e64 v2, null, v9, v157, vcc_lo
	s_lshl_b64 s[70:71], s[40:41], 4
	s_wait_alu 0xfffe
	v_add_co_u32 v0, vcc_lo, v0, s70
	s_wait_alu 0xfffd
	v_add_co_ci_u32_e64 v2, null, s71, v2, vcc_lo
	s_delay_alu instid0(VALU_DEP_2) | instskip(SKIP_1) | instid1(VALU_DEP_2)
	v_add_co_u32 v0, vcc_lo, v0, -16
	s_wait_alu 0xfffd
	v_add_co_ci_u32_e64 v2, null, -1, v2, vcc_lo
	s_delay_alu instid0(VALU_DEP_2) | instskip(NEXT) | instid1(VALU_DEP_2)
	v_cndmask_b32_e64 v4, v0, v8, s1
	v_cndmask_b32_e64 v5, v2, v9, s1
	s_xor_b32 exec_lo, exec_lo, s68
	s_cbranch_execnz .LBB62_119
; %bb.18:                               ;   in Loop: Header=BB62_4 Depth=1
	s_or_b32 exec_lo, exec_lo, s68
	s_and_saveexec_b32 s68, s4
	s_wait_alu 0xfffe
	s_xor_b32 s68, exec_lo, s68
	s_cbranch_execnz .LBB62_120
.LBB62_19:                              ;   in Loop: Header=BB62_4 Depth=1
	s_wait_alu 0xfffe
	s_and_not1_saveexec_b32 s68, s68
	s_cbranch_execnz .LBB62_121
.LBB62_20:                              ;   in Loop: Header=BB62_4 Depth=1
	s_wait_alu 0xfffe
	s_or_b32 exec_lo, exec_lo, s68
	s_and_saveexec_b32 s68, s5
	s_wait_alu 0xfffe
	s_xor_b32 s68, exec_lo, s68
	s_cbranch_execnz .LBB62_122
.LBB62_21:                              ;   in Loop: Header=BB62_4 Depth=1
	s_wait_alu 0xfffe
	s_and_not1_saveexec_b32 s68, s68
	s_cbranch_execnz .LBB62_123
.LBB62_22:                              ;   in Loop: Header=BB62_4 Depth=1
	s_wait_alu 0xfffe
	s_or_b32 exec_lo, exec_lo, s68
	s_and_saveexec_b32 s68, s6
	s_wait_alu 0xfffe
	s_xor_b32 s68, exec_lo, s68
	s_cbranch_execnz .LBB62_124
.LBB62_23:                              ;   in Loop: Header=BB62_4 Depth=1
	s_wait_alu 0xfffe
	s_and_not1_saveexec_b32 s68, s68
	s_cbranch_execz .LBB62_25
.LBB62_24:                              ;   in Loop: Header=BB62_4 Depth=1
	s_lshl_b64 s[70:71], s[36:37], 4
	s_wait_alu 0xfffe
	v_add_co_u32 v2, vcc_lo, v4, s70
	s_wait_alu 0xfffd
	v_add_co_ci_u32_e64 v3, null, s71, v5, vcc_lo
	flat_load_b128 v[10:13], v[2:3]
	s_wait_loadcnt_dscnt 0x0
	ds_store_2addr_b64 v172, v[10:11], v[12:13] offset1:1
.LBB62_25:                              ;   in Loop: Header=BB62_4 Depth=1
	s_wait_alu 0xfffe
	s_or_b32 exec_lo, exec_lo, s68
	v_add_co_u32 v0, vcc_lo, v4, v194
	s_wait_alu 0xfffd
	v_add_co_ci_u32_e64 v2, null, 0, v5, vcc_lo
	s_lshl_b64 s[68:69], s[50:51], 4
	s_wait_alu 0xfffe
	v_add_co_u32 v0, vcc_lo, v0, s68
	s_wait_alu 0xfffd
	v_add_co_ci_u32_e64 v2, null, s69, v2, vcc_lo
	s_delay_alu instid0(VALU_DEP_2) | instskip(SKIP_1) | instid1(VALU_DEP_2)
	v_add_co_u32 v0, vcc_lo, v0, 16
	s_wait_alu 0xfffd
	v_add_co_ci_u32_e64 v2, null, 0, v2, vcc_lo
	s_delay_alu instid0(VALU_DEP_2) | instskip(NEXT) | instid1(VALU_DEP_2)
	v_cndmask_b32_e64 v8, v0, v8, s1
	v_cndmask_b32_e64 v9, v2, v9, s1
.LBB62_26:                              ;   in Loop: Header=BB62_4 Depth=1
	s_mov_b32 s68, 0
	s_wait_dscnt 0x0
	s_barrier_signal -1
	s_barrier_wait -1
	global_inv scope:SCOPE_SE
	s_and_saveexec_b32 s69, s7
	s_wait_alu 0xfffe
	s_xor_b32 s69, exec_lo, s69
; %bb.27:                               ;   in Loop: Header=BB62_4 Depth=1
	s_and_b32 s68, s8, exec_lo
; %bb.28:                               ;   in Loop: Header=BB62_4 Depth=1
	s_wait_alu 0xfffe
	s_or_saveexec_b32 s69, s69
	v_mov_b32_e32 v4, 0
	v_dual_mov_b32 v5, 0 :: v_dual_mov_b32 v0, v173
	s_wait_alu 0xfffe
	s_xor_b32 exec_lo, exec_lo, s69
	s_cbranch_execz .LBB62_30
; %bb.29:                               ;   in Loop: Header=BB62_4 Depth=1
	ds_load_b128 v[2:5], v190
	v_mov_b32_e32 v0, v174
	s_or_b32 s68, s68, exec_lo
	s_wait_dscnt 0x0
	v_xor_b32_e32 v5, 0x80000000, v5
	ds_store_b64 v174, v[2:3]
.LBB62_30:                              ;   in Loop: Header=BB62_4 Depth=1
	s_or_b32 exec_lo, exec_lo, s69
	s_wait_alu 0xfffe
	s_and_saveexec_b32 s69, s68
; %bb.31:                               ;   in Loop: Header=BB62_4 Depth=1
	ds_store_b64 v0, v[4:5] offset:8
; %bb.32:                               ;   in Loop: Header=BB62_4 Depth=1
	s_wait_alu 0xfffe
	s_or_b32 exec_lo, exec_lo, s69
	s_mov_b32 s68, 0
	s_and_saveexec_b32 s69, s9
	s_wait_alu 0xfffe
	s_xor_b32 s69, exec_lo, s69
; %bb.33:                               ;   in Loop: Header=BB62_4 Depth=1
	s_and_b32 s68, s10, exec_lo
; %bb.34:                               ;   in Loop: Header=BB62_4 Depth=1
	s_wait_alu 0xfffe
	s_or_saveexec_b32 s69, s69
	v_mov_b32_e32 v4, 0
	v_dual_mov_b32 v5, 0 :: v_dual_mov_b32 v0, v173
	s_wait_alu 0xfffe
	s_xor_b32 exec_lo, exec_lo, s69
	s_cbranch_execz .LBB62_36
; %bb.35:                               ;   in Loop: Header=BB62_4 Depth=1
	ds_load_b128 v[2:5], v191
	v_mov_b32_e32 v0, v175
	s_or_b32 s68, s68, exec_lo
	s_wait_dscnt 0x0
	v_xor_b32_e32 v5, 0x80000000, v5
	ds_store_b64 v175, v[2:3]
.LBB62_36:                              ;   in Loop: Header=BB62_4 Depth=1
	s_or_b32 exec_lo, exec_lo, s69
	s_wait_alu 0xfffe
	s_and_saveexec_b32 s69, s68
; %bb.37:                               ;   in Loop: Header=BB62_4 Depth=1
	ds_store_b64 v0, v[4:5] offset:8
; %bb.38:                               ;   in Loop: Header=BB62_4 Depth=1
	s_wait_alu 0xfffe
	s_or_b32 exec_lo, exec_lo, s69
	s_mov_b32 s68, 0
	s_and_saveexec_b32 s69, s11
	s_wait_alu 0xfffe
	s_xor_b32 s69, exec_lo, s69
; %bb.39:                               ;   in Loop: Header=BB62_4 Depth=1
	s_and_b32 s68, s12, exec_lo
; %bb.40:                               ;   in Loop: Header=BB62_4 Depth=1
	s_wait_alu 0xfffe
	s_or_saveexec_b32 s69, s69
	v_mov_b32_e32 v4, 0
	v_dual_mov_b32 v5, 0 :: v_dual_mov_b32 v0, v173
	s_wait_alu 0xfffe
	s_xor_b32 exec_lo, exec_lo, s69
	s_cbranch_execz .LBB62_42
; %bb.41:                               ;   in Loop: Header=BB62_4 Depth=1
	ds_load_b128 v[2:5], v191 offset:528
	v_mov_b32_e32 v0, v176
	s_or_b32 s68, s68, exec_lo
	s_wait_dscnt 0x0
	v_xor_b32_e32 v5, 0x80000000, v5
	ds_store_b64 v176, v[2:3]
.LBB62_42:                              ;   in Loop: Header=BB62_4 Depth=1
	s_or_b32 exec_lo, exec_lo, s69
	s_wait_alu 0xfffe
	s_and_saveexec_b32 s69, s68
; %bb.43:                               ;   in Loop: Header=BB62_4 Depth=1
	ds_store_b64 v0, v[4:5] offset:8
; %bb.44:                               ;   in Loop: Header=BB62_4 Depth=1
	s_wait_alu 0xfffe
	s_or_b32 exec_lo, exec_lo, s69
	s_mov_b32 s68, 0
	s_and_saveexec_b32 s69, s13
	s_wait_alu 0xfffe
	s_xor_b32 s69, exec_lo, s69
; %bb.45:                               ;   in Loop: Header=BB62_4 Depth=1
	s_and_b32 s68, s14, exec_lo
; %bb.46:                               ;   in Loop: Header=BB62_4 Depth=1
	s_wait_alu 0xfffe
	s_or_saveexec_b32 s69, s69
	v_mov_b32_e32 v4, 0
	v_dual_mov_b32 v5, 0 :: v_dual_mov_b32 v0, v173
	s_wait_alu 0xfffe
	s_xor_b32 exec_lo, exec_lo, s69
	s_cbranch_execz .LBB62_48
; %bb.47:                               ;   in Loop: Header=BB62_4 Depth=1
	ds_load_b128 v[2:5], v191 offset:1056
	v_mov_b32_e32 v0, v178
	s_or_b32 s68, s68, exec_lo
	s_wait_dscnt 0x0
	v_xor_b32_e32 v5, 0x80000000, v5
	ds_store_b64 v178, v[2:3]
.LBB62_48:                              ;   in Loop: Header=BB62_4 Depth=1
	s_or_b32 exec_lo, exec_lo, s69
	s_wait_alu 0xfffe
	s_and_saveexec_b32 s69, s68
; %bb.49:                               ;   in Loop: Header=BB62_4 Depth=1
	ds_store_b64 v0, v[4:5] offset:8
; %bb.50:                               ;   in Loop: Header=BB62_4 Depth=1
	s_wait_alu 0xfffe
	s_or_b32 exec_lo, exec_lo, s69
	s_wait_loadcnt_dscnt 0x0
	s_barrier_signal -1
	s_barrier_wait -1
	global_inv scope:SCOPE_SE
	ds_load_b128 v[2:5], v190
	ds_load_b128 v[10:13], v179
	ds_load_b128 v[14:17], v179 offset:16
	ds_load_b128 v[18:21], v191
	s_wait_dscnt 0x2
	v_mul_f64_e32 v[6:7], v[12:13], v[4:5]
	v_mul_f64_e32 v[4:5], v[10:11], v[4:5]
	s_wait_dscnt 0x0
	v_mul_f64_e32 v[28:29], v[16:17], v[20:21]
	v_mul_f64_e32 v[30:31], v[14:15], v[20:21]
	s_delay_alu instid0(VALU_DEP_4) | instskip(NEXT) | instid1(VALU_DEP_4)
	v_fma_f64 v[6:7], v[10:11], v[2:3], -v[6:7]
	v_fma_f64 v[32:33], v[12:13], v[2:3], v[4:5]
	ds_load_b128 v[2:5], v191 offset:528
	ds_load_b128 v[10:13], v179 offset:32
	;; [unrolled: 1-line block ×4, first 2 shown]
	v_fma_f64 v[14:15], v[14:15], v[18:19], -v[28:29]
	v_fma_f64 v[16:17], v[16:17], v[18:19], v[30:31]
	s_wait_loadcnt_dscnt 0x0
	s_barrier_signal -1
	s_barrier_wait -1
	global_inv scope:SCOPE_SE
	v_mul_f64_e32 v[34:35], v[12:13], v[4:5]
	v_mul_f64_e32 v[4:5], v[10:11], v[4:5]
	;; [unrolled: 1-line block ×4, first 2 shown]
	v_add_f64_e32 v[6:7], 0, v[6:7]
	v_add_f64_e32 v[18:19], 0, v[32:33]
	v_fma_f64 v[10:11], v[10:11], v[2:3], -v[34:35]
	v_fma_f64 v[2:3], v[12:13], v[2:3], v[4:5]
	v_fma_f64 v[12:13], v[20:21], v[24:25], -v[28:29]
	v_add_f64_e32 v[4:5], v[6:7], v[14:15]
	v_add_f64_e32 v[6:7], v[18:19], v[16:17]
	v_fma_f64 v[14:15], v[22:23], v[24:25], v[26:27]
	s_delay_alu instid0(VALU_DEP_3) | instskip(NEXT) | instid1(VALU_DEP_3)
	v_add_f64_e32 v[4:5], v[4:5], v[10:11]
	v_add_f64_e32 v[2:3], v[6:7], v[2:3]
	v_mov_b32_e32 v6, 0
	v_mov_b32_e32 v7, 0
	s_delay_alu instid0(VALU_DEP_4) | instskip(NEXT) | instid1(VALU_DEP_4)
	v_add_f64_e32 v[10:11], v[4:5], v[12:13]
	v_add_f64_e32 v[12:13], v[2:3], v[14:15]
	v_mov_b32_e32 v4, 0
	v_mov_b32_e32 v5, 0
	ds_store_b128 v180, v[10:13]
	s_wait_loadcnt_dscnt 0x0
	s_barrier_signal -1
	s_barrier_wait -1
	global_inv scope:SCOPE_SE
	s_and_saveexec_b32 s68, s15
	s_cbranch_execz .LBB62_52
; %bb.51:                               ;   in Loop: Header=BB62_4 Depth=1
	ds_load_b128 v[2:5], v177
	ds_load_b128 v[10:13], v177 offset:16
	s_wait_dscnt 0x0
	v_add_f64_e32 v[6:7], v[10:11], v[2:3]
	v_add_f64_e32 v[14:15], v[12:13], v[4:5]
	ds_load_b128 v[2:5], v177 offset:32
	ds_load_b128 v[10:13], v177 offset:48
	s_wait_dscnt 0x1
	v_add_f64_e32 v[2:3], v[6:7], v[2:3]
	v_add_f64_e32 v[4:5], v[14:15], v[4:5]
	s_wait_dscnt 0x0
	s_delay_alu instid0(VALU_DEP_2) | instskip(NEXT) | instid1(VALU_DEP_2)
	v_add_f64_e32 v[6:7], v[2:3], v[10:11]
	v_add_f64_e32 v[14:15], v[4:5], v[12:13]
	ds_load_b128 v[2:5], v177 offset:64
	ds_load_b128 v[10:13], v177 offset:80
	s_wait_dscnt 0x1
	v_add_f64_e32 v[2:3], v[6:7], v[2:3]
	v_add_f64_e32 v[4:5], v[14:15], v[4:5]
	s_wait_dscnt 0x0
	s_delay_alu instid0(VALU_DEP_2) | instskip(NEXT) | instid1(VALU_DEP_2)
	;; [unrolled: 9-line block ×3, first 2 shown]
	v_add_f64_e32 v[4:5], v[2:3], v[10:11]
	v_add_f64_e32 v[6:7], v[6:7], v[12:13]
.LBB62_52:                              ;   in Loop: Header=BB62_4 Depth=1
	s_wait_alu 0xfffe
	s_or_b32 exec_lo, exec_lo, s68
	v_add_co_u32 v8, vcc_lo, v8, s60
	s_wait_alu 0xfffd
	v_add_co_ci_u32_e64 v9, null, s61, v9, vcc_lo
	s_mov_b32 s68, -1
	v_add_co_u32 v12, vcc_lo, 0x200, v8
	s_wait_alu 0xfffd
	v_add_co_ci_u32_e64 v13, null, 0, v9, vcc_lo
	s_and_not1_b32 vcc_lo, exec_lo, s73
	s_wait_loadcnt 0x0
	s_barrier_signal -1
	s_barrier_wait -1
	global_inv scope:SCOPE_SE
	s_wait_alu 0xfffe
	s_cbranch_vccnz .LBB62_54
; %bb.53:                               ;   in Loop: Header=BB62_4 Depth=1
	flat_load_b128 v[14:17], v[12:13]
	s_lshl_b64 s[68:69], s[42:43], 4
	s_wait_alu 0xfffe
	v_add_co_u32 v2, vcc_lo, v8, s68
	s_wait_alu 0xfffd
	v_add_co_ci_u32_e64 v3, null, s69, v9, vcc_lo
	s_mov_b32 s68, 0
	s_wait_loadcnt_dscnt 0x0
	ds_store_2addr_b64 v169, v[14:15], v[16:17] offset1:1
	flat_load_b128 v[14:17], v[2:3] offset:512
	v_add_co_u32 v2, vcc_lo, v2, s48
	s_wait_alu 0xfffd
	v_add_co_ci_u32_e64 v3, null, s49, v3, vcc_lo
	s_wait_loadcnt_dscnt 0x0
	ds_store_2addr_b64 v170, v[14:15], v[16:17] offset1:1
	flat_load_b128 v[14:17], v[2:3] offset:512
	v_add_co_u32 v2, vcc_lo, v2, s48
	s_wait_alu 0xfffd
	v_add_co_ci_u32_e64 v3, null, s49, v3, vcc_lo
	s_wait_loadcnt_dscnt 0x0
	ds_store_2addr_b64 v171, v[14:15], v[16:17] offset1:1
	flat_load_b128 v[14:17], v[2:3] offset:512
	s_wait_loadcnt_dscnt 0x0
	ds_store_2addr_b64 v172, v[14:15], v[16:17] offset1:1
.LBB62_54:                              ;   in Loop: Header=BB62_4 Depth=1
	s_wait_alu 0xfffe
	s_and_not1_b32 vcc_lo, exec_lo, s68
	s_wait_alu 0xfffe
	s_cbranch_vccnz .LBB62_66
; %bb.55:                               ;   in Loop: Header=BB62_4 Depth=1
	s_and_saveexec_b32 s68, s17
	s_wait_alu 0xfffe
	s_xor_b32 s68, exec_lo, s68
; %bb.56:                               ;   in Loop: Header=BB62_4 Depth=1
	v_dual_mov_b32 v0, v1 :: v_dual_mov_b32 v3, v1
	v_mov_b32_e32 v2, v1
	ds_store_b128 v169, v[0:3]
; %bb.57:                               ;   in Loop: Header=BB62_4 Depth=1
	s_wait_alu 0xfffe
	s_or_saveexec_b32 s68, s68
	v_add_co_u32 v0, vcc_lo, v8, v156
	s_wait_alu 0xfffd
	v_add_co_ci_u32_e64 v2, null, v9, v157, vcc_lo
	s_lshl_b64 s[70:71], s[40:41], 4
	s_wait_alu 0xfffe
	v_add_co_u32 v0, vcc_lo, v0, s70
	s_wait_alu 0xfffd
	v_add_co_ci_u32_e64 v2, null, s71, v2, vcc_lo
	s_delay_alu instid0(VALU_DEP_2) | instskip(SKIP_1) | instid1(VALU_DEP_2)
	v_add_co_u32 v0, vcc_lo, v0, -16
	s_wait_alu 0xfffd
	v_add_co_ci_u32_e64 v2, null, -1, v2, vcc_lo
	s_delay_alu instid0(VALU_DEP_2) | instskip(NEXT) | instid1(VALU_DEP_2)
	v_cndmask_b32_e64 v8, v0, v12, s16
	v_cndmask_b32_e64 v9, v2, v13, s16
	s_xor_b32 exec_lo, exec_lo, s68
	s_cbranch_execnz .LBB62_125
; %bb.58:                               ;   in Loop: Header=BB62_4 Depth=1
	s_or_b32 exec_lo, exec_lo, s68
	s_and_saveexec_b32 s68, s18
	s_wait_alu 0xfffe
	s_xor_b32 s68, exec_lo, s68
	s_cbranch_execnz .LBB62_126
.LBB62_59:                              ;   in Loop: Header=BB62_4 Depth=1
	s_wait_alu 0xfffe
	s_and_not1_saveexec_b32 s68, s68
	s_cbranch_execnz .LBB62_127
.LBB62_60:                              ;   in Loop: Header=BB62_4 Depth=1
	s_wait_alu 0xfffe
	s_or_b32 exec_lo, exec_lo, s68
	s_and_saveexec_b32 s68, s19
	s_wait_alu 0xfffe
	s_xor_b32 s68, exec_lo, s68
	s_cbranch_execnz .LBB62_128
.LBB62_61:                              ;   in Loop: Header=BB62_4 Depth=1
	s_wait_alu 0xfffe
	s_and_not1_saveexec_b32 s68, s68
	s_cbranch_execnz .LBB62_129
.LBB62_62:                              ;   in Loop: Header=BB62_4 Depth=1
	s_wait_alu 0xfffe
	s_or_b32 exec_lo, exec_lo, s68
	s_and_saveexec_b32 s68, s20
	s_wait_alu 0xfffe
	s_xor_b32 s68, exec_lo, s68
	s_cbranch_execnz .LBB62_130
.LBB62_63:                              ;   in Loop: Header=BB62_4 Depth=1
	s_wait_alu 0xfffe
	s_and_not1_saveexec_b32 s68, s68
	s_cbranch_execz .LBB62_65
.LBB62_64:                              ;   in Loop: Header=BB62_4 Depth=1
	s_lshl_b64 s[70:71], s[36:37], 4
	s_wait_alu 0xfffe
	v_add_co_u32 v2, vcc_lo, v8, s70
	s_wait_alu 0xfffd
	v_add_co_ci_u32_e64 v3, null, s71, v9, vcc_lo
	flat_load_b128 v[14:17], v[2:3]
	s_wait_loadcnt_dscnt 0x0
	ds_store_2addr_b64 v172, v[14:15], v[16:17] offset1:1
.LBB62_65:                              ;   in Loop: Header=BB62_4 Depth=1
	s_wait_alu 0xfffe
	s_or_b32 exec_lo, exec_lo, s68
	v_add_co_u32 v0, vcc_lo, v8, v194
	s_wait_alu 0xfffd
	v_add_co_ci_u32_e64 v2, null, 0, v9, vcc_lo
	s_lshl_b64 s[68:69], s[50:51], 4
	s_wait_alu 0xfffe
	v_add_co_u32 v0, vcc_lo, v0, s68
	s_wait_alu 0xfffd
	v_add_co_ci_u32_e64 v2, null, s69, v2, vcc_lo
	s_delay_alu instid0(VALU_DEP_2) | instskip(SKIP_1) | instid1(VALU_DEP_2)
	v_add_co_u32 v0, vcc_lo, 0x210, v0
	s_wait_alu 0xfffd
	v_add_co_ci_u32_e64 v2, null, 0, v2, vcc_lo
	s_delay_alu instid0(VALU_DEP_2) | instskip(NEXT) | instid1(VALU_DEP_2)
	v_cndmask_b32_e64 v12, v0, v12, s16
	v_cndmask_b32_e64 v13, v2, v13, s16
.LBB62_66:                              ;   in Loop: Header=BB62_4 Depth=1
	s_mov_b32 s68, 0
	s_wait_loadcnt_dscnt 0x0
	s_barrier_signal -1
	s_barrier_wait -1
	global_inv scope:SCOPE_SE
	s_and_saveexec_b32 s69, s7
	s_wait_alu 0xfffe
	s_xor_b32 s69, exec_lo, s69
; %bb.67:                               ;   in Loop: Header=BB62_4 Depth=1
	s_and_b32 s68, s8, exec_lo
; %bb.68:                               ;   in Loop: Header=BB62_4 Depth=1
	s_wait_alu 0xfffe
	s_or_saveexec_b32 s69, s69
	v_mov_b32_e32 v10, 0
	v_dual_mov_b32 v11, 0 :: v_dual_mov_b32 v0, v173
	s_wait_alu 0xfffe
	s_xor_b32 exec_lo, exec_lo, s69
	s_cbranch_execz .LBB62_70
; %bb.69:                               ;   in Loop: Header=BB62_4 Depth=1
	ds_load_b128 v[8:11], v190
	v_mov_b32_e32 v0, v174
	s_or_b32 s68, s68, exec_lo
	s_wait_dscnt 0x0
	v_xor_b32_e32 v11, 0x80000000, v11
	ds_store_b64 v174, v[8:9]
.LBB62_70:                              ;   in Loop: Header=BB62_4 Depth=1
	s_or_b32 exec_lo, exec_lo, s69
	s_wait_alu 0xfffe
	s_and_saveexec_b32 s69, s68
; %bb.71:                               ;   in Loop: Header=BB62_4 Depth=1
	ds_store_b64 v0, v[10:11] offset:8
; %bb.72:                               ;   in Loop: Header=BB62_4 Depth=1
	s_wait_alu 0xfffe
	s_or_b32 exec_lo, exec_lo, s69
	s_mov_b32 s68, 0
	s_and_saveexec_b32 s69, s9
	s_wait_alu 0xfffe
	s_xor_b32 s69, exec_lo, s69
; %bb.73:                               ;   in Loop: Header=BB62_4 Depth=1
	s_and_b32 s68, s10, exec_lo
; %bb.74:                               ;   in Loop: Header=BB62_4 Depth=1
	s_wait_alu 0xfffe
	s_or_saveexec_b32 s69, s69
	v_mov_b32_e32 v10, 0
	v_dual_mov_b32 v11, 0 :: v_dual_mov_b32 v0, v173
	s_wait_alu 0xfffe
	s_xor_b32 exec_lo, exec_lo, s69
	s_cbranch_execz .LBB62_76
; %bb.75:                               ;   in Loop: Header=BB62_4 Depth=1
	ds_load_b128 v[8:11], v191
	v_mov_b32_e32 v0, v175
	s_or_b32 s68, s68, exec_lo
	s_wait_dscnt 0x0
	v_xor_b32_e32 v11, 0x80000000, v11
	ds_store_b64 v175, v[8:9]
.LBB62_76:                              ;   in Loop: Header=BB62_4 Depth=1
	s_or_b32 exec_lo, exec_lo, s69
	s_wait_alu 0xfffe
	s_and_saveexec_b32 s69, s68
; %bb.77:                               ;   in Loop: Header=BB62_4 Depth=1
	ds_store_b64 v0, v[10:11] offset:8
; %bb.78:                               ;   in Loop: Header=BB62_4 Depth=1
	s_wait_alu 0xfffe
	s_or_b32 exec_lo, exec_lo, s69
	s_mov_b32 s68, 0
	s_and_saveexec_b32 s69, s11
	s_wait_alu 0xfffe
	s_xor_b32 s69, exec_lo, s69
; %bb.79:                               ;   in Loop: Header=BB62_4 Depth=1
	s_and_b32 s68, s12, exec_lo
; %bb.80:                               ;   in Loop: Header=BB62_4 Depth=1
	s_wait_alu 0xfffe
	s_or_saveexec_b32 s69, s69
	v_mov_b32_e32 v10, 0
	v_dual_mov_b32 v11, 0 :: v_dual_mov_b32 v0, v173
	s_wait_alu 0xfffe
	s_xor_b32 exec_lo, exec_lo, s69
	s_cbranch_execz .LBB62_82
; %bb.81:                               ;   in Loop: Header=BB62_4 Depth=1
	ds_load_b128 v[8:11], v191 offset:528
	v_mov_b32_e32 v0, v176
	s_or_b32 s68, s68, exec_lo
	s_wait_dscnt 0x0
	v_xor_b32_e32 v11, 0x80000000, v11
	ds_store_b64 v176, v[8:9]
.LBB62_82:                              ;   in Loop: Header=BB62_4 Depth=1
	s_or_b32 exec_lo, exec_lo, s69
	s_wait_alu 0xfffe
	s_and_saveexec_b32 s69, s68
; %bb.83:                               ;   in Loop: Header=BB62_4 Depth=1
	ds_store_b64 v0, v[10:11] offset:8
; %bb.84:                               ;   in Loop: Header=BB62_4 Depth=1
	s_wait_alu 0xfffe
	s_or_b32 exec_lo, exec_lo, s69
	s_mov_b32 s68, 0
	s_and_saveexec_b32 s69, s13
	s_wait_alu 0xfffe
	s_xor_b32 s69, exec_lo, s69
; %bb.85:                               ;   in Loop: Header=BB62_4 Depth=1
	s_and_b32 s68, s14, exec_lo
; %bb.86:                               ;   in Loop: Header=BB62_4 Depth=1
	s_wait_alu 0xfffe
	s_or_saveexec_b32 s69, s69
	v_mov_b32_e32 v10, 0
	v_dual_mov_b32 v11, 0 :: v_dual_mov_b32 v0, v173
	s_wait_alu 0xfffe
	s_xor_b32 exec_lo, exec_lo, s69
	s_cbranch_execz .LBB62_88
; %bb.87:                               ;   in Loop: Header=BB62_4 Depth=1
	ds_load_b128 v[8:11], v191 offset:1056
	v_mov_b32_e32 v0, v178
	s_or_b32 s68, s68, exec_lo
	s_wait_dscnt 0x0
	v_xor_b32_e32 v11, 0x80000000, v11
	ds_store_b64 v178, v[8:9]
.LBB62_88:                              ;   in Loop: Header=BB62_4 Depth=1
	s_or_b32 exec_lo, exec_lo, s69
	s_wait_alu 0xfffe
	s_and_saveexec_b32 s69, s68
; %bb.89:                               ;   in Loop: Header=BB62_4 Depth=1
	ds_store_b64 v0, v[10:11] offset:8
; %bb.90:                               ;   in Loop: Header=BB62_4 Depth=1
	s_wait_alu 0xfffe
	s_or_b32 exec_lo, exec_lo, s69
	s_wait_loadcnt_dscnt 0x0
	s_barrier_signal -1
	s_barrier_wait -1
	global_inv scope:SCOPE_SE
	ds_load_b128 v[8:11], v190
	ds_load_b128 v[14:17], v179 offset:512
	ds_load_b128 v[18:21], v179 offset:528
	ds_load_b128 v[22:25], v191
	s_wait_dscnt 0x2
	v_mul_f64_e32 v[2:3], v[16:17], v[10:11]
	v_mul_f64_e32 v[10:11], v[14:15], v[10:11]
	s_wait_dscnt 0x0
	v_mul_f64_e32 v[32:33], v[20:21], v[24:25]
	v_mul_f64_e32 v[34:35], v[18:19], v[24:25]
	s_delay_alu instid0(VALU_DEP_4) | instskip(NEXT) | instid1(VALU_DEP_4)
	v_fma_f64 v[2:3], v[14:15], v[8:9], -v[2:3]
	v_fma_f64 v[36:37], v[16:17], v[8:9], v[10:11]
	ds_load_b128 v[8:11], v191 offset:528
	ds_load_b128 v[14:17], v179 offset:544
	;; [unrolled: 1-line block ×4, first 2 shown]
	v_fma_f64 v[18:19], v[18:19], v[22:23], -v[32:33]
	v_fma_f64 v[20:21], v[20:21], v[22:23], v[34:35]
	s_wait_loadcnt_dscnt 0x0
	s_barrier_signal -1
	s_barrier_wait -1
	global_inv scope:SCOPE_SE
	v_mul_f64_e32 v[38:39], v[16:17], v[10:11]
	v_mul_f64_e32 v[10:11], v[14:15], v[10:11]
	;; [unrolled: 1-line block ×4, first 2 shown]
	v_add_f64_e32 v[2:3], 0, v[2:3]
	v_add_f64_e32 v[22:23], 0, v[36:37]
	v_fma_f64 v[14:15], v[14:15], v[8:9], -v[38:39]
	v_fma_f64 v[8:9], v[16:17], v[8:9], v[10:11]
	v_fma_f64 v[16:17], v[24:25], v[28:29], -v[32:33]
	v_add_f64_e32 v[2:3], v[2:3], v[18:19]
	v_add_f64_e32 v[10:11], v[22:23], v[20:21]
	v_fma_f64 v[18:19], v[26:27], v[28:29], v[30:31]
	s_delay_alu instid0(VALU_DEP_3) | instskip(NEXT) | instid1(VALU_DEP_3)
	v_add_f64_e32 v[2:3], v[2:3], v[14:15]
	v_add_f64_e32 v[10:11], v[10:11], v[8:9]
	s_delay_alu instid0(VALU_DEP_2) | instskip(NEXT) | instid1(VALU_DEP_2)
	v_add_f64_e32 v[8:9], v[2:3], v[16:17]
	v_add_f64_e32 v[10:11], v[10:11], v[18:19]
	ds_store_b128 v180, v[8:11]
	s_wait_loadcnt_dscnt 0x0
	s_barrier_signal -1
	s_barrier_wait -1
	global_inv scope:SCOPE_SE
	s_and_saveexec_b32 s68, s21
	s_cbranch_execz .LBB62_92
; %bb.91:                               ;   in Loop: Header=BB62_4 Depth=1
	ds_load_b128 v[2:5], v177
	ds_load_b128 v[6:9], v177 offset:16
	s_wait_dscnt 0x0
	v_add_f64_e32 v[10:11], v[6:7], v[2:3]
	v_add_f64_e32 v[14:15], v[8:9], v[4:5]
	ds_load_b128 v[2:5], v177 offset:32
	ds_load_b128 v[6:9], v177 offset:48
	s_wait_dscnt 0x1
	v_add_f64_e32 v[2:3], v[10:11], v[2:3]
	v_add_f64_e32 v[4:5], v[14:15], v[4:5]
	s_wait_dscnt 0x0
	s_delay_alu instid0(VALU_DEP_2) | instskip(NEXT) | instid1(VALU_DEP_2)
	v_add_f64_e32 v[10:11], v[2:3], v[6:7]
	v_add_f64_e32 v[14:15], v[4:5], v[8:9]
	ds_load_b128 v[2:5], v177 offset:64
	ds_load_b128 v[6:9], v177 offset:80
	s_wait_dscnt 0x1
	v_add_f64_e32 v[2:3], v[10:11], v[2:3]
	v_add_f64_e32 v[4:5], v[14:15], v[4:5]
	s_wait_dscnt 0x0
	s_delay_alu instid0(VALU_DEP_2) | instskip(NEXT) | instid1(VALU_DEP_2)
	;; [unrolled: 9-line block ×3, first 2 shown]
	v_add_f64_e32 v[4:5], v[2:3], v[6:7]
	v_add_f64_e32 v[6:7], v[10:11], v[8:9]
.LBB62_92:                              ;   in Loop: Header=BB62_4 Depth=1
	s_wait_alu 0xfffe
	s_or_b32 exec_lo, exec_lo, s68
	v_add_co_u32 v42, vcc_lo, v12, s62
	s_wait_alu 0xfffd
	v_add_co_ci_u32_e64 v43, null, s63, v13, vcc_lo
	s_and_not1_b32 vcc_lo, exec_lo, s73
	s_mov_b32 s68, -1
	s_wait_loadcnt 0x0
	s_barrier_signal -1
	s_barrier_wait -1
	global_inv scope:SCOPE_SE
	s_wait_alu 0xfffe
	s_cbranch_vccnz .LBB62_94
; %bb.93:                               ;   in Loop: Header=BB62_4 Depth=1
	flat_load_b128 v[8:11], v[42:43]
	s_lshl_b64 s[68:69], s[42:43], 4
	s_wait_alu 0xfffe
	v_add_co_u32 v2, vcc_lo, v42, s68
	s_wait_alu 0xfffd
	v_add_co_ci_u32_e64 v3, null, s69, v43, vcc_lo
	s_mov_b32 s68, 0
	s_wait_loadcnt_dscnt 0x0
	ds_store_2addr_b64 v169, v[8:9], v[10:11] offset1:1
	flat_load_b128 v[8:11], v[2:3]
	v_add_co_u32 v2, vcc_lo, v2, s48
	s_wait_alu 0xfffd
	v_add_co_ci_u32_e64 v3, null, s49, v3, vcc_lo
	s_wait_loadcnt_dscnt 0x0
	ds_store_2addr_b64 v170, v[8:9], v[10:11] offset1:1
	flat_load_b128 v[8:11], v[2:3]
	v_add_co_u32 v2, vcc_lo, v2, s48
	s_wait_alu 0xfffd
	v_add_co_ci_u32_e64 v3, null, s49, v3, vcc_lo
	s_wait_loadcnt_dscnt 0x0
	ds_store_2addr_b64 v171, v[8:9], v[10:11] offset1:1
	flat_load_b128 v[8:11], v[2:3]
	s_wait_loadcnt_dscnt 0x0
	ds_store_2addr_b64 v172, v[8:9], v[10:11] offset1:1
.LBB62_94:                              ;   in Loop: Header=BB62_4 Depth=1
	s_wait_alu 0xfffe
	s_and_not1_b32 vcc_lo, exec_lo, s68
	s_wait_alu 0xfffe
	s_cbranch_vccnz .LBB62_106
; %bb.95:                               ;   in Loop: Header=BB62_4 Depth=1
	s_and_saveexec_b32 s68, s3
	s_wait_alu 0xfffe
	s_xor_b32 s68, exec_lo, s68
; %bb.96:                               ;   in Loop: Header=BB62_4 Depth=1
	v_dual_mov_b32 v0, v1 :: v_dual_mov_b32 v3, v1
	v_mov_b32_e32 v2, v1
	ds_store_b128 v169, v[0:3]
; %bb.97:                               ;   in Loop: Header=BB62_4 Depth=1
	s_wait_alu 0xfffe
	s_or_saveexec_b32 s68, s68
	v_add_co_u32 v0, vcc_lo, v42, v156
	s_wait_alu 0xfffd
	v_add_co_ci_u32_e64 v2, null, v43, v157, vcc_lo
	s_lshl_b64 s[70:71], s[40:41], 4
	s_wait_alu 0xfffe
	v_add_co_u32 v0, vcc_lo, v0, s70
	s_wait_alu 0xfffd
	v_add_co_ci_u32_e64 v2, null, s71, v2, vcc_lo
	s_delay_alu instid0(VALU_DEP_2) | instskip(SKIP_1) | instid1(VALU_DEP_2)
	v_add_co_u32 v0, vcc_lo, 0xfffffdf0, v0
	s_wait_alu 0xfffd
	v_add_co_ci_u32_e64 v2, null, -1, v2, vcc_lo
	s_delay_alu instid0(VALU_DEP_2) | instskip(NEXT) | instid1(VALU_DEP_2)
	v_cndmask_b32_e64 v8, v0, v42, s16
	v_cndmask_b32_e64 v9, v2, v43, s16
	s_xor_b32 exec_lo, exec_lo, s68
	s_cbranch_execnz .LBB62_131
; %bb.98:                               ;   in Loop: Header=BB62_4 Depth=1
	s_or_b32 exec_lo, exec_lo, s68
	s_and_saveexec_b32 s68, s4
	s_wait_alu 0xfffe
	s_xor_b32 s68, exec_lo, s68
	s_cbranch_execnz .LBB62_132
.LBB62_99:                              ;   in Loop: Header=BB62_4 Depth=1
	s_wait_alu 0xfffe
	s_and_not1_saveexec_b32 s68, s68
	s_cbranch_execnz .LBB62_133
.LBB62_100:                             ;   in Loop: Header=BB62_4 Depth=1
	s_wait_alu 0xfffe
	s_or_b32 exec_lo, exec_lo, s68
	s_and_saveexec_b32 s68, s5
	s_wait_alu 0xfffe
	s_xor_b32 s68, exec_lo, s68
	s_cbranch_execnz .LBB62_134
.LBB62_101:                             ;   in Loop: Header=BB62_4 Depth=1
	s_wait_alu 0xfffe
	s_and_not1_saveexec_b32 s68, s68
	s_cbranch_execnz .LBB62_135
.LBB62_102:                             ;   in Loop: Header=BB62_4 Depth=1
	s_wait_alu 0xfffe
	s_or_b32 exec_lo, exec_lo, s68
	s_and_saveexec_b32 s68, s6
	s_wait_alu 0xfffe
	s_xor_b32 s68, exec_lo, s68
	s_cbranch_execnz .LBB62_136
.LBB62_103:                             ;   in Loop: Header=BB62_4 Depth=1
	s_wait_alu 0xfffe
	s_and_not1_saveexec_b32 s68, s68
	s_cbranch_execz .LBB62_105
.LBB62_104:                             ;   in Loop: Header=BB62_4 Depth=1
	s_lshl_b64 s[70:71], s[36:37], 4
	s_wait_alu 0xfffe
	v_add_co_u32 v2, vcc_lo, v8, s70
	s_wait_alu 0xfffd
	v_add_co_ci_u32_e64 v3, null, s71, v9, vcc_lo
	flat_load_b128 v[10:13], v[2:3]
	s_wait_loadcnt_dscnt 0x0
	ds_store_2addr_b64 v172, v[10:11], v[12:13] offset1:1
.LBB62_105:                             ;   in Loop: Header=BB62_4 Depth=1
	s_wait_alu 0xfffe
	s_or_b32 exec_lo, exec_lo, s68
	v_add_co_u32 v0, vcc_lo, v8, v194
	s_wait_alu 0xfffd
	v_add_co_ci_u32_e64 v2, null, 0, v9, vcc_lo
	s_lshl_b64 s[68:69], s[50:51], 4
	s_wait_alu 0xfffe
	v_add_co_u32 v0, vcc_lo, v0, s68
	s_wait_alu 0xfffd
	v_add_co_ci_u32_e64 v2, null, s69, v2, vcc_lo
	s_delay_alu instid0(VALU_DEP_2) | instskip(SKIP_1) | instid1(VALU_DEP_2)
	v_add_co_u32 v0, vcc_lo, 0x210, v0
	s_wait_alu 0xfffd
	v_add_co_ci_u32_e64 v2, null, 0, v2, vcc_lo
	s_delay_alu instid0(VALU_DEP_2) | instskip(NEXT) | instid1(VALU_DEP_2)
	v_cndmask_b32_e64 v42, v0, v42, s16
	v_cndmask_b32_e64 v43, v2, v43, s16
.LBB62_106:                             ;   in Loop: Header=BB62_4 Depth=1
	s_wait_loadcnt_dscnt 0x0
	s_barrier_signal -1
	s_barrier_wait -1
	global_inv scope:SCOPE_SE
	ds_load_b128 v[8:11], v192
	ds_load_b128 v[12:15], v169
	;; [unrolled: 1-line block ×3, first 2 shown]
	ds_load_b128 v[20:23], v189 offset:384
	ds_load_b128 v[24:27], v189 offset:128
	;; [unrolled: 1-line block ×3, first 2 shown]
	s_wait_dscnt 0x4
	v_mul_f64_e32 v[2:3], v[10:11], v[14:15]
	v_mul_f64_e32 v[14:15], v[8:9], v[14:15]
	s_wait_dscnt 0x1
	v_mul_f64_e32 v[32:33], v[26:27], v[18:19]
	v_mul_f64_e32 v[18:19], v[24:25], v[18:19]
	s_delay_alu instid0(VALU_DEP_4) | instskip(NEXT) | instid1(VALU_DEP_4)
	v_fma_f64 v[2:3], v[8:9], v[12:13], -v[2:3]
	v_fma_f64 v[34:35], v[10:11], v[12:13], v[14:15]
	ds_load_b128 v[8:11], v171
	ds_load_b128 v[12:15], v172
	v_fma_f64 v[24:25], v[24:25], v[16:17], -v[32:33]
	v_fma_f64 v[16:17], v[26:27], v[16:17], v[18:19]
	s_wait_dscnt 0x1
	v_mul_f64_e32 v[36:37], v[30:31], v[10:11]
	v_mul_f64_e32 v[10:11], v[28:29], v[10:11]
	s_wait_dscnt 0x0
	v_mul_f64_e32 v[26:27], v[22:23], v[14:15]
	v_mul_f64_e32 v[14:15], v[20:21], v[14:15]
	v_add_f64_e32 v[2:3], 0, v[2:3]
	v_add_f64_e32 v[18:19], 0, v[34:35]
	v_fma_f64 v[28:29], v[28:29], v[8:9], -v[36:37]
	v_fma_f64 v[8:9], v[30:31], v[8:9], v[10:11]
	s_delay_alu instid0(VALU_DEP_4) | instskip(NEXT) | instid1(VALU_DEP_4)
	v_add_f64_e32 v[2:3], v[2:3], v[24:25]
	v_add_f64_e32 v[10:11], v[18:19], v[16:17]
	v_fma_f64 v[16:17], v[20:21], v[12:13], -v[26:27]
	v_fma_f64 v[12:13], v[22:23], v[12:13], v[14:15]
	s_delay_alu instid0(VALU_DEP_4) | instskip(NEXT) | instid1(VALU_DEP_4)
	v_add_f64_e32 v[2:3], v[2:3], v[28:29]
	v_add_f64_e32 v[8:9], v[10:11], v[8:9]
	s_delay_alu instid0(VALU_DEP_2) | instskip(NEXT) | instid1(VALU_DEP_2)
	v_add_f64_e32 v[44:45], v[2:3], v[16:17]
	v_add_f64_e32 v[46:47], v[8:9], v[12:13]
	ds_load_b128 v[32:35], v181
	ds_load_b128 v[24:27], v181 offset:16
	ds_load_b128 v[12:15], v181 offset:32
	;; [unrolled: 1-line block ×7, first 2 shown]
	s_wait_loadcnt_dscnt 0x0
	s_barrier_signal -1
	s_barrier_wait -1
	global_inv scope:SCOPE_SE
	ds_store_b128 v180, v[44:47]
	s_wait_loadcnt_dscnt 0x0
	s_barrier_signal -1
	s_barrier_wait -1
	global_inv scope:SCOPE_SE
	s_and_saveexec_b32 s68, s21
	s_cbranch_execz .LBB62_108
; %bb.107:                              ;   in Loop: Header=BB62_4 Depth=1
	ds_load_b128 v[44:47], v177
	ds_load_b128 v[48:51], v177 offset:16
	s_wait_dscnt 0x1
	v_add_f64_e32 v[2:3], v[4:5], v[44:45]
	v_add_f64_e32 v[4:5], v[6:7], v[46:47]
	s_wait_dscnt 0x0
	s_delay_alu instid0(VALU_DEP_2) | instskip(NEXT) | instid1(VALU_DEP_2)
	v_add_f64_e32 v[6:7], v[2:3], v[48:49]
	v_add_f64_e32 v[48:49], v[4:5], v[50:51]
	ds_load_b128 v[2:5], v177 offset:32
	ds_load_b128 v[44:47], v177 offset:48
	s_wait_dscnt 0x1
	v_add_f64_e32 v[2:3], v[6:7], v[2:3]
	v_add_f64_e32 v[4:5], v[48:49], v[4:5]
	s_wait_dscnt 0x0
	s_delay_alu instid0(VALU_DEP_2) | instskip(NEXT) | instid1(VALU_DEP_2)
	v_add_f64_e32 v[6:7], v[2:3], v[44:45]
	v_add_f64_e32 v[48:49], v[4:5], v[46:47]
	ds_load_b128 v[2:5], v177 offset:64
	;; [unrolled: 9-line block ×3, first 2 shown]
	ds_load_b128 v[44:47], v177 offset:112
	s_wait_dscnt 0x1
	v_add_f64_e32 v[2:3], v[6:7], v[2:3]
	v_add_f64_e32 v[6:7], v[48:49], v[4:5]
	s_wait_dscnt 0x0
	s_delay_alu instid0(VALU_DEP_2) | instskip(NEXT) | instid1(VALU_DEP_2)
	v_add_f64_e32 v[4:5], v[2:3], v[44:45]
	v_add_f64_e32 v[6:7], v[6:7], v[46:47]
.LBB62_108:                             ;   in Loop: Header=BB62_4 Depth=1
	s_wait_alu 0xfffe
	s_or_b32 exec_lo, exec_lo, s68
	v_mul_f64_e32 v[2:3], v[34:35], v[38:39]
	v_mul_f64_e32 v[34:35], v[34:35], v[36:37]
	;; [unrolled: 1-line block ×4, first 2 shown]
	s_wait_loadcnt 0x0
	s_barrier_signal -1
	s_barrier_wait -1
	global_inv scope:SCOPE_SE
	v_fma_f64 v[2:3], v[32:33], v[36:37], v[2:3]
	v_fma_f64 v[32:33], v[32:33], v[38:39], -v[34:35]
	v_mul_f64_e32 v[34:35], v[14:15], v[22:23]
	v_mul_f64_e32 v[14:15], v[14:15], v[20:21]
	v_fma_f64 v[28:29], v[24:25], v[28:29], v[44:45]
	v_fma_f64 v[24:25], v[24:25], v[30:31], -v[26:27]
	v_mul_f64_e32 v[30:31], v[10:11], v[18:19]
	v_mul_f64_e32 v[10:11], v[10:11], v[16:17]
	v_add_f64_e32 v[2:3], 0, v[2:3]
	v_add_f64_e32 v[26:27], 0, v[32:33]
	v_fma_f64 v[20:21], v[12:13], v[20:21], v[34:35]
	v_fma_f64 v[12:13], v[12:13], v[22:23], -v[14:15]
	v_fma_f64 v[16:17], v[8:9], v[16:17], v[30:31]
	v_fma_f64 v[10:11], v[8:9], v[18:19], -v[10:11]
	v_add_f64_e32 v[2:3], v[2:3], v[28:29]
	v_add_f64_e32 v[14:15], v[26:27], v[24:25]
	s_delay_alu instid0(VALU_DEP_2) | instskip(NEXT) | instid1(VALU_DEP_2)
	v_add_f64_e32 v[2:3], v[2:3], v[20:21]
	v_add_f64_e32 v[12:13], v[14:15], v[12:13]
	s_delay_alu instid0(VALU_DEP_2) | instskip(NEXT) | instid1(VALU_DEP_2)
	v_add_f64_e32 v[8:9], v[2:3], v[16:17]
	v_add_f64_e32 v[10:11], v[12:13], v[10:11]
	ds_store_b128 v180, v[8:11]
	s_wait_loadcnt_dscnt 0x0
	s_barrier_signal -1
	s_barrier_wait -1
	global_inv scope:SCOPE_SE
	s_and_saveexec_b32 s68, s15
	s_cbranch_execz .LBB62_110
; %bb.109:                              ;   in Loop: Header=BB62_4 Depth=1
	ds_load_b128 v[8:11], v177
	ds_load_b128 v[12:15], v177 offset:16
	s_wait_dscnt 0x1
	v_add_f64_e32 v[2:3], v[4:5], v[8:9]
	v_add_f64_e32 v[4:5], v[6:7], v[10:11]
	s_wait_dscnt 0x0
	s_delay_alu instid0(VALU_DEP_2) | instskip(NEXT) | instid1(VALU_DEP_2)
	v_add_f64_e32 v[10:11], v[2:3], v[12:13]
	v_add_f64_e32 v[12:13], v[4:5], v[14:15]
	ds_load_b128 v[2:5], v177 offset:32
	ds_load_b128 v[6:9], v177 offset:48
	s_wait_dscnt 0x1
	v_add_f64_e32 v[2:3], v[10:11], v[2:3]
	v_add_f64_e32 v[4:5], v[12:13], v[4:5]
	s_wait_dscnt 0x0
	s_delay_alu instid0(VALU_DEP_2) | instskip(NEXT) | instid1(VALU_DEP_2)
	v_add_f64_e32 v[10:11], v[2:3], v[6:7]
	v_add_f64_e32 v[12:13], v[4:5], v[8:9]
	ds_load_b128 v[2:5], v177 offset:64
	;; [unrolled: 9-line block ×3, first 2 shown]
	ds_load_b128 v[6:9], v177 offset:112
	s_wait_dscnt 0x1
	v_add_f64_e32 v[2:3], v[10:11], v[2:3]
	v_add_f64_e32 v[10:11], v[12:13], v[4:5]
	s_wait_dscnt 0x0
	s_delay_alu instid0(VALU_DEP_2) | instskip(NEXT) | instid1(VALU_DEP_2)
	v_add_f64_e32 v[4:5], v[2:3], v[6:7]
	v_add_f64_e32 v[6:7], v[10:11], v[8:9]
.LBB62_110:                             ;   in Loop: Header=BB62_4 Depth=1
	s_wait_alu 0xfffe
	s_or_b32 exec_lo, exec_lo, s68
	s_mul_u64 s[68:69], s[38:39], s[34:35]
	s_and_not1_b32 vcc_lo, exec_lo, s74
	s_wait_alu 0xfffe
	s_lshl_b64 s[68:69], s[68:69], 4
	s_wait_loadcnt 0x0
	s_wait_alu 0xfffe
	s_add_nc_u64 s[68:69], s[46:47], s[68:69]
	s_barrier_signal -1
	s_barrier_wait -1
	global_inv scope:SCOPE_SE
	s_cbranch_vccnz .LBB62_117
; %bb.111:                              ;   in Loop: Header=BB62_4 Depth=1
	v_add_co_u32 v0, vcc_lo, v42, s66
	s_wait_alu 0xfffd
	v_add_co_ci_u32_e64 v2, null, s67, v43, vcc_lo
	s_lshl_b64 s[70:71], s[40:41], 4
	v_add_co_u32 v0, vcc_lo, v0, v158
	s_wait_alu 0xfffd
	v_add_co_ci_u32_e64 v2, null, v2, v159, vcc_lo
	s_mov_b32 s77, ttmp9
	v_add_co_u32 v0, vcc_lo, v0, v160
	s_wait_alu 0xfffd
	v_add_co_ci_u32_e64 v2, null, v2, v161, vcc_lo
	s_delay_alu instid0(VALU_DEP_2) | instskip(SKIP_1) | instid1(VALU_DEP_2)
	v_add_co_u32 v3, vcc_lo, v0, v162
	s_wait_alu 0xfffd
	v_add_co_ci_u32_e64 v8, null, v2, v163, vcc_lo
	s_wait_alu 0xfffe
	s_delay_alu instid0(VALU_DEP_2) | instskip(SKIP_1) | instid1(VALU_DEP_2)
	v_add_co_u32 v3, vcc_lo, v3, s70
	s_wait_alu 0xfffd
	v_add_co_ci_u32_e64 v8, null, s71, v8, vcc_lo
	v_add_co_u32 v0, vcc_lo, 0xfffffe00, v0
	s_wait_alu 0xfffd
	v_add_co_ci_u32_e64 v2, null, -1, v2, vcc_lo
	v_add_co_u32 v9, vcc_lo, 0xfffffdf0, v3
	s_wait_alu 0xfffd
	v_add_co_ci_u32_e64 v3, null, -1, v8, vcc_lo
	v_add_co_u32 v195, vcc_lo, v40, s64
	s_wait_alu 0xfffd
	v_add_co_ci_u32_e64 v196, null, s65, v41, vcc_lo
	s_delay_alu instid0(VALU_DEP_3)
	v_cndmask_b32_e64 v3, v2, v3, s2
	v_cndmask_b32_e64 v2, v0, v9, s2
	v_mov_b32_e32 v0, v166
	s_mov_b32 s70, 0
	s_branch .LBB62_113
.LBB62_112:                             ;   in Loop: Header=BB62_113 Depth=2
	s_wait_alu 0xfffe
	s_or_b32 exec_lo, exec_lo, s71
	v_mul_f64_e32 v[88:89], v[18:19], v[26:27]
	v_mul_f64_e32 v[26:27], v[16:17], v[26:27]
	;; [unrolled: 1-line block ×4, first 2 shown]
	v_add_co_u32 v2, vcc_lo, v2, s54
	v_add_nc_u32_e32 v0, 64, v0
	s_wait_alu 0xfffd
	v_add_co_ci_u32_e64 v3, null, s55, v3, vcc_lo
	s_add_co_i32 s77, s77, -1
	s_add_co_i32 s70, s70, s75
	s_cmp_eq_u32 s77, 0
	s_wait_loadcnt 0x0
	s_wait_storecnt 0x0
	s_barrier_signal -1
	s_barrier_wait -1
	global_inv scope:SCOPE_SE
	v_fma_f64 v[16:17], v[16:17], v[24:25], -v[88:89]
	v_fma_f64 v[18:19], v[18:19], v[24:25], v[26:27]
	v_mul_f64_e32 v[24:25], v[14:15], v[38:39]
	v_mul_f64_e32 v[26:27], v[12:13], v[38:39]
	v_fma_f64 v[20:21], v[20:21], v[40:41], -v[90:91]
	v_fma_f64 v[22:23], v[22:23], v[40:41], v[42:43]
	v_add_f64_e32 v[4:5], v[4:5], v[16:17]
	v_add_f64_e32 v[6:7], v[6:7], v[18:19]
	v_mul_f64_e32 v[16:17], v[10:11], v[34:35]
	v_mul_f64_e32 v[18:19], v[8:9], v[34:35]
	v_fma_f64 v[12:13], v[12:13], v[36:37], -v[24:25]
	v_fma_f64 v[14:15], v[14:15], v[36:37], v[26:27]
	v_add_f64_e32 v[4:5], v[4:5], v[20:21]
	v_add_f64_e32 v[6:7], v[6:7], v[22:23]
	;; [unrolled: 6-line block ×14, first 2 shown]
	v_fma_f64 v[8:9], v[132:133], v[140:141], -v[8:9]
	v_fma_f64 v[10:11], v[134:135], v[140:141], v[10:11]
	s_delay_alu instid0(VALU_DEP_4) | instskip(NEXT) | instid1(VALU_DEP_4)
	v_add_f64_e32 v[4:5], v[4:5], v[12:13]
	v_add_f64_e32 v[6:7], v[6:7], v[14:15]
	s_delay_alu instid0(VALU_DEP_2) | instskip(NEXT) | instid1(VALU_DEP_2)
	v_add_f64_e32 v[4:5], v[4:5], v[8:9]
	v_add_f64_e32 v[6:7], v[6:7], v[10:11]
	s_cbranch_scc1 .LBB62_117
.LBB62_113:                             ;   Parent Loop BB62_4 Depth=1
                                        ; =>  This Inner Loop Header: Depth=2
	s_and_saveexec_b32 s78, s0
	s_cbranch_execz .LBB62_115
; %bb.114:                              ;   in Loop: Header=BB62_113 Depth=2
	s_wait_alu 0xfffe
	s_ashr_i32 s71, s70, 31
	s_wait_alu 0xfffe
	s_lshl_b64 s[80:81], s[70:71], 4
	s_wait_alu 0xfffe
	v_add_co_u32 v8, vcc_lo, v195, s80
	s_wait_alu 0xfffd
	v_add_co_ci_u32_e64 v9, null, s81, v196, vcc_lo
	flat_load_b128 v[8:11], v[8:9]
	s_wait_loadcnt_dscnt 0x0
	ds_store_2addr_b64 v182, v[8:9], v[10:11] offset1:1
.LBB62_115:                             ;   in Loop: Header=BB62_113 Depth=2
	s_or_b32 exec_lo, exec_lo, s78
	v_add_co_u32 v8, vcc_lo, v2, s52
	s_wait_alu 0xfffd
	v_add_co_ci_u32_e64 v9, null, s53, v3, vcc_lo
	s_wait_loadcnt_dscnt 0x0
	s_delay_alu instid0(VALU_DEP_2) | instskip(SKIP_1) | instid1(VALU_DEP_2)
	v_add_co_u32 v10, vcc_lo, v8, s52
	s_wait_alu 0xfffd
	v_add_co_ci_u32_e64 v11, null, s53, v9, vcc_lo
	s_barrier_signal -1
	s_barrier_wait -1
	global_inv scope:SCOPE_SE
	flat_load_b128 v[16:19], v[2:3]
	v_add_co_u32 v2, vcc_lo, v10, s52
	s_wait_alu 0xfffd
	v_add_co_ci_u32_e64 v3, null, s53, v11, vcc_lo
	s_clause 0x2
	flat_load_b128 v[20:23], v[8:9]
	flat_load_b128 v[12:15], v[10:11]
	;; [unrolled: 1-line block ×3, first 2 shown]
	ds_load_b128 v[28:31], v168
	ds_load_b128 v[24:27], v183
	v_add_co_u32 v2, vcc_lo, v2, s54
	s_wait_alu 0xfffd
	v_add_co_ci_u32_e64 v3, null, s55, v3, vcc_lo
	s_wait_loadcnt_dscnt 0x301
	v_mul_f64_e32 v[32:33], v[18:19], v[30:31]
	v_mul_f64_e32 v[34:35], v[18:19], v[28:29]
	s_wait_loadcnt 0x2
	v_mul_f64_e32 v[36:37], v[22:23], v[30:31]
	v_mul_f64_e32 v[38:39], v[22:23], v[28:29]
	s_wait_loadcnt 0x1
	;; [unrolled: 3-line block ×3, first 2 shown]
	v_mul_f64_e32 v[56:57], v[10:11], v[30:31]
	v_mul_f64_e32 v[58:59], v[10:11], v[28:29]
	v_fma_f64 v[44:45], v[16:17], v[28:29], v[32:33]
	v_fma_f64 v[46:47], v[16:17], v[30:31], -v[34:35]
	v_fma_f64 v[48:49], v[20:21], v[28:29], v[36:37]
	v_fma_f64 v[50:51], v[20:21], v[30:31], -v[38:39]
	;; [unrolled: 2-line block ×4, first 2 shown]
	v_add_co_u32 v56, vcc_lo, v2, s52
	s_wait_alu 0xfffd
	v_add_co_ci_u32_e64 v57, null, s53, v3, vcc_lo
	ds_load_b128 v[40:43], v183 offset:16
	ds_load_b128 v[36:39], v183 offset:32
	v_add_co_u32 v58, vcc_lo, v56, s52
	s_wait_alu 0xfffd
	v_add_co_ci_u32_e64 v59, null, s53, v57, vcc_lo
	ds_load_b128 v[32:35], v183 offset:48
	ds_store_b128 v184, v[44:47]
	ds_store_b128 v184, v[48:51] offset:1072
	ds_store_b128 v184, v[52:55] offset:2144
	;; [unrolled: 1-line block ×3, first 2 shown]
	s_wait_dscnt 0x0
	s_barrier_signal -1
	s_barrier_wait -1
	global_inv scope:SCOPE_SE
	ds_load_b128 v[104:107], v185
	ds_load_b128 v[100:103], v185 offset:16
	ds_load_b128 v[96:99], v185 offset:32
	;; [unrolled: 1-line block ×3, first 2 shown]
	s_wait_loadcnt_dscnt 0x0
	s_barrier_signal -1
	s_barrier_wait -1
	global_inv scope:SCOPE_SE
	flat_load_b128 v[28:31], v[2:3]
	v_add_co_u32 v2, vcc_lo, v58, s52
	s_wait_alu 0xfffd
	v_add_co_ci_u32_e64 v3, null, s53, v59, vcc_lo
	s_clause 0x2
	flat_load_b128 v[52:55], v[56:57]
	flat_load_b128 v[48:51], v[58:59]
	;; [unrolled: 1-line block ×3, first 2 shown]
	ds_load_b128 v[60:63], v168
	ds_load_b128 v[56:59], v183 offset:256
	v_add_co_u32 v2, vcc_lo, v2, s54
	s_wait_alu 0xfffd
	v_add_co_ci_u32_e64 v3, null, s55, v3, vcc_lo
	s_wait_loadcnt_dscnt 0x301
	v_mul_f64_e32 v[64:65], v[30:31], v[62:63]
	v_mul_f64_e32 v[66:67], v[30:31], v[60:61]
	s_wait_loadcnt 0x2
	v_mul_f64_e32 v[68:69], v[54:55], v[62:63]
	v_mul_f64_e32 v[70:71], v[54:55], v[60:61]
	s_wait_loadcnt 0x1
	;; [unrolled: 3-line block ×3, first 2 shown]
	v_mul_f64_e32 v[92:93], v[46:47], v[62:63]
	v_mul_f64_e32 v[94:95], v[46:47], v[60:61]
	v_fma_f64 v[76:77], v[28:29], v[60:61], v[64:65]
	v_fma_f64 v[78:79], v[28:29], v[62:63], -v[66:67]
	v_fma_f64 v[80:81], v[52:53], v[60:61], v[68:69]
	v_fma_f64 v[82:83], v[52:53], v[62:63], -v[70:71]
	;; [unrolled: 2-line block ×4, first 2 shown]
	v_add_co_u32 v92, vcc_lo, v2, s52
	s_wait_alu 0xfffd
	v_add_co_ci_u32_e64 v93, null, s53, v3, vcc_lo
	ds_load_b128 v[72:75], v183 offset:272
	ds_load_b128 v[68:71], v183 offset:288
	;; [unrolled: 1-line block ×3, first 2 shown]
	v_add_co_u32 v94, vcc_lo, v92, s52
	s_wait_alu 0xfffd
	v_add_co_ci_u32_e64 v95, null, s53, v93, vcc_lo
	ds_store_b128 v184, v[76:79]
	ds_store_b128 v184, v[80:83] offset:1072
	ds_store_b128 v184, v[84:87] offset:2144
	;; [unrolled: 1-line block ×3, first 2 shown]
	s_wait_dscnt 0x0
	s_barrier_signal -1
	s_barrier_wait -1
	global_inv scope:SCOPE_SE
	ds_load_b128 v[197:200], v185
	ds_load_b128 v[201:204], v185 offset:16
	ds_load_b128 v[205:208], v185 offset:32
	;; [unrolled: 1-line block ×3, first 2 shown]
	s_wait_loadcnt_dscnt 0x0
	s_barrier_signal -1
	s_barrier_wait -1
	global_inv scope:SCOPE_SE
	flat_load_b128 v[60:63], v[2:3]
	v_add_co_u32 v2, vcc_lo, v94, s52
	s_wait_alu 0xfffd
	v_add_co_ci_u32_e64 v3, null, s53, v95, vcc_lo
	s_clause 0x1
	flat_load_b128 v[84:87], v[92:93]
	flat_load_b128 v[76:79], v[94:95]
	flat_load_b128 v[80:83], v[2:3]
	ds_load_b128 v[108:111], v168
	ds_load_b128 v[92:95], v183 offset:512
	v_add_co_u32 v2, vcc_lo, v2, s54
	s_wait_alu 0xfffd
	v_add_co_ci_u32_e64 v3, null, s55, v3, vcc_lo
	v_add_f64_e32 v[197:198], 0, v[197:198]
	v_add_f64_e32 v[199:200], 0, v[199:200]
	s_delay_alu instid0(VALU_DEP_2) | instskip(NEXT) | instid1(VALU_DEP_2)
	v_add_f64_e32 v[197:198], v[197:198], v[201:202]
	v_add_f64_e32 v[199:200], v[199:200], v[203:204]
	s_delay_alu instid0(VALU_DEP_2) | instskip(NEXT) | instid1(VALU_DEP_2)
	v_add_f64_e32 v[197:198], v[197:198], v[205:206]
	v_add_f64_e32 v[199:200], v[199:200], v[207:208]
	s_wait_loadcnt_dscnt 0x301
	v_mul_f64_e32 v[112:113], v[62:63], v[110:111]
	v_mul_f64_e32 v[114:115], v[62:63], v[108:109]
	s_wait_loadcnt 0x2
	v_mul_f64_e32 v[116:117], v[86:87], v[110:111]
	v_mul_f64_e32 v[118:119], v[86:87], v[108:109]
	s_wait_loadcnt 0x1
	;; [unrolled: 3-line block ×3, first 2 shown]
	v_mul_f64_e32 v[136:137], v[82:83], v[110:111]
	v_mul_f64_e32 v[138:139], v[82:83], v[108:109]
	v_fma_f64 v[120:121], v[60:61], v[108:109], v[112:113]
	v_fma_f64 v[122:123], v[60:61], v[110:111], -v[114:115]
	v_fma_f64 v[128:129], v[84:85], v[108:109], v[116:117]
	v_fma_f64 v[130:131], v[84:85], v[110:111], -v[118:119]
	;; [unrolled: 2-line block ×4, first 2 shown]
	v_add_co_u32 v136, vcc_lo, v2, s52
	s_wait_alu 0xfffd
	v_add_co_ci_u32_e64 v137, null, s53, v3, vcc_lo
	ds_load_b128 v[124:127], v183 offset:528
	ds_load_b128 v[116:119], v183 offset:544
	ds_load_b128 v[112:115], v183 offset:560
	v_add_co_u32 v138, vcc_lo, v136, s52
	s_wait_alu 0xfffd
	v_add_co_ci_u32_e64 v139, null, s53, v137, vcc_lo
	ds_store_b128 v184, v[120:123]
	ds_store_b128 v184, v[128:131] offset:1072
	ds_store_b128 v184, v[132:135] offset:2144
	;; [unrolled: 1-line block ×3, first 2 shown]
	s_wait_dscnt 0x0
	s_barrier_signal -1
	s_barrier_wait -1
	global_inv scope:SCOPE_SE
	ds_load_b128 v[213:216], v185
	ds_load_b128 v[217:220], v185 offset:16
	ds_load_b128 v[221:224], v185 offset:32
	;; [unrolled: 1-line block ×3, first 2 shown]
	s_wait_loadcnt_dscnt 0x0
	s_barrier_signal -1
	s_barrier_wait -1
	global_inv scope:SCOPE_SE
	flat_load_b128 v[108:111], v[2:3]
	v_add_co_u32 v2, vcc_lo, v138, s52
	s_wait_alu 0xfffd
	v_add_co_ci_u32_e64 v3, null, s53, v139, vcc_lo
	flat_load_b128 v[128:131], v[136:137]
	flat_load_b128 v[120:123], v[138:139]
	;; [unrolled: 1-line block ×3, first 2 shown]
	ds_load_b128 v[140:143], v168
	ds_load_b128 v[136:139], v183 offset:768
	v_add_f64_e32 v[213:214], 0, v[213:214]
	v_add_f64_e32 v[215:216], 0, v[215:216]
	s_delay_alu instid0(VALU_DEP_2) | instskip(NEXT) | instid1(VALU_DEP_2)
	v_add_f64_e32 v[201:202], v[213:214], v[217:218]
	v_add_f64_e32 v[203:204], v[215:216], v[219:220]
	s_delay_alu instid0(VALU_DEP_2) | instskip(NEXT) | instid1(VALU_DEP_2)
	v_add_f64_e32 v[201:202], v[201:202], v[221:222]
	v_add_f64_e32 v[203:204], v[203:204], v[223:224]
	s_wait_loadcnt_dscnt 0x301
	v_mul_f64_e32 v[144:145], v[110:111], v[142:143]
	v_mul_f64_e32 v[146:147], v[110:111], v[140:141]
	s_wait_loadcnt 0x2
	v_mul_f64_e32 v[148:149], v[130:131], v[142:143]
	v_mul_f64_e32 v[150:151], v[130:131], v[140:141]
	s_wait_loadcnt 0x1
	v_mul_f64_e32 v[237:238], v[122:123], v[142:143]
	v_mul_f64_e32 v[239:240], v[122:123], v[140:141]
	s_wait_loadcnt 0x0
	v_mul_f64_e32 v[241:242], v[134:135], v[142:143]
	v_mul_f64_e32 v[243:244], v[134:135], v[140:141]
	v_fma_f64 v[229:230], v[108:109], v[140:141], v[144:145]
	v_fma_f64 v[231:232], v[108:109], v[142:143], -v[146:147]
	v_fma_f64 v[233:234], v[128:129], v[140:141], v[148:149]
	v_fma_f64 v[235:236], v[128:129], v[142:143], -v[150:151]
	;; [unrolled: 2-line block ×4, first 2 shown]
	ds_load_b128 v[148:151], v183 offset:784
	ds_load_b128 v[144:147], v183 offset:800
	;; [unrolled: 1-line block ×3, first 2 shown]
	ds_store_b128 v184, v[229:232]
	ds_store_b128 v184, v[233:236] offset:1072
	ds_store_b128 v184, v[237:240] offset:2144
	;; [unrolled: 1-line block ×3, first 2 shown]
	s_wait_dscnt 0x0
	s_barrier_signal -1
	s_barrier_wait -1
	global_inv scope:SCOPE_SE
	ds_load_b128 v[229:232], v185
	v_add_f64_e32 v[233:234], 0, v[104:105]
	v_add_f64_e32 v[235:236], 0, v[106:107]
	ds_load_b128 v[104:107], v185 offset:16
	s_wait_dscnt 0x1
	v_add_f64_e32 v[229:230], 0, v[229:230]
	v_add_f64_e32 v[231:232], 0, v[231:232]
	;; [unrolled: 1-line block ×4, first 2 shown]
	ds_load_b128 v[100:103], v185 offset:32
	s_wait_dscnt 0x1
	v_add_f64_e32 v[104:105], v[229:230], v[104:105]
	v_add_f64_e32 v[106:107], v[231:232], v[106:107]
	;; [unrolled: 1-line block ×4, first 2 shown]
	ds_load_b128 v[96:99], v185 offset:48
	s_wait_loadcnt_dscnt 0x0
	s_barrier_signal -1
	s_barrier_wait -1
	global_inv scope:SCOPE_SE
	v_add_f64_e32 v[205:206], v[104:105], v[100:101]
	v_add_f64_e32 v[207:208], v[106:107], v[102:103]
	;; [unrolled: 1-line block ×10, first 2 shown]
	ds_store_b128 v193, v[88:91]
	ds_store_b128 v193, v[100:103] offset:256
	ds_store_b128 v193, v[104:107] offset:512
	;; [unrolled: 1-line block ×3, first 2 shown]
	s_wait_loadcnt_dscnt 0x0
	s_barrier_signal -1
	s_barrier_wait -1
	global_inv scope:SCOPE_SE
	s_and_saveexec_b32 s71, s22
	s_cbranch_execz .LBB62_112
; %bb.116:                              ;   in Loop: Header=BB62_113 Depth=2
	ds_load_b128 v[88:91], v186
	ds_load_b128 v[96:99], v186 offset:16
	s_wait_dscnt 0x0
	v_add_f64_e32 v[100:101], v[96:97], v[88:89]
	v_add_f64_e32 v[102:103], v[98:99], v[90:91]
	ds_load_b128 v[88:91], v186 offset:32
	ds_load_b128 v[96:99], v186 offset:48
	s_wait_dscnt 0x1
	v_add_f64_e32 v[88:89], v[100:101], v[88:89]
	v_add_f64_e32 v[90:91], v[102:103], v[90:91]
	s_wait_dscnt 0x0
	s_delay_alu instid0(VALU_DEP_2) | instskip(NEXT) | instid1(VALU_DEP_2)
	v_add_f64_e32 v[100:101], v[88:89], v[96:97]
	v_add_f64_e32 v[102:103], v[90:91], v[98:99]
	ds_load_b128 v[88:91], v186 offset:64
	ds_load_b128 v[96:99], v186 offset:80
	s_wait_dscnt 0x1
	v_add_f64_e32 v[88:89], v[100:101], v[88:89]
	v_add_f64_e32 v[90:91], v[102:103], v[90:91]
	s_wait_dscnt 0x0
	s_delay_alu instid0(VALU_DEP_2) | instskip(NEXT) | instid1(VALU_DEP_2)
	;; [unrolled: 9-line block ×6, first 2 shown]
	v_add_f64_e32 v[100:101], v[88:89], v[96:97]
	v_add_f64_e32 v[102:103], v[90:91], v[98:99]
	ds_load_b128 v[88:91], v186 offset:224
	ds_load_b128 v[96:99], v187
	s_wait_dscnt 0x1
	v_add_f64_e32 v[88:89], v[100:101], v[88:89]
	v_add_f64_e32 v[90:91], v[102:103], v[90:91]
	s_wait_dscnt 0x0
	s_delay_alu instid0(VALU_DEP_2) | instskip(NEXT) | instid1(VALU_DEP_2)
	v_add_f64_e32 v[88:89], v[88:89], v[96:97]
	v_add_f64_e32 v[90:91], v[90:91], v[98:99]
	v_lshlrev_b64_e32 v[96:97], 4, v[0:1]
	s_delay_alu instid0(VALU_DEP_1) | instskip(SKIP_1) | instid1(VALU_DEP_2)
	v_add_co_u32 v96, vcc_lo, s68, v96
	s_wait_alu 0xfffd
	v_add_co_ci_u32_e64 v97, null, s69, v97, vcc_lo
	global_store_b128 v[96:97], v[88:91], off
	s_branch .LBB62_112
.LBB62_117:                             ;   in Loop: Header=BB62_4 Depth=1
	ds_store_b128 v188, v[4:7]
	s_wait_loadcnt_dscnt 0x0
	s_barrier_signal -1
	s_barrier_wait -1
	global_inv scope:SCOPE_SE
	s_and_saveexec_b32 s70, s76
	s_cbranch_execz .LBB62_2
; %bb.118:                              ;   in Loop: Header=BB62_4 Depth=1
	ds_load_b128 v[2:5], v167 offset:1072
	ds_load_b128 v[6:9], v167
	s_wait_dscnt 0x0
	v_add_f64_e32 v[10:11], v[2:3], v[6:7]
	v_add_f64_e32 v[12:13], v[4:5], v[8:9]
	ds_load_b128 v[2:5], v167 offset:2144
	ds_load_b128 v[6:9], v167 offset:3216
	s_wait_dscnt 0x1
	v_add_f64_e32 v[2:3], v[10:11], v[2:3]
	v_add_f64_e32 v[4:5], v[12:13], v[4:5]
	s_wait_dscnt 0x0
	s_delay_alu instid0(VALU_DEP_2) | instskip(NEXT) | instid1(VALU_DEP_2)
	v_add_f64_e32 v[2:3], v[2:3], v[6:7]
	v_add_f64_e32 v[4:5], v[4:5], v[8:9]
	s_wait_alu 0xfffe
	v_add_co_u32 v6, vcc_lo, s68, v164
	s_wait_alu 0xfffd
	v_add_co_ci_u32_e64 v7, null, s69, v165, vcc_lo
	global_store_b128 v[6:7], v[2:5], off
	s_branch .LBB62_2
.LBB62_119:                             ;   in Loop: Header=BB62_4 Depth=1
	flat_load_b128 v[10:13], v[4:5]
	s_wait_loadcnt_dscnt 0x0
	ds_store_2addr_b64 v169, v[10:11], v[12:13] offset1:1
	s_or_b32 exec_lo, exec_lo, s68
	s_and_saveexec_b32 s68, s4
	s_wait_alu 0xfffe
	s_xor_b32 s68, exec_lo, s68
	s_cbranch_execz .LBB62_19
.LBB62_120:                             ;   in Loop: Header=BB62_4 Depth=1
	v_dual_mov_b32 v0, v1 :: v_dual_mov_b32 v3, v1
	v_mov_b32_e32 v2, v1
	ds_store_b128 v170, v[0:3]
	s_wait_alu 0xfffe
	s_and_not1_saveexec_b32 s68, s68
	s_cbranch_execz .LBB62_20
.LBB62_121:                             ;   in Loop: Header=BB62_4 Depth=1
	s_lshl_b64 s[70:71], s[42:43], 4
	s_wait_alu 0xfffe
	v_add_co_u32 v2, vcc_lo, v4, s70
	s_wait_alu 0xfffd
	v_add_co_ci_u32_e64 v3, null, s71, v5, vcc_lo
	flat_load_b128 v[10:13], v[2:3]
	s_wait_loadcnt_dscnt 0x0
	ds_store_2addr_b64 v170, v[10:11], v[12:13] offset1:1
	s_or_b32 exec_lo, exec_lo, s68
	s_and_saveexec_b32 s68, s5
	s_wait_alu 0xfffe
	s_xor_b32 s68, exec_lo, s68
	s_cbranch_execz .LBB62_21
.LBB62_122:                             ;   in Loop: Header=BB62_4 Depth=1
	v_dual_mov_b32 v0, v1 :: v_dual_mov_b32 v3, v1
	v_mov_b32_e32 v2, v1
	ds_store_b128 v171, v[0:3]
	s_wait_alu 0xfffe
	s_and_not1_saveexec_b32 s68, s68
	s_cbranch_execz .LBB62_22
.LBB62_123:                             ;   in Loop: Header=BB62_4 Depth=1
	s_lshl_b64 s[70:71], s[44:45], 4
	s_wait_alu 0xfffe
	v_add_co_u32 v2, vcc_lo, v4, s70
	s_wait_alu 0xfffd
	v_add_co_ci_u32_e64 v3, null, s71, v5, vcc_lo
	flat_load_b128 v[10:13], v[2:3]
	s_wait_loadcnt_dscnt 0x0
	ds_store_2addr_b64 v171, v[10:11], v[12:13] offset1:1
	s_or_b32 exec_lo, exec_lo, s68
	s_and_saveexec_b32 s68, s6
	s_wait_alu 0xfffe
	s_xor_b32 s68, exec_lo, s68
	s_cbranch_execz .LBB62_23
.LBB62_124:                             ;   in Loop: Header=BB62_4 Depth=1
	v_dual_mov_b32 v0, v1 :: v_dual_mov_b32 v3, v1
	v_mov_b32_e32 v2, v1
	ds_store_b128 v172, v[0:3]
	s_wait_alu 0xfffe
	s_and_not1_saveexec_b32 s68, s68
	s_cbranch_execnz .LBB62_24
	s_branch .LBB62_25
.LBB62_125:                             ;   in Loop: Header=BB62_4 Depth=1
	flat_load_b128 v[14:17], v[8:9]
	s_wait_loadcnt_dscnt 0x0
	ds_store_2addr_b64 v169, v[14:15], v[16:17] offset1:1
	s_or_b32 exec_lo, exec_lo, s68
	s_and_saveexec_b32 s68, s18
	s_wait_alu 0xfffe
	s_xor_b32 s68, exec_lo, s68
	s_cbranch_execz .LBB62_59
.LBB62_126:                             ;   in Loop: Header=BB62_4 Depth=1
	v_dual_mov_b32 v0, v1 :: v_dual_mov_b32 v3, v1
	v_mov_b32_e32 v2, v1
	ds_store_b128 v170, v[0:3]
	s_wait_alu 0xfffe
	s_and_not1_saveexec_b32 s68, s68
	s_cbranch_execz .LBB62_60
.LBB62_127:                             ;   in Loop: Header=BB62_4 Depth=1
	s_lshl_b64 s[70:71], s[42:43], 4
	s_wait_alu 0xfffe
	v_add_co_u32 v2, vcc_lo, v8, s70
	s_wait_alu 0xfffd
	v_add_co_ci_u32_e64 v3, null, s71, v9, vcc_lo
	flat_load_b128 v[14:17], v[2:3]
	s_wait_loadcnt_dscnt 0x0
	ds_store_2addr_b64 v170, v[14:15], v[16:17] offset1:1
	s_or_b32 exec_lo, exec_lo, s68
	s_and_saveexec_b32 s68, s19
	s_wait_alu 0xfffe
	s_xor_b32 s68, exec_lo, s68
	s_cbranch_execz .LBB62_61
.LBB62_128:                             ;   in Loop: Header=BB62_4 Depth=1
	v_dual_mov_b32 v0, v1 :: v_dual_mov_b32 v3, v1
	v_mov_b32_e32 v2, v1
	ds_store_b128 v171, v[0:3]
	s_wait_alu 0xfffe
	s_and_not1_saveexec_b32 s68, s68
	s_cbranch_execz .LBB62_62
.LBB62_129:                             ;   in Loop: Header=BB62_4 Depth=1
	s_lshl_b64 s[70:71], s[44:45], 4
	s_wait_alu 0xfffe
	v_add_co_u32 v2, vcc_lo, v8, s70
	s_wait_alu 0xfffd
	v_add_co_ci_u32_e64 v3, null, s71, v9, vcc_lo
	flat_load_b128 v[14:17], v[2:3]
	s_wait_loadcnt_dscnt 0x0
	ds_store_2addr_b64 v171, v[14:15], v[16:17] offset1:1
	s_or_b32 exec_lo, exec_lo, s68
	s_and_saveexec_b32 s68, s20
	s_wait_alu 0xfffe
	s_xor_b32 s68, exec_lo, s68
	s_cbranch_execz .LBB62_63
.LBB62_130:                             ;   in Loop: Header=BB62_4 Depth=1
	v_dual_mov_b32 v0, v1 :: v_dual_mov_b32 v3, v1
	v_mov_b32_e32 v2, v1
	ds_store_b128 v172, v[0:3]
	s_wait_alu 0xfffe
	s_and_not1_saveexec_b32 s68, s68
	s_cbranch_execnz .LBB62_64
	s_branch .LBB62_65
.LBB62_131:                             ;   in Loop: Header=BB62_4 Depth=1
	flat_load_b128 v[10:13], v[8:9]
	s_wait_loadcnt_dscnt 0x0
	ds_store_2addr_b64 v169, v[10:11], v[12:13] offset1:1
	s_or_b32 exec_lo, exec_lo, s68
	s_and_saveexec_b32 s68, s4
	s_wait_alu 0xfffe
	s_xor_b32 s68, exec_lo, s68
	s_cbranch_execz .LBB62_99
.LBB62_132:                             ;   in Loop: Header=BB62_4 Depth=1
	v_dual_mov_b32 v0, v1 :: v_dual_mov_b32 v3, v1
	v_mov_b32_e32 v2, v1
	ds_store_b128 v170, v[0:3]
	s_wait_alu 0xfffe
	s_and_not1_saveexec_b32 s68, s68
	s_cbranch_execz .LBB62_100
.LBB62_133:                             ;   in Loop: Header=BB62_4 Depth=1
	s_lshl_b64 s[70:71], s[42:43], 4
	s_wait_alu 0xfffe
	v_add_co_u32 v2, vcc_lo, v8, s70
	s_wait_alu 0xfffd
	v_add_co_ci_u32_e64 v3, null, s71, v9, vcc_lo
	flat_load_b128 v[10:13], v[2:3]
	s_wait_loadcnt_dscnt 0x0
	ds_store_2addr_b64 v170, v[10:11], v[12:13] offset1:1
	s_or_b32 exec_lo, exec_lo, s68
	s_and_saveexec_b32 s68, s5
	s_wait_alu 0xfffe
	s_xor_b32 s68, exec_lo, s68
	s_cbranch_execz .LBB62_101
.LBB62_134:                             ;   in Loop: Header=BB62_4 Depth=1
	v_dual_mov_b32 v0, v1 :: v_dual_mov_b32 v3, v1
	v_mov_b32_e32 v2, v1
	ds_store_b128 v171, v[0:3]
	s_wait_alu 0xfffe
	s_and_not1_saveexec_b32 s68, s68
	s_cbranch_execz .LBB62_102
.LBB62_135:                             ;   in Loop: Header=BB62_4 Depth=1
	s_lshl_b64 s[70:71], s[44:45], 4
	s_wait_alu 0xfffe
	v_add_co_u32 v2, vcc_lo, v8, s70
	s_wait_alu 0xfffd
	v_add_co_ci_u32_e64 v3, null, s71, v9, vcc_lo
	flat_load_b128 v[10:13], v[2:3]
	s_wait_loadcnt_dscnt 0x0
	ds_store_2addr_b64 v171, v[10:11], v[12:13] offset1:1
	s_or_b32 exec_lo, exec_lo, s68
	s_and_saveexec_b32 s68, s6
	s_wait_alu 0xfffe
	s_xor_b32 s68, exec_lo, s68
	s_cbranch_execz .LBB62_103
.LBB62_136:                             ;   in Loop: Header=BB62_4 Depth=1
	v_dual_mov_b32 v0, v1 :: v_dual_mov_b32 v3, v1
	v_mov_b32_e32 v2, v1
	ds_store_b128 v172, v[0:3]
	s_wait_alu 0xfffe
	s_and_not1_saveexec_b32 s68, s68
	s_cbranch_execnz .LBB62_104
	s_branch .LBB62_105
.LBB62_137:
	s_nop 0
	s_sendmsg sendmsg(MSG_DEALLOC_VGPRS)
	s_endpgm
	.section	.rodata,"a",@progbits
	.p2align	6, 0x0
	.amdhsa_kernel _ZL26rocblas_hemvn_kernel_lowerILb1ELi64ELi4ELi33ELi32ELi16Ei19rocblas_complex_numIdEPKPKS1_PS1_EviT6_lT7_lT5_lS8_lS9_lS7_lT8_i
		.amdhsa_group_segment_fixed_size 19200
		.amdhsa_private_segment_fixed_size 0
		.amdhsa_kernarg_size 392
		.amdhsa_user_sgpr_count 2
		.amdhsa_user_sgpr_dispatch_ptr 0
		.amdhsa_user_sgpr_queue_ptr 0
		.amdhsa_user_sgpr_kernarg_segment_ptr 1
		.amdhsa_user_sgpr_dispatch_id 0
		.amdhsa_user_sgpr_private_segment_size 0
		.amdhsa_wavefront_size32 1
		.amdhsa_uses_dynamic_stack 0
		.amdhsa_enable_private_segment 0
		.amdhsa_system_sgpr_workgroup_id_x 1
		.amdhsa_system_sgpr_workgroup_id_y 0
		.amdhsa_system_sgpr_workgroup_id_z 1
		.amdhsa_system_sgpr_workgroup_info 0
		.amdhsa_system_vgpr_workitem_id 1
		.amdhsa_next_free_vgpr 245
		.amdhsa_next_free_sgpr 82
		.amdhsa_reserve_vcc 1
		.amdhsa_float_round_mode_32 0
		.amdhsa_float_round_mode_16_64 0
		.amdhsa_float_denorm_mode_32 3
		.amdhsa_float_denorm_mode_16_64 3
		.amdhsa_fp16_overflow 0
		.amdhsa_workgroup_processor_mode 1
		.amdhsa_memory_ordered 1
		.amdhsa_forward_progress 1
		.amdhsa_inst_pref_size 82
		.amdhsa_round_robin_scheduling 0
		.amdhsa_exception_fp_ieee_invalid_op 0
		.amdhsa_exception_fp_denorm_src 0
		.amdhsa_exception_fp_ieee_div_zero 0
		.amdhsa_exception_fp_ieee_overflow 0
		.amdhsa_exception_fp_ieee_underflow 0
		.amdhsa_exception_fp_ieee_inexact 0
		.amdhsa_exception_int_div_zero 0
	.end_amdhsa_kernel
	.section	.text._ZL26rocblas_hemvn_kernel_lowerILb1ELi64ELi4ELi33ELi32ELi16Ei19rocblas_complex_numIdEPKPKS1_PS1_EviT6_lT7_lT5_lS8_lS9_lS7_lT8_i,"axG",@progbits,_ZL26rocblas_hemvn_kernel_lowerILb1ELi64ELi4ELi33ELi32ELi16Ei19rocblas_complex_numIdEPKPKS1_PS1_EviT6_lT7_lT5_lS8_lS9_lS7_lT8_i,comdat
.Lfunc_end62:
	.size	_ZL26rocblas_hemvn_kernel_lowerILb1ELi64ELi4ELi33ELi32ELi16Ei19rocblas_complex_numIdEPKPKS1_PS1_EviT6_lT7_lT5_lS8_lS9_lS7_lT8_i, .Lfunc_end62-_ZL26rocblas_hemvn_kernel_lowerILb1ELi64ELi4ELi33ELi32ELi16Ei19rocblas_complex_numIdEPKPKS1_PS1_EviT6_lT7_lT5_lS8_lS9_lS7_lT8_i
                                        ; -- End function
	.set _ZL26rocblas_hemvn_kernel_lowerILb1ELi64ELi4ELi33ELi32ELi16Ei19rocblas_complex_numIdEPKPKS1_PS1_EviT6_lT7_lT5_lS8_lS9_lS7_lT8_i.num_vgpr, 245
	.set _ZL26rocblas_hemvn_kernel_lowerILb1ELi64ELi4ELi33ELi32ELi16Ei19rocblas_complex_numIdEPKPKS1_PS1_EviT6_lT7_lT5_lS8_lS9_lS7_lT8_i.num_agpr, 0
	.set _ZL26rocblas_hemvn_kernel_lowerILb1ELi64ELi4ELi33ELi32ELi16Ei19rocblas_complex_numIdEPKPKS1_PS1_EviT6_lT7_lT5_lS8_lS9_lS7_lT8_i.numbered_sgpr, 82
	.set _ZL26rocblas_hemvn_kernel_lowerILb1ELi64ELi4ELi33ELi32ELi16Ei19rocblas_complex_numIdEPKPKS1_PS1_EviT6_lT7_lT5_lS8_lS9_lS7_lT8_i.num_named_barrier, 0
	.set _ZL26rocblas_hemvn_kernel_lowerILb1ELi64ELi4ELi33ELi32ELi16Ei19rocblas_complex_numIdEPKPKS1_PS1_EviT6_lT7_lT5_lS8_lS9_lS7_lT8_i.private_seg_size, 0
	.set _ZL26rocblas_hemvn_kernel_lowerILb1ELi64ELi4ELi33ELi32ELi16Ei19rocblas_complex_numIdEPKPKS1_PS1_EviT6_lT7_lT5_lS8_lS9_lS7_lT8_i.uses_vcc, 1
	.set _ZL26rocblas_hemvn_kernel_lowerILb1ELi64ELi4ELi33ELi32ELi16Ei19rocblas_complex_numIdEPKPKS1_PS1_EviT6_lT7_lT5_lS8_lS9_lS7_lT8_i.uses_flat_scratch, 1
	.set _ZL26rocblas_hemvn_kernel_lowerILb1ELi64ELi4ELi33ELi32ELi16Ei19rocblas_complex_numIdEPKPKS1_PS1_EviT6_lT7_lT5_lS8_lS9_lS7_lT8_i.has_dyn_sized_stack, 0
	.set _ZL26rocblas_hemvn_kernel_lowerILb1ELi64ELi4ELi33ELi32ELi16Ei19rocblas_complex_numIdEPKPKS1_PS1_EviT6_lT7_lT5_lS8_lS9_lS7_lT8_i.has_recursion, 0
	.set _ZL26rocblas_hemvn_kernel_lowerILb1ELi64ELi4ELi33ELi32ELi16Ei19rocblas_complex_numIdEPKPKS1_PS1_EviT6_lT7_lT5_lS8_lS9_lS7_lT8_i.has_indirect_call, 0
	.section	.AMDGPU.csdata,"",@progbits
; Kernel info:
; codeLenInByte = 10416
; TotalNumSgprs: 84
; NumVgprs: 245
; ScratchSize: 0
; MemoryBound: 0
; FloatMode: 240
; IeeeMode: 1
; LDSByteSize: 19200 bytes/workgroup (compile time only)
; SGPRBlocks: 0
; VGPRBlocks: 30
; NumSGPRsForWavesPerEU: 84
; NumVGPRsForWavesPerEU: 245
; Occupancy: 5
; WaveLimiterHint : 1
; COMPUTE_PGM_RSRC2:SCRATCH_EN: 0
; COMPUTE_PGM_RSRC2:USER_SGPR: 2
; COMPUTE_PGM_RSRC2:TRAP_HANDLER: 0
; COMPUTE_PGM_RSRC2:TGID_X_EN: 1
; COMPUTE_PGM_RSRC2:TGID_Y_EN: 0
; COMPUTE_PGM_RSRC2:TGID_Z_EN: 1
; COMPUTE_PGM_RSRC2:TIDIG_COMP_CNT: 1
	.section	.text._ZL36rocblas_hemvn_kernel_lower_block_sumILi64Ei19rocblas_complex_numIdEPKPS1_S1_EviT1_lS5_lT2_lT0_lPT3_i,"axG",@progbits,_ZL36rocblas_hemvn_kernel_lower_block_sumILi64Ei19rocblas_complex_numIdEPKPS1_S1_EviT1_lS5_lT2_lT0_lPT3_i,comdat
	.globl	_ZL36rocblas_hemvn_kernel_lower_block_sumILi64Ei19rocblas_complex_numIdEPKPS1_S1_EviT1_lS5_lT2_lT0_lPT3_i ; -- Begin function _ZL36rocblas_hemvn_kernel_lower_block_sumILi64Ei19rocblas_complex_numIdEPKPS1_S1_EviT1_lS5_lT2_lT0_lPT3_i
	.p2align	8
	.type	_ZL36rocblas_hemvn_kernel_lower_block_sumILi64Ei19rocblas_complex_numIdEPKPS1_S1_EviT1_lS5_lT2_lT0_lPT3_i,@function
_ZL36rocblas_hemvn_kernel_lower_block_sumILi64Ei19rocblas_complex_numIdEPKPS1_S1_EviT1_lS5_lT2_lT0_lPT3_i: ; @_ZL36rocblas_hemvn_kernel_lower_block_sumILi64Ei19rocblas_complex_numIdEPKPS1_S1_EviT1_lS5_lT2_lT0_lPT3_i
; %bb.0:
	s_load_b32 s24, s[0:1], 0x60
	s_lshr_b32 s2, ttmp7, 16
	s_wait_kmcnt 0x0
	s_cmp_ge_u32 s2, s24
	s_cbranch_scc1 .LBB63_24
; %bb.1:
	s_clause 0x3
	s_load_b128 s[4:7], s[0:1], 0x8
	s_load_b128 s[8:11], s[0:1], 0x20
	s_load_b32 s18, s[0:1], 0x0
	s_load_b32 s3, s[0:1], 0x48
	v_lshl_or_b32 v0, ttmp9, 6, v0
	s_clause 0x1
	s_load_b64 s[20:21], s[0:1], 0x58
	s_load_b128 s[12:15], s[0:1], 0x38
	s_add_nc_u64 s[16:17], s[0:1], 0x68
	s_wait_kmcnt 0x0
	v_cmp_neq_f64_e64 s22, s[4:5], 0
	v_cmp_neq_f64_e64 s25, s[10:11], 0
	;; [unrolled: 1-line block ×4, first 2 shown]
	v_cmp_neq_f64_e64 s27, s[8:9], 1.0
	v_mad_co_u64_u32 v[1:2], null, s18, ttmp9, v[0:1]
	v_mul_lo_u32 v3, s3, v0
	v_cmp_gt_i32_e64 s0, s18, v0
	s_ashr_i32 s19, s18, 31
	s_lshl_b64 s[14:15], s[14:15], 4
	s_wait_alu 0xfffe
	s_lshl_b64 s[18:19], s[18:19], 4
	v_ashrrev_i32_e32 v2, 31, v1
	v_ashrrev_i32_e32 v4, 31, v3
	s_delay_alu instid0(VALU_DEP_2) | instskip(NEXT) | instid1(VALU_DEP_2)
	v_lshlrev_b64_e32 v[1:2], 4, v[1:2]
	v_lshlrev_b64_e32 v[4:5], 4, v[3:4]
	s_delay_alu instid0(VALU_DEP_2) | instskip(NEXT) | instid1(VALU_DEP_1)
	v_add_co_u32 v0, vcc_lo, s20, v1
	v_add_co_ci_u32_e64 v1, null, s21, v2, vcc_lo
	s_delay_alu instid0(VALU_DEP_2) | instskip(SKIP_1) | instid1(VALU_DEP_2)
	v_add_co_u32 v6, vcc_lo, v0, 8
	s_wait_alu 0xfffd
	v_add_co_ci_u32_e64 v7, null, 0, v1, vcc_lo
	s_or_b32 s1, s26, s25
	s_or_b32 s3, s22, s23
	s_wait_alu 0xfffe
	v_cndmask_b32_e64 v10, 0, 1, s1
	s_or_b32 s20, s3, s27
	s_xor_b32 s1, s1, -1
	s_wait_alu 0xfffe
	s_or_b32 s25, s20, s25
	s_xor_b32 s26, s3, -1
	s_mov_b32 s3, 0
	s_branch .LBB63_4
.LBB63_2:                               ;   in Loop: Header=BB63_4 Depth=1
	s_or_b32 exec_lo, exec_lo, s22
.LBB63_3:                               ;   in Loop: Header=BB63_4 Depth=1
	s_add_co_i32 s2, s2, 0x10000
	s_wait_alu 0xfffe
	s_cmp_lt_u32 s2, s24
	s_cbranch_scc0 .LBB63_24
.LBB63_4:                               ; =>This Loop Header: Depth=1
                                        ;     Child Loop BB63_15 Depth 2
	s_and_not1_b32 vcc_lo, exec_lo, s25
	s_wait_alu 0xfffe
	s_cbranch_vccnz .LBB63_3
; %bb.5:                                ;   in Loop: Header=BB63_4 Depth=1
	s_lshl_b64 s[20:21], s[2:3], 3
	s_and_not1_b32 vcc_lo, exec_lo, s26
	s_wait_alu 0xfffe
	s_add_nc_u64 s[20:21], s[12:13], s[20:21]
	s_load_b64 s[20:21], s[20:21], 0x0
	s_wait_kmcnt 0x0
	s_add_nc_u64 s[20:21], s[20:21], s[14:15]
	s_cbranch_vccnz .LBB63_10
; %bb.6:                                ;   in Loop: Header=BB63_4 Depth=1
	s_mov_b32 s22, 0
	s_mov_b32 s27, 0
                                        ; implicit-def: $vgpr2_vgpr3
	s_and_saveexec_b32 s23, s0
	s_cbranch_execz .LBB63_11
; %bb.7:                                ;   in Loop: Header=BB63_4 Depth=1
	v_cmp_ne_u32_e32 vcc_lo, 1, v10
	v_mov_b32_e32 v2, 0
	v_dual_mov_b32 v3, 0 :: v_dual_mov_b32 v0, 0
	v_mov_b32_e32 v1, 0
	s_cbranch_vccnz .LBB63_9
; %bb.8:                                ;   in Loop: Header=BB63_4 Depth=1
	s_wait_alu 0xfffe
	v_add_co_u32 v0, vcc_lo, s20, v4
	s_wait_alu 0xfffd
	v_add_co_ci_u32_e64 v1, null, s21, v5, vcc_lo
	flat_load_b128 v[11:14], v[0:1]
	s_wait_loadcnt_dscnt 0x0
	v_mul_f64_e32 v[0:1], s[10:11], v[13:14]
	v_mul_f64_e32 v[2:3], s[8:9], v[13:14]
	s_delay_alu instid0(VALU_DEP_2) | instskip(NEXT) | instid1(VALU_DEP_2)
	v_fma_f64 v[0:1], s[8:9], v[11:12], -v[0:1]
	v_fma_f64 v[2:3], s[10:11], v[11:12], v[2:3]
.LBB63_9:                               ;   in Loop: Header=BB63_4 Depth=1
	s_mov_b32 s27, exec_lo
	s_or_b32 exec_lo, exec_lo, s23
	s_delay_alu instid0(SALU_CYCLE_1)
	s_and_b32 vcc_lo, exec_lo, s22
	s_wait_alu 0xfffe
	s_cbranch_vccnz .LBB63_12
	s_branch .LBB63_22
.LBB63_10:                              ;   in Loop: Header=BB63_4 Depth=1
	s_mov_b32 s27, 0
                                        ; implicit-def: $vgpr2_vgpr3
	s_cbranch_execnz .LBB63_12
	s_branch .LBB63_22
.LBB63_11:                              ;   in Loop: Header=BB63_4 Depth=1
	s_or_b32 exec_lo, exec_lo, s23
	s_delay_alu instid0(SALU_CYCLE_1)
	s_and_b32 vcc_lo, exec_lo, s22
	s_wait_alu 0xfffe
	s_cbranch_vccz .LBB63_22
.LBB63_12:                              ;   in Loop: Header=BB63_4 Depth=1
                                        ; implicit-def: $vgpr2_vgpr3
	s_and_saveexec_b32 s28, s0
	s_cbranch_execz .LBB63_21
; %bb.13:                               ;   in Loop: Header=BB63_4 Depth=1
	s_load_b32 s22, s[16:17], 0x0
	v_mov_b32_e32 v0, 0
	v_dual_mov_b32 v1, 0 :: v_dual_mov_b32 v2, 0
	v_mov_b32_e32 v3, 0
	s_wait_kmcnt 0x0
	s_cmp_ge_i32 ttmp9, s22
	s_cbranch_scc1 .LBB63_16
; %bb.14:                               ;   in Loop: Header=BB63_4 Depth=1
	s_mov_b32 s23, s3
	v_mov_b32_e32 v2, 0
	s_mul_u64 s[30:31], s[18:19], s[22:23]
	s_mov_b32 s29, ttmp9
	s_wait_alu 0xfffe
	v_mad_co_u64_u32 v[8:9], null, s30, s2, v[6:7]
	s_delay_alu instid0(VALU_DEP_1) | instskip(NEXT) | instid1(VALU_DEP_1)
	v_dual_mov_b32 v3, 0 :: v_dual_mov_b32 v0, v9
	v_mad_co_u64_u32 v[11:12], null, s31, s2, v[0:1]
	v_mov_b32_e32 v0, 0
	v_mov_b32_e32 v1, 0
	s_delay_alu instid0(VALU_DEP_3)
	v_mov_b32_e32 v9, v11
.LBB63_15:                              ;   Parent Loop BB63_4 Depth=1
                                        ; =>  This Inner Loop Header: Depth=2
	global_load_b128 v[11:14], v[8:9], off offset:-8
	v_add_co_u32 v8, vcc_lo, v8, s18
	s_wait_alu 0xfffd
	v_add_co_ci_u32_e64 v9, null, s19, v9, vcc_lo
	s_add_co_i32 s29, s29, 1
	s_delay_alu instid0(SALU_CYCLE_1)
	s_cmp_ge_i32 s29, s22
	s_wait_loadcnt 0x0
	v_add_f64_e32 v[2:3], v[2:3], v[11:12]
	v_add_f64_e32 v[0:1], v[0:1], v[13:14]
	s_cbranch_scc0 .LBB63_15
.LBB63_16:                              ;   in Loop: Header=BB63_4 Depth=1
	s_delay_alu instid0(VALU_DEP_1) | instskip(SKIP_3) | instid1(VALU_DEP_2)
	v_mul_f64_e32 v[8:9], s[6:7], v[0:1]
	v_mul_f64_e32 v[11:12], s[4:5], v[0:1]
	s_and_b32 vcc_lo, exec_lo, s1
	s_mov_b32 s22, -1
	v_fma_f64 v[0:1], s[4:5], v[2:3], -v[8:9]
	s_delay_alu instid0(VALU_DEP_2)
	v_fma_f64 v[2:3], s[6:7], v[2:3], v[11:12]
	s_wait_alu 0xfffe
	s_cbranch_vccz .LBB63_18
; %bb.17:                               ;   in Loop: Header=BB63_4 Depth=1
	s_mov_b32 s22, 0
.LBB63_18:                              ;   in Loop: Header=BB63_4 Depth=1
	s_delay_alu instid0(SALU_CYCLE_1)
	s_and_not1_b32 vcc_lo, exec_lo, s22
	s_wait_alu 0xfffe
	s_cbranch_vccnz .LBB63_20
; %bb.19:                               ;   in Loop: Header=BB63_4 Depth=1
	v_add_co_u32 v8, vcc_lo, s20, v4
	s_wait_alu 0xfffd
	v_add_co_ci_u32_e64 v9, null, s21, v5, vcc_lo
	flat_load_b128 v[11:14], v[8:9]
	s_wait_loadcnt_dscnt 0x0
	v_mul_f64_e32 v[8:9], s[10:11], v[13:14]
	v_mul_f64_e32 v[13:14], s[8:9], v[13:14]
	s_delay_alu instid0(VALU_DEP_2) | instskip(NEXT) | instid1(VALU_DEP_2)
	v_fma_f64 v[8:9], s[8:9], v[11:12], -v[8:9]
	v_fma_f64 v[11:12], s[10:11], v[11:12], v[13:14]
	s_delay_alu instid0(VALU_DEP_2) | instskip(NEXT) | instid1(VALU_DEP_2)
	v_add_f64_e32 v[0:1], v[0:1], v[8:9]
	v_add_f64_e32 v[2:3], v[2:3], v[11:12]
.LBB63_20:                              ;   in Loop: Header=BB63_4 Depth=1
	s_or_b32 s27, s27, exec_lo
.LBB63_21:                              ;   in Loop: Header=BB63_4 Depth=1
	s_or_b32 exec_lo, exec_lo, s28
.LBB63_22:                              ;   in Loop: Header=BB63_4 Depth=1
	s_and_saveexec_b32 s22, s27
	s_cbranch_execz .LBB63_2
; %bb.23:                               ;   in Loop: Header=BB63_4 Depth=1
	s_wait_alu 0xfffe
	v_add_co_u32 v8, vcc_lo, s20, v4
	s_wait_alu 0xfffd
	v_add_co_ci_u32_e64 v9, null, s21, v5, vcc_lo
	flat_store_b128 v[8:9], v[0:3]
	s_branch .LBB63_2
.LBB63_24:
	s_endpgm
	.section	.rodata,"a",@progbits
	.p2align	6, 0x0
	.amdhsa_kernel _ZL36rocblas_hemvn_kernel_lower_block_sumILi64Ei19rocblas_complex_numIdEPKPS1_S1_EviT1_lS5_lT2_lT0_lPT3_i
		.amdhsa_group_segment_fixed_size 0
		.amdhsa_private_segment_fixed_size 0
		.amdhsa_kernarg_size 360
		.amdhsa_user_sgpr_count 2
		.amdhsa_user_sgpr_dispatch_ptr 0
		.amdhsa_user_sgpr_queue_ptr 0
		.amdhsa_user_sgpr_kernarg_segment_ptr 1
		.amdhsa_user_sgpr_dispatch_id 0
		.amdhsa_user_sgpr_private_segment_size 0
		.amdhsa_wavefront_size32 1
		.amdhsa_uses_dynamic_stack 0
		.amdhsa_enable_private_segment 0
		.amdhsa_system_sgpr_workgroup_id_x 1
		.amdhsa_system_sgpr_workgroup_id_y 0
		.amdhsa_system_sgpr_workgroup_id_z 1
		.amdhsa_system_sgpr_workgroup_info 0
		.amdhsa_system_vgpr_workitem_id 0
		.amdhsa_next_free_vgpr 15
		.amdhsa_next_free_sgpr 32
		.amdhsa_reserve_vcc 1
		.amdhsa_float_round_mode_32 0
		.amdhsa_float_round_mode_16_64 0
		.amdhsa_float_denorm_mode_32 3
		.amdhsa_float_denorm_mode_16_64 3
		.amdhsa_fp16_overflow 0
		.amdhsa_workgroup_processor_mode 1
		.amdhsa_memory_ordered 1
		.amdhsa_forward_progress 1
		.amdhsa_inst_pref_size 8
		.amdhsa_round_robin_scheduling 0
		.amdhsa_exception_fp_ieee_invalid_op 0
		.amdhsa_exception_fp_denorm_src 0
		.amdhsa_exception_fp_ieee_div_zero 0
		.amdhsa_exception_fp_ieee_overflow 0
		.amdhsa_exception_fp_ieee_underflow 0
		.amdhsa_exception_fp_ieee_inexact 0
		.amdhsa_exception_int_div_zero 0
	.end_amdhsa_kernel
	.section	.text._ZL36rocblas_hemvn_kernel_lower_block_sumILi64Ei19rocblas_complex_numIdEPKPS1_S1_EviT1_lS5_lT2_lT0_lPT3_i,"axG",@progbits,_ZL36rocblas_hemvn_kernel_lower_block_sumILi64Ei19rocblas_complex_numIdEPKPS1_S1_EviT1_lS5_lT2_lT0_lPT3_i,comdat
.Lfunc_end63:
	.size	_ZL36rocblas_hemvn_kernel_lower_block_sumILi64Ei19rocblas_complex_numIdEPKPS1_S1_EviT1_lS5_lT2_lT0_lPT3_i, .Lfunc_end63-_ZL36rocblas_hemvn_kernel_lower_block_sumILi64Ei19rocblas_complex_numIdEPKPS1_S1_EviT1_lS5_lT2_lT0_lPT3_i
                                        ; -- End function
	.set _ZL36rocblas_hemvn_kernel_lower_block_sumILi64Ei19rocblas_complex_numIdEPKPS1_S1_EviT1_lS5_lT2_lT0_lPT3_i.num_vgpr, 15
	.set _ZL36rocblas_hemvn_kernel_lower_block_sumILi64Ei19rocblas_complex_numIdEPKPS1_S1_EviT1_lS5_lT2_lT0_lPT3_i.num_agpr, 0
	.set _ZL36rocblas_hemvn_kernel_lower_block_sumILi64Ei19rocblas_complex_numIdEPKPS1_S1_EviT1_lS5_lT2_lT0_lPT3_i.numbered_sgpr, 32
	.set _ZL36rocblas_hemvn_kernel_lower_block_sumILi64Ei19rocblas_complex_numIdEPKPS1_S1_EviT1_lS5_lT2_lT0_lPT3_i.num_named_barrier, 0
	.set _ZL36rocblas_hemvn_kernel_lower_block_sumILi64Ei19rocblas_complex_numIdEPKPS1_S1_EviT1_lS5_lT2_lT0_lPT3_i.private_seg_size, 0
	.set _ZL36rocblas_hemvn_kernel_lower_block_sumILi64Ei19rocblas_complex_numIdEPKPS1_S1_EviT1_lS5_lT2_lT0_lPT3_i.uses_vcc, 1
	.set _ZL36rocblas_hemvn_kernel_lower_block_sumILi64Ei19rocblas_complex_numIdEPKPS1_S1_EviT1_lS5_lT2_lT0_lPT3_i.uses_flat_scratch, 0
	.set _ZL36rocblas_hemvn_kernel_lower_block_sumILi64Ei19rocblas_complex_numIdEPKPS1_S1_EviT1_lS5_lT2_lT0_lPT3_i.has_dyn_sized_stack, 0
	.set _ZL36rocblas_hemvn_kernel_lower_block_sumILi64Ei19rocblas_complex_numIdEPKPS1_S1_EviT1_lS5_lT2_lT0_lPT3_i.has_recursion, 0
	.set _ZL36rocblas_hemvn_kernel_lower_block_sumILi64Ei19rocblas_complex_numIdEPKPS1_S1_EviT1_lS5_lT2_lT0_lPT3_i.has_indirect_call, 0
	.section	.AMDGPU.csdata,"",@progbits
; Kernel info:
; codeLenInByte = 904
; TotalNumSgprs: 34
; NumVgprs: 15
; ScratchSize: 0
; MemoryBound: 0
; FloatMode: 240
; IeeeMode: 1
; LDSByteSize: 0 bytes/workgroup (compile time only)
; SGPRBlocks: 0
; VGPRBlocks: 1
; NumSGPRsForWavesPerEU: 34
; NumVGPRsForWavesPerEU: 15
; Occupancy: 16
; WaveLimiterHint : 1
; COMPUTE_PGM_RSRC2:SCRATCH_EN: 0
; COMPUTE_PGM_RSRC2:USER_SGPR: 2
; COMPUTE_PGM_RSRC2:TRAP_HANDLER: 0
; COMPUTE_PGM_RSRC2:TGID_X_EN: 1
; COMPUTE_PGM_RSRC2:TGID_Y_EN: 0
; COMPUTE_PGM_RSRC2:TGID_Z_EN: 1
; COMPUTE_PGM_RSRC2:TIDIG_COMP_CNT: 0
	.section	.text._ZL50rocblas_symv_kernel_upper_double_buffered_diagonalILi32ELi4E24rocblas_internal_val_ptrIfEPKfPfEvbiT1_lT2_lllS6_lllS5_lT3_llli,"axG",@progbits,_ZL50rocblas_symv_kernel_upper_double_buffered_diagonalILi32ELi4E24rocblas_internal_val_ptrIfEPKfPfEvbiT1_lT2_lllS6_lllS5_lT3_llli,comdat
	.globl	_ZL50rocblas_symv_kernel_upper_double_buffered_diagonalILi32ELi4E24rocblas_internal_val_ptrIfEPKfPfEvbiT1_lT2_lllS6_lllS5_lT3_llli ; -- Begin function _ZL50rocblas_symv_kernel_upper_double_buffered_diagonalILi32ELi4E24rocblas_internal_val_ptrIfEPKfPfEvbiT1_lT2_lllS6_lllS5_lT3_llli
	.p2align	8
	.type	_ZL50rocblas_symv_kernel_upper_double_buffered_diagonalILi32ELi4E24rocblas_internal_val_ptrIfEPKfPfEvbiT1_lT2_lllS6_lllS5_lT3_llli,@function
_ZL50rocblas_symv_kernel_upper_double_buffered_diagonalILi32ELi4E24rocblas_internal_val_ptrIfEPKfPfEvbiT1_lT2_lllS6_lllS5_lT3_llli: ; @_ZL50rocblas_symv_kernel_upper_double_buffered_diagonalILi32ELi4E24rocblas_internal_val_ptrIfEPKfPfEvbiT1_lT2_lllS6_lllS5_lT3_llli
; %bb.0:
	s_load_b64 s[0:1], s[0:1], 0x4
	s_clause 0x1
	s_load_b512 s[8:23], s[2:3], 0x8
	s_load_b256 s[24:31], s[2:3], 0x48
	v_bfe_u32 v1, v0, 10, 10
	s_load_b32 s33, s[2:3], 0x88
	v_and_b32_e32 v2, 0x3ff, v0
	v_bfe_u32 v0, v0, 20, 10
	s_wait_kmcnt 0x0
	v_mul_u32_u24_e32 v3, s1, v1
	s_lshr_b32 s0, s0, 16
	v_dual_mov_b32 v4, s9 :: v_dual_mov_b32 v5, s28
	s_wait_alu 0xfffe
	s_mul_i32 s0, s0, s1
	s_wait_alu 0xfffe
	s_lshr_b32 s28, ttmp7, 16
	v_mad_u32_u24 v3, s0, v2, v3
	s_wait_alu 0xfffe
	s_cmp_ge_u32 s28, s33
	s_delay_alu instid0(VALU_DEP_1) | instskip(SKIP_1) | instid1(VALU_DEP_2)
	v_add_lshl_u32 v0, v3, v0, 3
	v_dual_mov_b32 v3, s8 :: v_dual_mov_b32 v6, s29
	v_add_nc_u32_e32 v7, 0x80, v0
	ds_store_2addr_stride64_b64 v7, v[5:6], v[3:4] offset0:10 offset1:12
	s_cbranch_scc1 .LBB64_42
; %bb.1:
	s_load_b128 s[4:7], s[2:3], 0x70
	v_mad_co_u64_u32 v[6:7], null, s16, v1, 0
	s_clause 0x2
	s_load_b32 s1, s[2:3], 0x0
	s_load_b64 s[8:9], s[2:3], 0x68
	s_load_b64 s[34:35], s[2:3], 0x80
	v_add_nc_u32_e32 v4, 0x1880, v0
	v_add_nc_u32_e32 v5, 0x1480, v0
	v_mad_co_u64_u32 v[8:9], null, s24, v2, 0
	s_add_nc_u64 s[2:3], s[16:17], 1
	v_mov_b32_e32 v0, v7
	v_lshlrev_b32_e32 v22, 2, v2
	v_lshl_add_u32 v3, v1, 5, v2
	v_cmp_eq_u32_e64 s0, 0, v1
	v_lshlrev_b32_e32 v13, 7, v1
	v_mad_co_u64_u32 v[10:11], null, s17, v1, v[0:1]
	v_mov_b32_e32 v0, v9
	v_lshl_add_u32 v14, v3, 2, 0x1000
	s_delay_alu instid0(VALU_DEP_4)
	v_add_nc_u32_e32 v18, 0x800, v13
	v_add_nc_u32_e32 v19, 0xa00, v13
	s_wait_kmcnt 0x0
	v_mad_co_u64_u32 v[16:17], null, s6, v2, 0
	s_bitcmp1_b32 s1, 0
	v_mov_b32_e32 v7, v10
	s_cselect_b32 s1, -1, 0
	s_lshl_b32 s38, ttmp9, 5
	v_mad_co_u64_u32 v[11:12], null, s25, v2, v[0:1]
	s_ashr_i32 s39, s38, 31
	s_lshl_b64 s[14:15], s[14:15], 2
	v_mov_b32_e32 v0, v17
	s_mul_u64 s[2:3], s[2:3], s[38:39]
	v_lshlrev_b64_e32 v[6:7], 2, v[6:7]
	s_add_nc_u64 s[14:15], s[12:13], s[14:15]
	s_lshl_b64 s[2:3], s[2:3], 2
	v_mad_co_u64_u32 v[9:10], null, s7, v2, v[0:1]
	s_add_nc_u64 s[2:3], s[14:15], s[2:3]
	s_lshl_b64 s[4:5], s[4:5], 2
	v_add_co_u32 v0, vcc_lo, s2, v6
	s_add_nc_u64 s[4:5], s[8:9], s[4:5]
	v_add_co_ci_u32_e64 v7, null, s3, v7, vcc_lo
	v_add_co_u32 v6, vcc_lo, v0, v22
	v_sub_co_u32 v0, s9, v2, v1
	v_mov_b32_e32 v17, v9
	v_mov_b32_e32 v9, v11
	s_mul_u64 s[6:7], s[6:7], s[38:39]
	s_delay_alu instid0(VALU_DEP_3)
	v_sub_nc_u32_e32 v11, 0, v0
	s_wait_alu 0xfffe
	s_lshl_b64 s[6:7], s[6:7], 2
	s_xor_b32 s36, s1, -1
	v_cmp_gt_u32_e64 s1, 16, v2
	v_mul_u32_u24_e32 v2, 0x7c, v2
	v_lshlrev_b32_e32 v1, 2, v1
	s_lshl_b64 s[22:23], s[22:23], 2
	s_wait_alu 0xfffe
	s_add_nc_u64 s[12:13], s[4:5], s[6:7]
	s_mul_u64 s[4:5], s[24:25], s[38:39]
	v_lshlrev_b64_e32 v[8:9], 2, v[8:9]
	s_add_nc_u64 s[20:21], s[20:21], s[22:23]
	s_lshl_b64 s[2:3], s[4:5], 2
	v_max_i32_e32 v0, v0, v11
	s_wait_alu 0xfffe
	s_add_nc_u64 s[2:3], s[20:21], s[2:3]
	v_add_nc_u32_e32 v20, 0xc00, v13
	v_add_nc_u32_e32 v21, 0xe00, v13
	v_add3_u32 v11, v22, v2, v1
	v_add_nc_u32_e32 v2, 0x200, v13
	v_add_nc_u32_e32 v23, 0x400, v13
	;; [unrolled: 1-line block ×3, first 2 shown]
	s_wait_alu 0xfffd
	v_add_co_ci_u32_e64 v7, null, 0, v7, vcc_lo
	s_wait_alu 0xfffe
	v_add_co_u32 v8, vcc_lo, s2, v8
	s_wait_alu 0xfffd
	v_add_co_ci_u32_e64 v9, null, s3, v9, vcc_lo
	v_cmp_lt_u32_e64 s2, 16, v0
	v_cmp_lt_u32_e64 s3, 20, v0
	;; [unrolled: 1-line block ×4, first 2 shown]
	v_add_nc_u32_e32 v12, v22, v13
	v_cmp_lt_u32_e64 s6, 4, v0
	v_cmp_lt_u32_e64 s7, 8, v0
	;; [unrolled: 1-line block ×3, first 2 shown]
	v_add_nc_u32_e32 v13, 0x1400, v1
	v_lshlrev_b64_e32 v[0:1], 2, v[16:17]
	v_add_nc_u32_e32 v10, 0x1400, v22
	v_or_b32_e32 v15, 0x1000, v22
	v_add_nc_u32_e32 v16, v22, v18
	v_add_nc_u32_e32 v17, v22, v19
	;; [unrolled: 1-line block ×7, first 2 shown]
	s_lshl_b64 s[20:21], s[16:17], 2
	s_mov_b32 s29, 0
	s_lshl_b64 s[14:15], s[16:17], 6
	s_xor_b32 s24, s9, -1
	s_lshl_b64 s[16:17], s[16:17], 4
	s_lshl_b64 s[20:21], s[20:21], 2
	s_branch .LBB64_4
.LBB64_2:                               ;   in Loop: Header=BB64_4 Depth=1
	s_wait_alu 0xfffe
	s_or_b32 exec_lo, exec_lo, s25
.LBB64_3:                               ;   in Loop: Header=BB64_4 Depth=1
	s_wait_alu 0xfffe
	s_or_b32 exec_lo, exec_lo, s9
	s_add_co_i32 s28, s28, 0x10000
	s_wait_alu 0xfffe
	s_cmp_lt_u32 s28, s33
	s_cbranch_scc0 .LBB64_42
.LBB64_4:                               ; =>This Inner Loop Header: Depth=1
	s_and_b32 vcc_lo, exec_lo, s36
	s_mov_b32 s9, -1
                                        ; implicit-def: $vgpr23
	s_wait_alu 0xfffe
	s_cbranch_vccnz .LBB64_32
; %bb.5:                                ;   in Loop: Header=BB64_4 Depth=1
	s_and_not1_b32 vcc_lo, exec_lo, s9
	s_wait_alu 0xfffe
	s_cbranch_vccz .LBB64_33
.LBB64_6:                               ;   in Loop: Header=BB64_4 Depth=1
	s_and_b32 vcc_lo, exec_lo, s36
	s_mov_b32 s9, -1
                                        ; implicit-def: $vgpr24
	s_wait_alu 0xfffe
	s_cbranch_vccnz .LBB64_34
.LBB64_7:                               ;   in Loop: Header=BB64_4 Depth=1
	s_and_not1_b32 vcc_lo, exec_lo, s9
	s_wait_alu 0xfffe
	s_cbranch_vccnz .LBB64_9
.LBB64_8:                               ;   in Loop: Header=BB64_4 Depth=1
	s_wait_loadcnt_dscnt 0x0
	ds_load_b32 v24, v5
.LBB64_9:                               ;   in Loop: Header=BB64_4 Depth=1
	s_wait_loadcnt_dscnt 0x0
	v_cmp_neq_f32_e32 vcc_lo, 0, v23
	v_cmp_neq_f32_e64 s9, 1.0, v24
	s_or_b32 s22, vcc_lo, s9
	s_wait_alu 0xfffe
	s_and_saveexec_b32 s9, s22
	s_cbranch_execz .LBB64_3
; %bb.10:                               ;   in Loop: Header=BB64_4 Depth=1
	s_mul_u64 s[22:23], s[34:35], s[28:29]
	s_mov_b32 s25, exec_lo
	s_wait_alu 0xfffe
	s_lshl_b64 s[22:23], s[22:23], 2
	s_wait_alu 0xfffe
	s_add_nc_u64 s[22:23], s[12:13], s[22:23]
	v_cmpx_eq_f32_e32 0, v23
	s_xor_b32 s25, exec_lo, s25
	s_cbranch_execz .LBB64_14
; %bb.11:                               ;   in Loop: Header=BB64_4 Depth=1
	s_and_saveexec_b32 s37, s0
	s_cbranch_execz .LBB64_13
; %bb.12:                               ;   in Loop: Header=BB64_4 Depth=1
	s_wait_alu 0xfffe
	v_add_co_u32 v2, vcc_lo, s22, v0
	s_wait_alu 0xfffd
	v_add_co_ci_u32_e64 v3, null, s23, v1, vcc_lo
	global_load_b32 v23, v[2:3], off
	s_wait_loadcnt 0x0
	v_mul_f32_e32 v23, v24, v23
	global_store_b32 v[2:3], v23, off
.LBB64_13:                              ;   in Loop: Header=BB64_4 Depth=1
	s_or_b32 exec_lo, exec_lo, s37
                                        ; implicit-def: $vgpr23
                                        ; implicit-def: $vgpr24
.LBB64_14:                              ;   in Loop: Header=BB64_4 Depth=1
	s_wait_alu 0xfffe
	s_and_not1_saveexec_b32 s25, s25
	s_cbranch_execz .LBB64_3
; %bb.15:                               ;   in Loop: Header=BB64_4 Depth=1
	v_mov_b32_e32 v25, 0
	s_and_saveexec_b32 s25, s0
	s_cbranch_execz .LBB64_19
; %bb.16:                               ;   in Loop: Header=BB64_4 Depth=1
	v_mov_b32_e32 v25, 0
	s_mov_b32 s37, exec_lo
	v_cmpx_neq_f32_e32 0, v24
	s_cbranch_execz .LBB64_18
; %bb.17:                               ;   in Loop: Header=BB64_4 Depth=1
	v_add_co_u32 v2, vcc_lo, s22, v0
	s_wait_alu 0xfffd
	v_add_co_ci_u32_e64 v3, null, s23, v1, vcc_lo
	global_load_b32 v2, v[2:3], off
	s_wait_loadcnt 0x0
	v_mul_f32_e32 v25, v24, v2
.LBB64_18:                              ;   in Loop: Header=BB64_4 Depth=1
	s_or_b32 exec_lo, exec_lo, s37
	s_mul_u64 s[38:39], s[26:27], s[28:29]
	s_wait_alu 0xfffe
	s_lshl_b64 s[38:39], s[38:39], 2
	s_wait_alu 0xfffe
	v_add_co_u32 v2, vcc_lo, v8, s38
	s_wait_alu 0xfffd
	v_add_co_ci_u32_e64 v3, null, s39, v9, vcc_lo
	global_load_b32 v2, v[2:3], off
	s_wait_loadcnt 0x0
	ds_store_b32 v10, v2
.LBB64_19:                              ;   in Loop: Header=BB64_4 Depth=1
	s_wait_alu 0xfffe
	s_or_b32 exec_lo, exec_lo, s25
	s_mul_u64 s[38:39], s[18:19], s[28:29]
	s_wait_alu 0xfffe
	s_lshl_b64 s[38:39], s[38:39], 2
	s_wait_alu 0xfffe
	v_add_co_u32 v2, vcc_lo, v6, s38
	s_wait_alu 0xfffd
	v_add_co_ci_u32_e64 v3, null, s39, v7, vcc_lo
	s_and_saveexec_b32 s25, s1
	s_cbranch_execz .LBB64_21
; %bb.20:                               ;   in Loop: Header=BB64_4 Depth=1
	v_add_co_u32 v26, vcc_lo, v2, s20
	s_wait_alu 0xfffd
	v_add_co_ci_u32_e64 v27, null, s21, v3, vcc_lo
	s_delay_alu instid0(VALU_DEP_2) | instskip(SKIP_1) | instid1(VALU_DEP_2)
	v_add_co_u32 v28, vcc_lo, v26, s16
	s_wait_alu 0xfffd
	v_add_co_ci_u32_e64 v29, null, s17, v27, vcc_lo
	s_delay_alu instid0(VALU_DEP_2) | instskip(SKIP_1) | instid1(VALU_DEP_2)
	v_add_co_u32 v30, vcc_lo, v28, s16
	s_wait_alu 0xfffd
	v_add_co_ci_u32_e64 v31, null, s17, v29, vcc_lo
	s_clause 0x3
	global_load_b32 v32, v[2:3], off
	global_load_b32 v26, v[26:27], off
	;; [unrolled: 1-line block ×4, first 2 shown]
	s_wait_loadcnt 0x2
	ds_store_2addr_stride64_b32 v12, v32, v26 offset1:2
	s_wait_loadcnt 0x0
	ds_store_2addr_stride64_b32 v12, v27, v28 offset0:4 offset1:6
.LBB64_21:                              ;   in Loop: Header=BB64_4 Depth=1
	s_wait_alu 0xfffe
	s_or_b32 exec_lo, exec_lo, s25
	v_add_co_u32 v2, vcc_lo, v2, s14
	s_wait_alu 0xfffd
	v_add_co_ci_u32_e64 v3, null, s15, v3, vcc_lo
	s_delay_alu instid0(VALU_DEP_2) | instskip(SKIP_1) | instid1(VALU_DEP_2)
	v_add_co_u32 v26, vcc_lo, v2, s20
	s_wait_alu 0xfffd
	v_add_co_ci_u32_e64 v27, null, s21, v3, vcc_lo
	s_delay_alu instid0(VALU_DEP_2) | instskip(SKIP_1) | instid1(VALU_DEP_2)
	v_add_co_u32 v28, vcc_lo, v26, s16
	s_wait_alu 0xfffd
	v_add_co_ci_u32_e64 v29, null, s17, v27, vcc_lo
	s_delay_alu instid0(VALU_DEP_2) | instskip(SKIP_1) | instid1(VALU_DEP_2)
	v_add_co_u32 v30, vcc_lo, v28, s16
	s_wait_alu 0xfffd
	v_add_co_ci_u32_e64 v31, null, s17, v29, vcc_lo
	s_clause 0x3
	global_load_b32 v2, v[2:3], off
	global_load_b32 v3, v[26:27], off
	global_load_b32 v26, v[28:29], off
	global_load_b32 v27, v[30:31], off
	s_wait_loadcnt 0x3
	ds_store_b32 v16, v2
	s_wait_loadcnt 0x2
	ds_store_b32 v17, v3
	;; [unrolled: 2-line block ×4, first 2 shown]
	s_wait_storecnt_dscnt 0x0
	s_barrier_signal -1
	s_barrier_wait -1
	global_inv scope:SCOPE_SE
	s_and_saveexec_b32 s25, s2
	s_cbranch_execnz .LBB64_35
; %bb.22:                               ;   in Loop: Header=BB64_4 Depth=1
	s_wait_alu 0xfffe
	s_or_b32 exec_lo, exec_lo, s25
	s_and_saveexec_b32 s25, s3
	s_cbranch_execnz .LBB64_36
.LBB64_23:                              ;   in Loop: Header=BB64_4 Depth=1
	s_wait_alu 0xfffe
	s_or_b32 exec_lo, exec_lo, s25
	s_and_saveexec_b32 s25, s4
	s_cbranch_execnz .LBB64_37
.LBB64_24:                              ;   in Loop: Header=BB64_4 Depth=1
	s_wait_alu 0xfffe
	s_or_b32 exec_lo, exec_lo, s25
	s_and_saveexec_b32 s25, s5
	s_cbranch_execnz .LBB64_38
.LBB64_25:                              ;   in Loop: Header=BB64_4 Depth=1
	s_wait_alu 0xfffe
	s_or_b32 exec_lo, exec_lo, s25
	s_and_saveexec_b32 s25, s24
	s_cbranch_execnz .LBB64_39
.LBB64_26:                              ;   in Loop: Header=BB64_4 Depth=1
	s_wait_alu 0xfffe
	s_or_b32 exec_lo, exec_lo, s25
	s_and_saveexec_b32 s25, s6
	s_cbranch_execnz .LBB64_40
.LBB64_27:                              ;   in Loop: Header=BB64_4 Depth=1
	s_wait_alu 0xfffe
	s_or_b32 exec_lo, exec_lo, s25
	s_and_saveexec_b32 s25, s7
	s_cbranch_execnz .LBB64_41
.LBB64_28:                              ;   in Loop: Header=BB64_4 Depth=1
	s_wait_alu 0xfffe
	s_or_b32 exec_lo, exec_lo, s25
	s_and_saveexec_b32 s25, s8
	s_cbranch_execz .LBB64_30
.LBB64_29:                              ;   in Loop: Header=BB64_4 Depth=1
	ds_load_b32 v2, v11 offset:48
	s_wait_dscnt 0x0
	ds_store_b32 v22, v2
.LBB64_30:                              ;   in Loop: Header=BB64_4 Depth=1
	s_wait_alu 0xfffe
	s_or_b32 exec_lo, exec_lo, s25
	s_wait_loadcnt_dscnt 0x0
	s_barrier_signal -1
	s_barrier_wait -1
	global_inv scope:SCOPE_SE
	ds_load_2addr_b32 v[2:3], v13 offset1:4
	ds_load_b32 v30, v12
	ds_load_b32 v31, v20
	ds_load_2addr_b32 v[26:27], v13 offset0:8 offset1:12
	ds_load_b32 v32, v21
	ds_load_2addr_b32 v[28:29], v13 offset0:16 offset1:20
	ds_load_b32 v33, v22
	ds_load_b32 v34, v16
	;; [unrolled: 1-line block ×5, first 2 shown]
	s_wait_dscnt 0x9
	v_fma_f32 v30, v30, v2, 0
	s_wait_dscnt 0x8
	s_delay_alu instid0(VALU_DEP_1) | instskip(SKIP_4) | instid1(VALU_DEP_1)
	v_fmac_f32_e32 v30, v31, v3
	ds_load_2addr_b32 v[2:3], v13 offset0:24 offset1:28
	s_wait_dscnt 0x7
	v_fmac_f32_e32 v30, v32, v26
	s_wait_dscnt 0x5
	v_fmac_f32_e32 v30, v33, v27
	s_wait_dscnt 0x4
	s_delay_alu instid0(VALU_DEP_1) | instskip(SKIP_1) | instid1(VALU_DEP_1)
	v_fmac_f32_e32 v30, v34, v28
	s_wait_dscnt 0x3
	v_fmac_f32_e32 v30, v35, v29
	s_wait_dscnt 0x0
	s_delay_alu instid0(VALU_DEP_1) | instskip(NEXT) | instid1(VALU_DEP_1)
	v_fmac_f32_e32 v30, v36, v2
	v_fmac_f32_e32 v30, v37, v3
	ds_store_b32 v14, v30
	s_wait_loadcnt_dscnt 0x0
	s_barrier_signal -1
	s_barrier_wait -1
	global_inv scope:SCOPE_SE
	s_and_saveexec_b32 s25, s0
	s_cbranch_execz .LBB64_2
; %bb.31:                               ;   in Loop: Header=BB64_4 Depth=1
	ds_load_2addr_b32 v[2:3], v15 offset1:32
	ds_load_2addr_b32 v[26:27], v15 offset0:64 offset1:96
	v_cmp_neq_f32_e32 vcc_lo, 0, v24
	s_wait_dscnt 0x1
	v_add_f32_e32 v2, 0, v2
	s_delay_alu instid0(VALU_DEP_1) | instskip(SKIP_1) | instid1(VALU_DEP_1)
	v_add_f32_e32 v2, v2, v3
	s_wait_dscnt 0x0
	v_add_f32_e32 v2, v2, v26
	s_delay_alu instid0(VALU_DEP_1) | instskip(NEXT) | instid1(VALU_DEP_1)
	v_add_f32_e32 v2, v2, v27
	v_mul_f32_e32 v3, v23, v2
	v_fmac_f32_e32 v25, v23, v2
	s_wait_alu 0xfffd
	s_delay_alu instid0(VALU_DEP_1)
	v_cndmask_b32_e32 v23, v3, v25, vcc_lo
	v_add_co_u32 v2, vcc_lo, s22, v0
	s_wait_alu 0xfffd
	v_add_co_ci_u32_e64 v3, null, s23, v1, vcc_lo
	global_store_b32 v[2:3], v23, off
	s_branch .LBB64_2
.LBB64_32:                              ;   in Loop: Header=BB64_4 Depth=1
	ds_load_b64 v[2:3], v4
	s_mul_u64 s[22:23], s[10:11], s[28:29]
	s_wait_alu 0xfffe
	s_lshl_b64 s[22:23], s[22:23], 2
	s_wait_dscnt 0x0
	s_wait_alu 0xfffe
	v_add_co_u32 v2, vcc_lo, v2, s22
	s_wait_alu 0xfffd
	v_add_co_ci_u32_e64 v3, null, s23, v3, vcc_lo
	flat_load_b32 v23, v[2:3]
	s_cbranch_execnz .LBB64_6
.LBB64_33:                              ;   in Loop: Header=BB64_4 Depth=1
	s_wait_loadcnt_dscnt 0x0
	ds_load_b32 v23, v4
	s_and_b32 vcc_lo, exec_lo, s36
	s_mov_b32 s9, -1
                                        ; implicit-def: $vgpr24
	s_wait_alu 0xfffe
	s_cbranch_vccz .LBB64_7
.LBB64_34:                              ;   in Loop: Header=BB64_4 Depth=1
	ds_load_b64 v[2:3], v5
	s_mul_u64 s[22:23], s[30:31], s[28:29]
	s_wait_alu 0xfffe
	s_lshl_b64 s[22:23], s[22:23], 2
	s_wait_dscnt 0x0
	s_wait_alu 0xfffe
	v_add_co_u32 v2, vcc_lo, v2, s22
	s_wait_alu 0xfffd
	v_add_co_ci_u32_e64 v3, null, s23, v3, vcc_lo
	flat_load_b32 v24, v[2:3]
	s_cbranch_execz .LBB64_8
	s_branch .LBB64_9
.LBB64_35:                              ;   in Loop: Header=BB64_4 Depth=1
	ds_load_b32 v2, v11 offset:64
	s_wait_dscnt 0x0
	ds_store_b32 v16, v2
	s_wait_alu 0xfffe
	s_or_b32 exec_lo, exec_lo, s25
	s_and_saveexec_b32 s25, s3
	s_cbranch_execz .LBB64_23
.LBB64_36:                              ;   in Loop: Header=BB64_4 Depth=1
	ds_load_b32 v2, v11 offset:80
	s_wait_dscnt 0x0
	ds_store_b32 v17, v2
	s_wait_alu 0xfffe
	s_or_b32 exec_lo, exec_lo, s25
	s_and_saveexec_b32 s25, s4
	s_cbranch_execz .LBB64_24
.LBB64_37:                              ;   in Loop: Header=BB64_4 Depth=1
	ds_load_b32 v2, v11 offset:96
	s_wait_dscnt 0x0
	ds_store_b32 v18, v2
	s_wait_alu 0xfffe
	s_or_b32 exec_lo, exec_lo, s25
	s_and_saveexec_b32 s25, s5
	s_cbranch_execz .LBB64_25
.LBB64_38:                              ;   in Loop: Header=BB64_4 Depth=1
	ds_load_b32 v2, v11 offset:112
	s_wait_dscnt 0x0
	ds_store_b32 v19, v2
	s_wait_alu 0xfffe
	s_or_b32 exec_lo, exec_lo, s25
	s_and_saveexec_b32 s25, s24
	s_cbranch_execz .LBB64_26
.LBB64_39:                              ;   in Loop: Header=BB64_4 Depth=1
	ds_load_b32 v2, v11
	s_wait_dscnt 0x0
	ds_store_b32 v12, v2
	s_wait_alu 0xfffe
	s_or_b32 exec_lo, exec_lo, s25
	s_and_saveexec_b32 s25, s6
	s_cbranch_execz .LBB64_27
.LBB64_40:                              ;   in Loop: Header=BB64_4 Depth=1
	ds_load_b32 v2, v11 offset:16
	s_wait_dscnt 0x0
	ds_store_b32 v20, v2
	s_wait_alu 0xfffe
	s_or_b32 exec_lo, exec_lo, s25
	s_and_saveexec_b32 s25, s7
	s_cbranch_execz .LBB64_28
.LBB64_41:                              ;   in Loop: Header=BB64_4 Depth=1
	ds_load_b32 v2, v11 offset:32
	s_wait_dscnt 0x0
	ds_store_b32 v21, v2
	s_wait_alu 0xfffe
	s_or_b32 exec_lo, exec_lo, s25
	s_and_saveexec_b32 s25, s8
	s_cbranch_execnz .LBB64_29
	s_branch .LBB64_30
.LBB64_42:
	s_endpgm
	.section	.rodata,"a",@progbits
	.p2align	6, 0x0
	.amdhsa_kernel _ZL50rocblas_symv_kernel_upper_double_buffered_diagonalILi32ELi4E24rocblas_internal_val_ptrIfEPKfPfEvbiT1_lT2_lllS6_lllS5_lT3_llli
		.amdhsa_group_segment_fixed_size 7296
		.amdhsa_private_segment_fixed_size 0
		.amdhsa_kernarg_size 140
		.amdhsa_user_sgpr_count 4
		.amdhsa_user_sgpr_dispatch_ptr 1
		.amdhsa_user_sgpr_queue_ptr 0
		.amdhsa_user_sgpr_kernarg_segment_ptr 1
		.amdhsa_user_sgpr_dispatch_id 0
		.amdhsa_user_sgpr_private_segment_size 0
		.amdhsa_wavefront_size32 1
		.amdhsa_uses_dynamic_stack 0
		.amdhsa_enable_private_segment 0
		.amdhsa_system_sgpr_workgroup_id_x 1
		.amdhsa_system_sgpr_workgroup_id_y 0
		.amdhsa_system_sgpr_workgroup_id_z 1
		.amdhsa_system_sgpr_workgroup_info 0
		.amdhsa_system_vgpr_workitem_id 2
		.amdhsa_next_free_vgpr 38
		.amdhsa_next_free_sgpr 40
		.amdhsa_reserve_vcc 1
		.amdhsa_float_round_mode_32 0
		.amdhsa_float_round_mode_16_64 0
		.amdhsa_float_denorm_mode_32 3
		.amdhsa_float_denorm_mode_16_64 3
		.amdhsa_fp16_overflow 0
		.amdhsa_workgroup_processor_mode 1
		.amdhsa_memory_ordered 1
		.amdhsa_forward_progress 1
		.amdhsa_inst_pref_size 20
		.amdhsa_round_robin_scheduling 0
		.amdhsa_exception_fp_ieee_invalid_op 0
		.amdhsa_exception_fp_denorm_src 0
		.amdhsa_exception_fp_ieee_div_zero 0
		.amdhsa_exception_fp_ieee_overflow 0
		.amdhsa_exception_fp_ieee_underflow 0
		.amdhsa_exception_fp_ieee_inexact 0
		.amdhsa_exception_int_div_zero 0
	.end_amdhsa_kernel
	.section	.text._ZL50rocblas_symv_kernel_upper_double_buffered_diagonalILi32ELi4E24rocblas_internal_val_ptrIfEPKfPfEvbiT1_lT2_lllS6_lllS5_lT3_llli,"axG",@progbits,_ZL50rocblas_symv_kernel_upper_double_buffered_diagonalILi32ELi4E24rocblas_internal_val_ptrIfEPKfPfEvbiT1_lT2_lllS6_lllS5_lT3_llli,comdat
.Lfunc_end64:
	.size	_ZL50rocblas_symv_kernel_upper_double_buffered_diagonalILi32ELi4E24rocblas_internal_val_ptrIfEPKfPfEvbiT1_lT2_lllS6_lllS5_lT3_llli, .Lfunc_end64-_ZL50rocblas_symv_kernel_upper_double_buffered_diagonalILi32ELi4E24rocblas_internal_val_ptrIfEPKfPfEvbiT1_lT2_lllS6_lllS5_lT3_llli
                                        ; -- End function
	.set _ZL50rocblas_symv_kernel_upper_double_buffered_diagonalILi32ELi4E24rocblas_internal_val_ptrIfEPKfPfEvbiT1_lT2_lllS6_lllS5_lT3_llli.num_vgpr, 38
	.set _ZL50rocblas_symv_kernel_upper_double_buffered_diagonalILi32ELi4E24rocblas_internal_val_ptrIfEPKfPfEvbiT1_lT2_lllS6_lllS5_lT3_llli.num_agpr, 0
	.set _ZL50rocblas_symv_kernel_upper_double_buffered_diagonalILi32ELi4E24rocblas_internal_val_ptrIfEPKfPfEvbiT1_lT2_lllS6_lllS5_lT3_llli.numbered_sgpr, 40
	.set _ZL50rocblas_symv_kernel_upper_double_buffered_diagonalILi32ELi4E24rocblas_internal_val_ptrIfEPKfPfEvbiT1_lT2_lllS6_lllS5_lT3_llli.num_named_barrier, 0
	.set _ZL50rocblas_symv_kernel_upper_double_buffered_diagonalILi32ELi4E24rocblas_internal_val_ptrIfEPKfPfEvbiT1_lT2_lllS6_lllS5_lT3_llli.private_seg_size, 0
	.set _ZL50rocblas_symv_kernel_upper_double_buffered_diagonalILi32ELi4E24rocblas_internal_val_ptrIfEPKfPfEvbiT1_lT2_lllS6_lllS5_lT3_llli.uses_vcc, 1
	.set _ZL50rocblas_symv_kernel_upper_double_buffered_diagonalILi32ELi4E24rocblas_internal_val_ptrIfEPKfPfEvbiT1_lT2_lllS6_lllS5_lT3_llli.uses_flat_scratch, 0
	.set _ZL50rocblas_symv_kernel_upper_double_buffered_diagonalILi32ELi4E24rocblas_internal_val_ptrIfEPKfPfEvbiT1_lT2_lllS6_lllS5_lT3_llli.has_dyn_sized_stack, 0
	.set _ZL50rocblas_symv_kernel_upper_double_buffered_diagonalILi32ELi4E24rocblas_internal_val_ptrIfEPKfPfEvbiT1_lT2_lllS6_lllS5_lT3_llli.has_recursion, 0
	.set _ZL50rocblas_symv_kernel_upper_double_buffered_diagonalILi32ELi4E24rocblas_internal_val_ptrIfEPKfPfEvbiT1_lT2_lllS6_lllS5_lT3_llli.has_indirect_call, 0
	.section	.AMDGPU.csdata,"",@progbits
; Kernel info:
; codeLenInByte = 2448
; TotalNumSgprs: 42
; NumVgprs: 38
; ScratchSize: 0
; MemoryBound: 0
; FloatMode: 240
; IeeeMode: 1
; LDSByteSize: 7296 bytes/workgroup (compile time only)
; SGPRBlocks: 0
; VGPRBlocks: 4
; NumSGPRsForWavesPerEU: 42
; NumVGPRsForWavesPerEU: 38
; Occupancy: 16
; WaveLimiterHint : 1
; COMPUTE_PGM_RSRC2:SCRATCH_EN: 0
; COMPUTE_PGM_RSRC2:USER_SGPR: 4
; COMPUTE_PGM_RSRC2:TRAP_HANDLER: 0
; COMPUTE_PGM_RSRC2:TGID_X_EN: 1
; COMPUTE_PGM_RSRC2:TGID_Y_EN: 0
; COMPUTE_PGM_RSRC2:TGID_Z_EN: 1
; COMPUTE_PGM_RSRC2:TIDIG_COMP_CNT: 2
	.section	.text._ZL54rocblas_symv_kernel_upper_double_buffered_non_diagonalILi32ELi4ELi4E24rocblas_internal_val_ptrIfEPKfPfEvbiT2_lT3_lllS6_lllT4_llli,"axG",@progbits,_ZL54rocblas_symv_kernel_upper_double_buffered_non_diagonalILi32ELi4ELi4E24rocblas_internal_val_ptrIfEPKfPfEvbiT2_lT3_lllS6_lllT4_llli,comdat
	.globl	_ZL54rocblas_symv_kernel_upper_double_buffered_non_diagonalILi32ELi4ELi4E24rocblas_internal_val_ptrIfEPKfPfEvbiT2_lT3_lllS6_lllT4_llli ; -- Begin function _ZL54rocblas_symv_kernel_upper_double_buffered_non_diagonalILi32ELi4ELi4E24rocblas_internal_val_ptrIfEPKfPfEvbiT2_lT3_lllS6_lllT4_llli
	.p2align	8
	.type	_ZL54rocblas_symv_kernel_upper_double_buffered_non_diagonalILi32ELi4ELi4E24rocblas_internal_val_ptrIfEPKfPfEvbiT2_lT3_lllS6_lllT4_llli,@function
_ZL54rocblas_symv_kernel_upper_double_buffered_non_diagonalILi32ELi4ELi4E24rocblas_internal_val_ptrIfEPKfPfEvbiT2_lT3_lllS6_lllT4_llli: ; @_ZL54rocblas_symv_kernel_upper_double_buffered_non_diagonalILi32ELi4ELi4E24rocblas_internal_val_ptrIfEPKfPfEvbiT2_lT3_lllS6_lllT4_llli
; %bb.0:
	s_load_b64 s[20:21], s[0:1], 0x4
	s_clause 0x1
	s_load_b512 s[4:19], s[2:3], 0x8
	s_load_b32 s1, s[2:3], 0x78
	v_bfe_u32 v2, v0, 10, 10
	v_and_b32_e32 v1, 0x3ff, v0
	v_bfe_u32 v0, v0, 20, 10
	s_wait_kmcnt 0x0
	s_delay_alu instid0(VALU_DEP_3)
	v_mul_u32_u24_e32 v3, s21, v2
	s_lshr_b32 s0, s20, 16
	v_mov_b32_e32 v4, s5
	s_mul_i32 s0, s0, s21
	s_delay_alu instid0(VALU_DEP_2) | instid1(SALU_CYCLE_1)
	v_mad_u32_u24 v5, s0, v1, v3
	v_mov_b32_e32 v3, s4
	s_lshr_b32 s4, ttmp7, 16
	s_wait_alu 0xfffe
	s_cmp_ge_u32 s4, s1
	v_add_lshl_u32 v0, v5, v0, 3
	ds_store_b64 v0, v[3:4] offset:3200
	s_cbranch_scc1 .LBB65_29
; %bb.1:
	s_clause 0x3
	s_load_b32 s0, s[2:3], 0x0
	s_load_b128 s[20:23], s[2:3], 0x48
	s_load_b128 s[24:27], s[2:3], 0x60
	s_load_b64 s[34:35], s[2:3], 0x58
	v_lshl_add_u32 v20, v2, 5, v1
	v_add_nc_u32_e32 v16, 0xc80, v0
	v_add_nc_u32_e32 v25, 5, v1
	;; [unrolled: 1-line block ×4, first 2 shown]
	v_lshrrev_b32_e32 v22, 4, v20
	v_add_nc_u32_e32 v24, 4, v1
	v_add_nc_u32_e32 v26, 6, v1
	v_dual_mov_b32 v4, 0 :: v_dual_add_nc_u32 v27, 7, v1
	s_delay_alu instid0(VALU_DEP_4)
	v_lshlrev_b32_e32 v13, 2, v22
	v_lshlrev_b32_e32 v48, 8, v22
	v_and_b32_e32 v30, 15, v28
	v_add_nc_u32_e32 v32, 14, v1
	v_and_b32_e32 v24, 15, v24
	v_and_b32_e32 v26, 15, v26
	s_wait_kmcnt 0x0
	s_bitcmp1_b32 s0, 0
	v_mad_co_u64_u32 v[5:6], null, s20, v1, 0
	v_and_b32_e32 v3, 15, v1
	s_cselect_b32 s0, -1, 0
	s_wait_alu 0xfffe
	s_lshl_b32 s40, ttmp9, 5
	s_xor_b32 s64, s0, -1
	v_cmp_eq_u32_e64 s0, 0, v2
	s_ashr_i32 s41, s40, 31
	v_mov_b32_e32 v0, v6
	v_mad_co_u64_u32 v[9:10], null, s20, v3, 0
	s_and_b32 s33, ttmp7, 0xffff
	s_mul_u64 s[36:37], s[12:13], s[40:41]
	v_mad_co_u64_u32 v[6:7], null, s21, v1, v[0:1]
	v_mad_co_u64_u32 v[7:8], null, s12, v13, v[3:4]
	v_or_b32_e32 v4, 16, v3
	v_lshlrev_b32_e32 v23, 2, v1
	s_lshl_b64 s[18:19], s[18:19], 2
	s_lshl_b64 s[24:25], s[24:25], 2
	;; [unrolled: 1-line block ×3, first 2 shown]
	v_mad_co_u64_u32 v[11:12], null, s20, v4, 0
	s_delay_alu instid0(VALU_DEP_4) | instskip(SKIP_3) | instid1(VALU_DEP_2)
	v_mov_b32_e32 v0, v8
	v_dual_mov_b32 v2, v10 :: v_dual_add_nc_u32 v17, 0xc00, v23
	s_lshl_b32 s65, s33, 5
	s_lshl_b64 s[48:49], s[36:37], 2
	v_mad_co_u64_u32 v[13:14], null, s13, v13, v[0:1]
	v_mad_co_u64_u32 v[14:15], null, s26, v1, 0
	v_mov_b32_e32 v0, v12
	v_mad_co_u64_u32 v[18:19], null, s21, v3, v[2:3]
	v_and_b32_e32 v2, 0xfff0, v20
	v_dual_mov_b32 v8, v13 :: v_dual_lshlrev_b32 v47, 7, v22
	s_delay_alu instid0(VALU_DEP_4) | instskip(SKIP_4) | instid1(VALU_DEP_3)
	v_mad_co_u64_u32 v[12:13], null, s21, v4, v[0:1]
	v_dual_mov_b32 v0, v15 :: v_dual_add_nc_u32 v19, 0x800, v23
	v_lshlrev_b32_e32 v4, 6, v1
	v_add_nc_u32_e32 v22, 2, v1
	s_cmp_lg_u32 ttmp9, 0
	v_mad_co_u64_u32 v[20:21], null, s27, v1, v[0:1]
	v_add_nc_u32_e32 v0, 1, v1
	v_lshlrev_b32_e32 v13, 2, v3
	v_xor_b32_e32 v3, 8, v3
	s_mul_u64 s[46:47], s[20:21], s[40:41]
	s_cselect_b32 s66, -1, 0
	v_and_b32_e32 v0, 15, v0
	s_mul_u64 s[50:51], s[26:27], s[40:41]
	s_lshl_b64 s[40:41], s[40:41], 2
	v_dual_mov_b32 v10, v18 :: v_dual_add_nc_u32 v23, 3, v1
	s_delay_alu instid0(VALU_DEP_2) | instskip(SKIP_4) | instid1(VALU_DEP_4)
	v_lshl_or_b32 v21, v0, 2, v4
	v_and_b32_e32 v0, 15, v22
	v_add_co_u32 v38, s29, v2, s40
	v_add_nc_u32_e32 v18, 0xc00, v2
	v_lshl_or_b32 v28, v3, 2, v4
	v_lshl_or_b32 v22, v0, 2, v4
	v_and_b32_e32 v0, 15, v25
	v_and_b32_e32 v3, 15, v31
	v_add_nc_u32_e32 v31, 13, v1
	v_add_co_ci_u32_e64 v2, null, 0, s41, s29
	s_delay_alu instid0(VALU_DEP_4) | instskip(SKIP_2) | instid1(VALU_DEP_4)
	v_lshl_or_b32 v25, v0, 2, v4
	v_add_nc_u32_e32 v0, 9, v1
	v_and_b32_e32 v23, 15, v23
	v_mul_lo_u32 v40, s12, v2
	v_mul_lo_u32 v2, s13, v38
	v_and_b32_e32 v27, 15, v27
	v_and_b32_e32 v0, 15, v0
	;; [unrolled: 1-line block ×4, first 2 shown]
	v_lshl_or_b32 v31, v3, 2, v4
	v_mov_b32_e32 v15, v20
	v_lshl_or_b32 v29, v0, 2, v4
	v_add_nc_u32_e32 v0, 12, v1
	v_add_nc_u32_e32 v1, -1, v1
	v_or_b32_e32 v20, v4, v13
	v_lshl_or_b32 v23, v23, 2, v4
	v_lshl_or_b32 v24, v24, 2, v4
	v_and_b32_e32 v33, 15, v0
	v_and_b32_e32 v36, 15, v1
	v_mad_co_u64_u32 v[0:1], null, s12, v38, s[44:45]
	v_lshl_or_b32 v26, v26, 2, v4
	v_lshl_or_b32 v27, v27, 2, v4
	;; [unrolled: 1-line block ×6, first 2 shown]
	v_add3_u32 v1, v2, v1, v40
	v_or_b32_e32 v2, 8, v38
	v_add_co_u32 v3, vcc_lo, v0, v13
	v_lshl_or_b32 v35, v36, 2, v4
	s_delay_alu instid0(VALU_DEP_4) | instskip(NEXT) | instid1(VALU_DEP_4)
	v_add_co_ci_u32_e64 v4, null, 0, v1, vcc_lo
	v_mul_lo_u32 v39, s13, v2
	v_mad_co_u64_u32 v[0:1], null, s12, v2, s[44:45]
	v_or_b32_e32 v2, 12, v38
	v_add_co_u32 v36, vcc_lo, s8, v3
	s_wait_alu 0xfffd
	v_add_co_ci_u32_e64 v37, null, s9, v4, vcc_lo
	s_delay_alu instid0(VALU_DEP_3)
	v_mul_lo_u32 v4, s13, v2
	v_mad_co_u64_u32 v[2:3], null, s12, v2, s[44:45]
	v_add3_u32 v1, v39, v1, v40
	v_or_b32_e32 v38, 4, v38
	v_add_co_u32 v39, vcc_lo, v0, v13
	s_load_b64 s[30:31], s[2:3], 0x70
	v_add_co_ci_u32_e64 v41, null, 0, v1, vcc_lo
	v_add3_u32 v3, v4, v3, v40
	v_mul_lo_u32 v4, s13, v38
	v_mad_co_u64_u32 v[0:1], null, s12, v38, s[44:45]
	v_add_co_u32 v38, vcc_lo, s8, v39
	s_wait_alu 0xfffd
	v_add_co_ci_u32_e64 v39, null, s9, v41, vcc_lo
	v_add_co_u32 v2, vcc_lo, v2, v13
	s_wait_alu 0xfffd
	v_add_co_ci_u32_e64 v3, null, 0, v3, vcc_lo
	v_add3_u32 v1, v4, v1, v40
	s_delay_alu instid0(VALU_DEP_3) | instskip(SKIP_1) | instid1(VALU_DEP_3)
	v_add_co_u32 v40, vcc_lo, s8, v2
	s_wait_alu 0xfffd
	v_add_co_ci_u32_e64 v41, null, s9, v3, vcc_lo
	v_add_co_u32 v0, vcc_lo, v0, v13
	s_wait_alu 0xfffd
	v_add_co_ci_u32_e64 v1, null, 0, v1, vcc_lo
	v_or_b32_e32 v46, 0x800, v13
	s_delay_alu instid0(VALU_DEP_3) | instskip(SKIP_1) | instid1(VALU_DEP_3)
	v_add_co_u32 v42, vcc_lo, s8, v0
	s_wait_alu 0xfffd
	v_add_co_ci_u32_e64 v43, null, s9, v1, vcc_lo
	v_lshlrev_b64_e32 v[0:1], 2, v[5:6]
	v_lshlrev_b64_e32 v[2:3], 2, v[7:8]
	;; [unrolled: 1-line block ×5, first 2 shown]
	v_or_b32_e32 v44, 64, v13
	v_or_b32_e32 v45, 0x80, v13
	v_add_nc_u32_e32 v46, v46, v47
	v_add_nc_u32_e32 v47, v13, v48
	s_mov_b32 s5, 0
	s_add_nc_u64 s[24:25], s[34:35], s[24:25]
	s_add_nc_u64 s[34:35], s[8:9], s[44:45]
	s_lshl_b64 s[40:41], s[12:13], 2
	s_add_nc_u64 s[12:13], s[48:49], s[44:45]
	s_mov_b32 s28, ttmp9
	s_add_nc_u64 s[2:3], s[2:3], 0x80
	s_add_nc_u64 s[10:11], s[16:17], s[18:19]
	;; [unrolled: 1-line block ×3, first 2 shown]
	s_lshl_b64 s[36:37], s[20:21], 7
	s_lshl_b64 s[38:39], s[26:27], 7
	s_wait_alu 0xfffe
	s_mov_b32 s29, s5
	s_lshl_b64 s[42:43], s[14:15], 2
	s_add_nc_u64 s[8:9], s[8:9], s[12:13]
	s_lshl_b64 s[12:13], s[22:23], 2
	s_lshl_b64 s[44:45], s[20:21], 2
	;; [unrolled: 1-line block ×4, first 2 shown]
	s_branch .LBB65_3
.LBB65_2:                               ;   in Loop: Header=BB65_3 Depth=1
	s_or_b32 exec_lo, exec_lo, s67
	s_add_co_i32 s4, s4, 0x10000
	s_wait_alu 0xfffe
	s_cmp_lt_u32 s4, s1
	s_cbranch_scc0 .LBB65_29
.LBB65_3:                               ; =>This Loop Header: Depth=1
                                        ;     Child Loop BB65_17 Depth 2
	s_and_b32 vcc_lo, exec_lo, s64
	s_mov_b32 s50, -1
                                        ; implicit-def: $vgpr48
	s_wait_alu 0xfffe
	s_cbranch_vccz .LBB65_5
; %bb.4:                                ;   in Loop: Header=BB65_3 Depth=1
	ds_load_b64 v[10:11], v16
	s_mul_u64 s[50:51], s[6:7], s[4:5]
	s_wait_alu 0xfffe
	s_lshl_b64 s[50:51], s[50:51], 2
	s_wait_dscnt 0x0
	s_wait_alu 0xfffe
	v_add_co_u32 v10, vcc_lo, v10, s50
	s_wait_alu 0xfffd
	v_add_co_ci_u32_e64 v11, null, s51, v11, vcc_lo
	s_mov_b32 s50, 0
	flat_load_b32 v48, v[10:11]
.LBB65_5:                               ;   in Loop: Header=BB65_3 Depth=1
	s_wait_alu 0xfffe
	s_and_not1_b32 vcc_lo, exec_lo, s50
	s_wait_alu 0xfffe
	s_cbranch_vccnz .LBB65_7
; %bb.6:                                ;   in Loop: Header=BB65_3 Depth=1
	s_wait_loadcnt_dscnt 0x0
	ds_load_b32 v48, v16
.LBB65_7:                               ;   in Loop: Header=BB65_3 Depth=1
	s_mov_b32 s67, exec_lo
	s_wait_loadcnt_dscnt 0x0
	v_cmpx_neq_f32_e32 0, v48
	s_cbranch_execz .LBB65_2
; %bb.8:                                ;   in Loop: Header=BB65_3 Depth=1
	s_and_not1_b32 vcc_lo, exec_lo, s66
	s_wait_alu 0xfffe
	s_cbranch_vccnz .LBB65_2
; %bb.9:                                ;   in Loop: Header=BB65_3 Depth=1
	s_mul_u64 s[50:51], s[22:23], s[4:5]
	s_wait_alu 0xfffe
	s_lshl_b64 s[50:51], s[50:51], 2
	s_wait_alu 0xfffe
	s_add_nc_u64 s[54:55], s[10:11], s[50:51]
	s_and_saveexec_b32 s50, s0
	s_cbranch_execz .LBB65_11
; %bb.10:                               ;   in Loop: Header=BB65_3 Depth=1
	s_wait_alu 0xfffe
	s_add_nc_u64 s[52:53], s[54:55], s[46:47]
	s_wait_alu 0xfffe
	v_add_co_u32 v10, vcc_lo, s52, v0
	s_wait_alu 0xfffd
	v_add_co_ci_u32_e64 v11, null, s53, v1, vcc_lo
	global_load_b32 v10, v[10:11], off
	s_wait_loadcnt 0x0
	ds_store_b32 v17, v10
.LBB65_11:                              ;   in Loop: Header=BB65_3 Depth=1
	s_wait_alu 0xfffe
	s_or_b32 exec_lo, exec_lo, s50
	s_load_b32 s50, s[2:3], 0x4
	s_mov_b32 s53, s5
	s_wait_kmcnt 0x0
	s_cvt_f32_u32 s51, s50
	s_sub_co_i32 s52, 0, s50
	s_wait_alu 0xfffe
	s_delay_alu instid0(SALU_CYCLE_1) | instskip(NEXT) | instid1(TRANS32_DEP_1)
	v_rcp_iflag_f32_e32 v10, s51
	v_readfirstlane_b32 s51, v10
	s_mul_f32 s51, s51, 0x4f7ffffe
	s_wait_alu 0xfffe
	s_delay_alu instid0(SALU_CYCLE_2) | instskip(SKIP_1) | instid1(SALU_CYCLE_2)
	s_cvt_u32_f32 s51, s51
	s_wait_alu 0xfffe
	s_mul_i32 s52, s52, s51
	s_wait_alu 0xfffe
	s_mul_hi_u32 s52, s51, s52
	s_wait_alu 0xfffe
	s_add_co_i32 s52, s51, s52
	s_wait_alu 0xfffe
	s_mul_u64 s[52:53], s[28:29], s[52:53]
	s_wait_alu 0xfffe
	s_mul_i32 s51, s53, s50
	s_add_co_i32 s52, s53, 1
	s_wait_alu 0xfffe
	s_sub_co_i32 s51, s28, s51
	s_wait_alu 0xfffe
	s_sub_co_i32 s56, s51, s50
	s_cmp_ge_u32 s51, s50
	s_cselect_b32 s52, s52, s53
	s_cselect_b32 s51, s56, s51
	s_wait_alu 0xfffe
	s_add_co_i32 s53, s52, 1
	s_cmp_ge_u32 s51, s50
	s_wait_alu 0xfffe
	s_cselect_b32 s52, s53, s52
	s_add_co_i32 s51, s50, -1
	s_wait_alu 0xfffe
	s_mov_b32 s68, s52
	s_cmp_lg_u32 s33, s51
	s_cbranch_scc1 .LBB65_13
; %bb.12:                               ;   in Loop: Header=BB65_3 Depth=1
	s_mul_i32 s50, s52, s50
	s_wait_alu 0xfffe
	s_sub_co_i32 s50, s28, s50
	s_wait_alu 0xfffe
	s_add_co_i32 s68, s50, s52
.LBB65_13:                              ;   in Loop: Header=BB65_3 Depth=1
	s_wait_alu 0xfffe
	s_cmp_eq_u32 s68, 0
	s_cbranch_scc1 .LBB65_2
; %bb.14:                               ;   in Loop: Header=BB65_3 Depth=1
	s_mul_u64 s[50:51], s[30:31], s[4:5]
	s_wait_dscnt 0x0
	s_wait_alu 0xfffe
	s_lshl_b64 s[50:51], s[50:51], 2
	s_cmp_lt_i32 s68, 1
	s_wait_alu 0xfffe
	s_add_nc_u64 s[50:51], s[24:25], s[50:51]
	s_barrier_signal -1
	s_barrier_wait -1
	global_inv scope:SCOPE_SE
	s_cbranch_scc1 .LBB65_21
; %bb.15:                               ;   in Loop: Header=BB65_3 Depth=1
	s_mul_u64 s[58:59], s[14:15], s[4:5]
	s_mul_i32 s56, s65, s52
	s_wait_alu 0xfffe
	s_lshl_b64 s[52:53], s[58:59], 2
	s_ashr_i32 s57, s56, 31
	s_wait_alu 0xfffe
	s_add_nc_u64 s[58:59], s[34:35], s[52:53]
	s_lshl_b64 s[52:53], s[56:57], 2
	s_mul_u64 s[60:61], s[20:21], s[56:57]
	s_wait_alu 0xfffe
	s_add_nc_u64 s[58:59], s[58:59], s[52:53]
	s_lshl_b64 s[60:61], s[60:61], 2
	s_wait_alu 0xfffe
	v_add_co_u32 v10, vcc_lo, s58, v2
	s_wait_alu 0xfffd
	v_add_co_ci_u32_e64 v11, null, s59, v3, vcc_lo
	s_add_nc_u64 s[60:61], s[54:55], s[60:61]
	v_add_co_u32 v12, vcc_lo, v10, s40
	s_wait_alu 0xfffd
	v_add_co_ci_u32_e64 v13, null, s41, v11, vcc_lo
	s_mul_u64 s[54:55], s[26:27], s[56:57]
	v_add_co_u32 v14, vcc_lo, v12, s40
	s_wait_alu 0xfffd
	v_add_co_ci_u32_e64 v15, null, s41, v13, vcc_lo
	s_wait_alu 0xfffe
	s_lshl_b64 s[54:55], s[54:55], 2
	v_add_co_u32 v49, vcc_lo, v14, s40
	s_wait_alu 0xfffd
	v_add_co_ci_u32_e64 v50, null, s41, v15, vcc_lo
	v_add_co_u32 v51, vcc_lo, s60, v4
	s_wait_alu 0xfffd
	v_add_co_ci_u32_e64 v52, null, s61, v5, vcc_lo
	s_clause 0x3
	global_load_b32 v67, v[10:11], off
	global_load_b32 v68, v[12:13], off
	;; [unrolled: 1-line block ×5, first 2 shown]
	v_mov_b32_e32 v49, 0
	s_wait_alu 0xfffe
	s_add_nc_u64 s[62:63], s[50:51], s[54:55]
	s_cmp_eq_u32 s68, 1
	s_cbranch_scc1 .LBB65_22
; %bb.16:                               ;   in Loop: Header=BB65_3 Depth=1
	v_add_co_u32 v10, s60, v44, s52
	v_add_co_u32 v49, s69, v45, s52
	s_wait_alu 0xf1ff
	v_add_co_ci_u32_e64 v11, null, 0, s53, s60
	s_mul_u64 s[58:59], s[12:13], s[4:5]
	v_add_co_ci_u32_e64 v50, null, 0, s53, s69
	s_wait_alu 0xfffe
	s_add_nc_u64 s[60:61], s[16:17], s[58:59]
	s_mul_u64 s[54:55], s[42:43], s[4:5]
	s_wait_alu 0xfffe
	v_mad_co_u64_u32 v[12:13], null, s20, v10, s[60:61]
	v_mul_lo_u32 v11, s20, v11
	v_mul_lo_u32 v10, s21, v10
	v_add_co_u32 v53, vcc_lo, v36, s54
	v_mad_co_u64_u32 v[14:15], null, s20, v49, s[60:61]
	v_mul_lo_u32 v50, s20, v50
	v_mul_lo_u32 v49, s21, v49
	s_wait_alu 0xfffd
	v_add_co_ci_u32_e64 v55, null, s55, v37, vcc_lo
	v_add_co_u32 v57, vcc_lo, v38, s54
	s_wait_alu 0xfffd
	v_add_co_ci_u32_e64 v58, null, s55, v39, vcc_lo
	v_add_co_u32 v60, vcc_lo, v40, s54
	;; [unrolled: 3-line block ×3, first 2 shown]
	v_add3_u32 v13, v10, v13, v11
	s_mul_u64 s[56:57], s[44:45], s[56:57]
	v_dual_mov_b32 v10, s62 :: v_dual_mov_b32 v51, 0
	s_wait_alu 0xfffd
	v_add_co_ci_u32_e64 v66, null, s55, v43, vcc_lo
	v_add3_u32 v15, v49, v15, v50
	v_dual_mov_b32 v50, 0 :: v_dual_mov_b32 v11, s63
	v_dual_mov_b32 v52, 0 :: v_dual_mov_b32 v49, 0
	s_add_nc_u64 s[56:57], s[56:57], s[58:59]
	s_add_nc_u64 s[54:55], s[8:9], s[54:55]
	s_add_co_i32 s58, s68, -1
	s_add_nc_u64 s[56:57], s[16:17], s[56:57]
.LBB65_17:                              ;   Parent Loop BB65_3 Depth=1
                                        ; =>  This Inner Loop Header: Depth=2
	v_add_co_u32 v62, vcc_lo, v53, s52
	s_wait_alu 0xfffd
	v_add_co_ci_u32_e64 v63, null, s53, v55, vcc_lo
	v_add_co_u32 v76, vcc_lo, v65, s52
	s_wait_alu 0xfffd
	v_add_co_ci_u32_e64 v77, null, s53, v66, vcc_lo
	;; [unrolled: 3-line block ×3, first 2 shown]
	global_load_b32 v72, v[62:63], off offset:64
	global_load_b32 v71, v[76:77], off offset:64
	;; [unrolled: 1-line block ×3, first 2 shown]
	v_add_co_u32 v80, vcc_lo, v60, s52
	s_wait_alu 0xfffd
	v_add_co_ci_u32_e64 v81, null, s53, v61, vcc_lo
	v_add_co_u32 v82, vcc_lo, v12, s18
	s_wait_alu 0xfffd
	v_add_co_ci_u32_e64 v83, null, s19, v13, vcc_lo
	global_load_b32 v74, v[80:81], off offset:64
	global_load_b32 v75, v[82:83], off
	v_add_co_u32 v82, vcc_lo, v14, s18
	s_wait_alu 0xfffd
	v_add_co_ci_u32_e64 v83, null, s19, v15, vcc_lo
	global_load_b32 v62, v[62:63], off offset:128
	global_load_b32 v59, v[76:77], off offset:128
	;; [unrolled: 1-line block ×4, first 2 shown]
	global_load_b32 v63, v[82:83], off
	ds_load_b128 v[76:79], v18
	s_wait_loadcnt_dscnt 0x0
	s_barrier_signal -1
	s_barrier_wait -1
	global_inv scope:SCOPE_SE
	v_fma_f32 v80, v67, v76, 0
	s_delay_alu instid0(VALU_DEP_1) | instskip(NEXT) | instid1(VALU_DEP_1)
	v_fmac_f32_e32 v80, v68, v77
	v_fmac_f32_e32 v80, v69, v78
	s_delay_alu instid0(VALU_DEP_1) | instskip(SKIP_1) | instid1(VALU_DEP_1)
	v_fmac_f32_e32 v80, v70, v79
	v_fma_f32 v76, v72, v76, 0
	v_fmac_f32_e32 v76, v71, v77
	s_delay_alu instid0(VALU_DEP_1) | instskip(NEXT) | instid1(VALU_DEP_1)
	v_fmac_f32_e32 v76, v73, v78
	v_fmac_f32_e32 v76, v74, v79
	ds_store_2addr_b32 v46, v80, v76 offset1:16
	s_wait_loadcnt_dscnt 0x0
	s_barrier_signal -1
	s_barrier_wait -1
	global_inv scope:SCOPE_SE
	s_and_saveexec_b32 s59, s0
	s_cbranch_execz .LBB65_19
; %bb.18:                               ;   in Loop: Header=BB65_17 Depth=2
	ds_load_2addr_b32 v[76:77], v19 offset1:32
	ds_load_2addr_b32 v[78:79], v19 offset0:64 offset1:96
	ds_load_2addr_b32 v[80:81], v19 offset0:128 offset1:160
	s_wait_dscnt 0x2
	v_add_f32_e32 v76, 0, v76
	s_delay_alu instid0(VALU_DEP_1) | instskip(SKIP_1) | instid1(VALU_DEP_1)
	v_add_f32_e32 v76, v76, v77
	s_wait_dscnt 0x1
	v_add_f32_e32 v78, v76, v78
	ds_load_2addr_b32 v[76:77], v19 offset0:192 offset1:224
	v_add_f32_e32 v78, v78, v79
	s_wait_dscnt 0x1
	s_delay_alu instid0(VALU_DEP_1) | instskip(NEXT) | instid1(VALU_DEP_1)
	v_add_f32_e32 v78, v78, v80
	v_add_f32_e32 v78, v78, v81
	s_wait_dscnt 0x0
	s_delay_alu instid0(VALU_DEP_1) | instskip(NEXT) | instid1(VALU_DEP_1)
	v_add_f32_e32 v76, v78, v76
	v_add_f32_e32 v78, v76, v77
	v_add_co_u32 v76, vcc_lo, v10, v8
	s_wait_alu 0xfffd
	v_add_co_ci_u32_e64 v77, null, v11, v9, vcc_lo
	s_delay_alu instid0(VALU_DEP_3)
	v_mul_f32_e32 v78, v48, v78
	v_add_co_u32 v10, vcc_lo, v10, s38
	s_wait_alu 0xfffd
	v_add_co_ci_u32_e64 v11, null, s39, v11, vcc_lo
	global_atomic_add_f32 v[76:77], v78, off scope:SCOPE_DEV
.LBB65_19:                              ;   in Loop: Header=BB65_17 Depth=2
	s_wait_alu 0xfffe
	s_or_b32 exec_lo, exec_lo, s59
	v_add_co_u32 v53, vcc_lo, 0x80, v53
	s_wait_alu 0xfffd
	v_add_co_ci_u32_e64 v55, null, 0, v55, vcc_lo
	v_add_co_u32 v57, vcc_lo, 0x80, v57
	s_wait_alu 0xfffd
	v_add_co_ci_u32_e64 v58, null, 0, v58, vcc_lo
	;; [unrolled: 3-line block ×3, first 2 shown]
	v_add_co_u32 v65, vcc_lo, 0x80, v65
	v_fmac_f32_e32 v51, v64, v69
	v_fmac_f32_e32 v50, v64, v67
	;; [unrolled: 1-line block ×4, first 2 shown]
	s_wait_alu 0xfffd
	v_add_co_ci_u32_e64 v66, null, 0, v66, vcc_lo
	v_add_co_u32 v12, vcc_lo, v12, s36
	s_wait_alu 0xfffd
	v_add_co_ci_u32_e64 v13, null, s37, v13, vcc_lo
	v_add_co_u32 v14, vcc_lo, v14, s36
	v_fmac_f32_e32 v51, v75, v73
	v_fmac_f32_e32 v50, v75, v72
	v_fmac_f32_e32 v49, v75, v74
	v_fmac_f32_e32 v52, v75, v71
	s_wait_alu 0xfffd
	v_add_co_ci_u32_e64 v15, null, s37, v15, vcc_lo
	s_add_co_i32 s58, s58, -1
	s_add_nc_u64 s[54:55], s[54:55], 0x80
	s_wait_alu 0xfffe
	s_cmp_eq_u32 s58, 0
	s_add_nc_u64 s[56:57], s[56:57], s[36:37]
	s_cbranch_scc1 .LBB65_23
; %bb.20:                               ;   in Loop: Header=BB65_17 Depth=2
	v_dual_mov_b32 v64, v63 :: v_dual_mov_b32 v67, v62
	v_dual_mov_b32 v68, v59 :: v_dual_mov_b32 v69, v56
	v_mov_b32_e32 v70, v54
	s_branch .LBB65_17
.LBB65_21:                              ;   in Loop: Header=BB65_3 Depth=1
	v_dual_mov_b32 v49, 0 :: v_dual_mov_b32 v52, 0
	v_dual_mov_b32 v51, 0 :: v_dual_mov_b32 v50, 0
	s_branch .LBB65_27
.LBB65_22:                              ;   in Loop: Header=BB65_3 Depth=1
	s_wait_alu 0xfffe
	v_dual_mov_b32 v10, s62 :: v_dual_mov_b32 v11, s63
	s_wait_loadcnt 0x1
	v_dual_mov_b32 v54, v70 :: v_dual_mov_b32 v59, v68
	v_dual_mov_b32 v56, v69 :: v_dual_mov_b32 v51, 0
	s_wait_loadcnt 0x0
	v_dual_mov_b32 v62, v67 :: v_dual_mov_b32 v63, v64
	v_mov_b32_e32 v52, 0
	v_mov_b32_e32 v50, 0
	s_branch .LBB65_24
.LBB65_23:                              ;   in Loop: Header=BB65_3 Depth=1
	s_add_nc_u64 s[60:61], s[56:57], s[18:19]
	s_add_nc_u64 s[58:59], s[54:55], s[52:53]
.LBB65_24:                              ;   in Loop: Header=BB65_3 Depth=1
	s_wait_alu 0xfffe
	v_add_co_u32 v12, vcc_lo, s58, v2
	s_wait_alu 0xfffd
	v_add_co_ci_u32_e64 v13, null, s59, v3, vcc_lo
	s_delay_alu instid0(VALU_DEP_2) | instskip(SKIP_1) | instid1(VALU_DEP_2)
	v_add_co_u32 v14, vcc_lo, v12, s40
	s_wait_alu 0xfffd
	v_add_co_ci_u32_e64 v15, null, s41, v13, vcc_lo
	global_load_b32 v12, v[12:13], off offset:64
	v_add_co_u32 v57, vcc_lo, v14, s40
	s_wait_alu 0xfffd
	v_add_co_ci_u32_e64 v58, null, s41, v15, vcc_lo
	global_load_b32 v13, v[14:15], off offset:64
	v_add_co_u32 v60, vcc_lo, v57, s40
	s_wait_alu 0xfffd
	v_add_co_ci_u32_e64 v61, null, s41, v58, vcc_lo
	s_clause 0x1
	global_load_b32 v14, v[57:58], off offset:64
	global_load_b32 v15, v[60:61], off offset:64
	v_add_co_u32 v57, vcc_lo, s60, v6
	s_wait_alu 0xfffd
	v_add_co_ci_u32_e64 v58, null, s61, v7, vcc_lo
	ds_load_b128 v[64:67], v18
	global_load_b32 v53, v[57:58], off
	s_wait_storecnt 0x0
	s_wait_loadcnt_dscnt 0x0
	s_barrier_signal -1
	s_barrier_wait -1
	global_inv scope:SCOPE_SE
	v_fma_f32 v55, v62, v64, 0
	s_delay_alu instid0(VALU_DEP_1) | instskip(NEXT) | instid1(VALU_DEP_1)
	v_fmac_f32_e32 v55, v59, v65
	v_fmac_f32_e32 v55, v56, v66
	s_delay_alu instid0(VALU_DEP_1) | instskip(SKIP_1) | instid1(VALU_DEP_1)
	v_fmac_f32_e32 v55, v54, v67
	v_fma_f32 v57, v12, v64, 0
	v_fmac_f32_e32 v57, v13, v65
	s_delay_alu instid0(VALU_DEP_1) | instskip(NEXT) | instid1(VALU_DEP_1)
	v_fmac_f32_e32 v57, v14, v66
	v_fmac_f32_e32 v57, v15, v67
	ds_store_2addr_b32 v46, v55, v57 offset1:16
	s_wait_loadcnt_dscnt 0x0
	s_barrier_signal -1
	s_barrier_wait -1
	global_inv scope:SCOPE_SE
	s_and_saveexec_b32 s52, s0
	s_cbranch_execz .LBB65_26
; %bb.25:                               ;   in Loop: Header=BB65_3 Depth=1
	ds_load_2addr_b32 v[57:58], v19 offset1:32
	ds_load_2addr_b32 v[60:61], v19 offset0:64 offset1:96
	ds_load_2addr_b32 v[64:65], v19 offset0:128 offset1:160
	v_add_co_u32 v10, vcc_lo, v10, v8
	s_wait_alu 0xfffd
	v_add_co_ci_u32_e64 v11, null, v11, v9, vcc_lo
	s_wait_dscnt 0x2
	v_add_f32_e32 v55, 0, v57
	s_delay_alu instid0(VALU_DEP_1) | instskip(SKIP_3) | instid1(VALU_DEP_1)
	v_add_f32_e32 v55, v55, v58
	ds_load_2addr_b32 v[57:58], v19 offset0:192 offset1:224
	s_wait_dscnt 0x2
	v_add_f32_e32 v55, v55, v60
	v_add_f32_e32 v55, v55, v61
	s_wait_dscnt 0x1
	s_delay_alu instid0(VALU_DEP_1) | instskip(NEXT) | instid1(VALU_DEP_1)
	v_add_f32_e32 v55, v55, v64
	v_add_f32_e32 v55, v55, v65
	s_wait_dscnt 0x0
	s_delay_alu instid0(VALU_DEP_1) | instskip(NEXT) | instid1(VALU_DEP_1)
	v_add_f32_e32 v55, v55, v57
	v_add_f32_e32 v55, v55, v58
	s_delay_alu instid0(VALU_DEP_1)
	v_mul_f32_e32 v55, v48, v55
	global_atomic_add_f32 v[10:11], v55, off scope:SCOPE_DEV
.LBB65_26:                              ;   in Loop: Header=BB65_3 Depth=1
	s_wait_alu 0xfffe
	s_or_b32 exec_lo, exec_lo, s52
	v_fmac_f32_e32 v51, v63, v56
	v_fmac_f32_e32 v52, v63, v59
	;; [unrolled: 1-line block ×4, first 2 shown]
	s_delay_alu instid0(VALU_DEP_4) | instskip(NEXT) | instid1(VALU_DEP_4)
	v_fmac_f32_e32 v51, v53, v14
	v_fmac_f32_e32 v52, v53, v13
	s_delay_alu instid0(VALU_DEP_4) | instskip(NEXT) | instid1(VALU_DEP_4)
	v_fmac_f32_e32 v49, v53, v15
	v_fmac_f32_e32 v50, v53, v12
.LBB65_27:                              ;   in Loop: Header=BB65_3 Depth=1
	ds_store_2addr_b32 v47, v50, v52 offset1:16
	ds_store_2addr_b32 v47, v51, v49 offset0:32 offset1:48
	s_wait_storecnt 0x0
	s_wait_loadcnt_dscnt 0x0
	s_barrier_signal -1
	s_barrier_wait -1
	global_inv scope:SCOPE_SE
	s_and_b32 exec_lo, exec_lo, s0
	s_cbranch_execz .LBB65_2
; %bb.28:                               ;   in Loop: Header=BB65_3 Depth=1
	ds_load_b32 v10, v20
	ds_load_b32 v11, v21
	;; [unrolled: 1-line block ×8, first 2 shown]
	s_wait_alu 0xfffe
	s_add_nc_u64 s[50:51], s[50:51], s[48:49]
	s_wait_dscnt 0x7
	v_add_f32_e32 v10, 0, v10
	s_wait_dscnt 0x6
	s_delay_alu instid0(VALU_DEP_1)
	v_add_f32_e32 v10, v10, v11
	ds_load_b32 v11, v28
	s_wait_dscnt 0x6
	v_add_f32_e32 v10, v10, v12
	ds_load_b32 v12, v29
	s_wait_dscnt 0x6
	;; [unrolled: 3-line block ×3, first 2 shown]
	v_add_f32_e32 v10, v10, v14
	s_wait_dscnt 0x5
	s_delay_alu instid0(VALU_DEP_1) | instskip(SKIP_1) | instid1(VALU_DEP_1)
	v_add_f32_e32 v10, v10, v15
	s_wait_dscnt 0x4
	v_add_f32_e32 v10, v10, v49
	s_wait_dscnt 0x3
	s_delay_alu instid0(VALU_DEP_1)
	v_add_f32_e32 v10, v10, v50
	ds_load_b32 v14, v31
	ds_load_b32 v15, v32
	;; [unrolled: 1-line block ×5, first 2 shown]
	s_wait_dscnt 0x7
	v_add_f32_e32 v10, v10, v11
	s_wait_dscnt 0x6
	s_delay_alu instid0(VALU_DEP_1) | instskip(SKIP_1) | instid1(VALU_DEP_1)
	v_add_f32_e32 v10, v10, v12
	s_wait_dscnt 0x5
	v_add_f32_e32 v10, v10, v13
	s_wait_dscnt 0x4
	s_delay_alu instid0(VALU_DEP_1) | instskip(SKIP_1) | instid1(VALU_DEP_1)
	v_add_f32_e32 v10, v10, v14
	;; [unrolled: 5-line block ×3, first 2 shown]
	s_wait_dscnt 0x1
	v_add_f32_e32 v10, v10, v50
	s_wait_dscnt 0x0
	s_delay_alu instid0(VALU_DEP_1)
	v_add_f32_e32 v12, v10, v51
	s_wait_alu 0xfffe
	v_add_co_u32 v10, vcc_lo, s50, v8
	s_wait_alu 0xfffd
	v_add_co_ci_u32_e64 v11, null, s51, v9, vcc_lo
	v_mul_f32_e32 v12, v48, v12
	global_atomic_add_f32 v[10:11], v12, off scope:SCOPE_DEV
	s_branch .LBB65_2
.LBB65_29:
	s_endpgm
	.section	.rodata,"a",@progbits
	.p2align	6, 0x0
	.amdhsa_kernel _ZL54rocblas_symv_kernel_upper_double_buffered_non_diagonalILi32ELi4ELi4E24rocblas_internal_val_ptrIfEPKfPfEvbiT2_lT3_lllS6_lllT4_llli
		.amdhsa_group_segment_fixed_size 4224
		.amdhsa_private_segment_fixed_size 0
		.amdhsa_kernarg_size 384
		.amdhsa_user_sgpr_count 4
		.amdhsa_user_sgpr_dispatch_ptr 1
		.amdhsa_user_sgpr_queue_ptr 0
		.amdhsa_user_sgpr_kernarg_segment_ptr 1
		.amdhsa_user_sgpr_dispatch_id 0
		.amdhsa_user_sgpr_private_segment_size 0
		.amdhsa_wavefront_size32 1
		.amdhsa_uses_dynamic_stack 0
		.amdhsa_enable_private_segment 0
		.amdhsa_system_sgpr_workgroup_id_x 1
		.amdhsa_system_sgpr_workgroup_id_y 1
		.amdhsa_system_sgpr_workgroup_id_z 1
		.amdhsa_system_sgpr_workgroup_info 0
		.amdhsa_system_vgpr_workitem_id 2
		.amdhsa_next_free_vgpr 84
		.amdhsa_next_free_sgpr 70
		.amdhsa_reserve_vcc 1
		.amdhsa_float_round_mode_32 0
		.amdhsa_float_round_mode_16_64 0
		.amdhsa_float_denorm_mode_32 3
		.amdhsa_float_denorm_mode_16_64 3
		.amdhsa_fp16_overflow 0
		.amdhsa_workgroup_processor_mode 1
		.amdhsa_memory_ordered 1
		.amdhsa_forward_progress 1
		.amdhsa_inst_pref_size 31
		.amdhsa_round_robin_scheduling 0
		.amdhsa_exception_fp_ieee_invalid_op 0
		.amdhsa_exception_fp_denorm_src 0
		.amdhsa_exception_fp_ieee_div_zero 0
		.amdhsa_exception_fp_ieee_overflow 0
		.amdhsa_exception_fp_ieee_underflow 0
		.amdhsa_exception_fp_ieee_inexact 0
		.amdhsa_exception_int_div_zero 0
	.end_amdhsa_kernel
	.section	.text._ZL54rocblas_symv_kernel_upper_double_buffered_non_diagonalILi32ELi4ELi4E24rocblas_internal_val_ptrIfEPKfPfEvbiT2_lT3_lllS6_lllT4_llli,"axG",@progbits,_ZL54rocblas_symv_kernel_upper_double_buffered_non_diagonalILi32ELi4ELi4E24rocblas_internal_val_ptrIfEPKfPfEvbiT2_lT3_lllS6_lllT4_llli,comdat
.Lfunc_end65:
	.size	_ZL54rocblas_symv_kernel_upper_double_buffered_non_diagonalILi32ELi4ELi4E24rocblas_internal_val_ptrIfEPKfPfEvbiT2_lT3_lllS6_lllT4_llli, .Lfunc_end65-_ZL54rocblas_symv_kernel_upper_double_buffered_non_diagonalILi32ELi4ELi4E24rocblas_internal_val_ptrIfEPKfPfEvbiT2_lT3_lllS6_lllT4_llli
                                        ; -- End function
	.set _ZL54rocblas_symv_kernel_upper_double_buffered_non_diagonalILi32ELi4ELi4E24rocblas_internal_val_ptrIfEPKfPfEvbiT2_lT3_lllS6_lllT4_llli.num_vgpr, 84
	.set _ZL54rocblas_symv_kernel_upper_double_buffered_non_diagonalILi32ELi4ELi4E24rocblas_internal_val_ptrIfEPKfPfEvbiT2_lT3_lllS6_lllT4_llli.num_agpr, 0
	.set _ZL54rocblas_symv_kernel_upper_double_buffered_non_diagonalILi32ELi4ELi4E24rocblas_internal_val_ptrIfEPKfPfEvbiT2_lT3_lllS6_lllT4_llli.numbered_sgpr, 70
	.set _ZL54rocblas_symv_kernel_upper_double_buffered_non_diagonalILi32ELi4ELi4E24rocblas_internal_val_ptrIfEPKfPfEvbiT2_lT3_lllS6_lllT4_llli.num_named_barrier, 0
	.set _ZL54rocblas_symv_kernel_upper_double_buffered_non_diagonalILi32ELi4ELi4E24rocblas_internal_val_ptrIfEPKfPfEvbiT2_lT3_lllS6_lllT4_llli.private_seg_size, 0
	.set _ZL54rocblas_symv_kernel_upper_double_buffered_non_diagonalILi32ELi4ELi4E24rocblas_internal_val_ptrIfEPKfPfEvbiT2_lT3_lllS6_lllT4_llli.uses_vcc, 1
	.set _ZL54rocblas_symv_kernel_upper_double_buffered_non_diagonalILi32ELi4ELi4E24rocblas_internal_val_ptrIfEPKfPfEvbiT2_lT3_lllS6_lllT4_llli.uses_flat_scratch, 0
	.set _ZL54rocblas_symv_kernel_upper_double_buffered_non_diagonalILi32ELi4ELi4E24rocblas_internal_val_ptrIfEPKfPfEvbiT2_lT3_lllS6_lllT4_llli.has_dyn_sized_stack, 0
	.set _ZL54rocblas_symv_kernel_upper_double_buffered_non_diagonalILi32ELi4ELi4E24rocblas_internal_val_ptrIfEPKfPfEvbiT2_lT3_lllS6_lllT4_llli.has_recursion, 0
	.set _ZL54rocblas_symv_kernel_upper_double_buffered_non_diagonalILi32ELi4ELi4E24rocblas_internal_val_ptrIfEPKfPfEvbiT2_lT3_lllS6_lllT4_llli.has_indirect_call, 0
	.section	.AMDGPU.csdata,"",@progbits
; Kernel info:
; codeLenInByte = 3852
; TotalNumSgprs: 72
; NumVgprs: 84
; ScratchSize: 0
; MemoryBound: 0
; FloatMode: 240
; IeeeMode: 1
; LDSByteSize: 4224 bytes/workgroup (compile time only)
; SGPRBlocks: 0
; VGPRBlocks: 10
; NumSGPRsForWavesPerEU: 72
; NumVGPRsForWavesPerEU: 84
; Occupancy: 16
; WaveLimiterHint : 1
; COMPUTE_PGM_RSRC2:SCRATCH_EN: 0
; COMPUTE_PGM_RSRC2:USER_SGPR: 4
; COMPUTE_PGM_RSRC2:TRAP_HANDLER: 0
; COMPUTE_PGM_RSRC2:TGID_X_EN: 1
; COMPUTE_PGM_RSRC2:TGID_Y_EN: 1
; COMPUTE_PGM_RSRC2:TGID_Z_EN: 1
; COMPUTE_PGM_RSRC2:TIDIG_COMP_CNT: 2
	.section	.text._ZL58rocblas_symv_kernel_upper_double_buffered_diagonal_genericILi32ELi8E24rocblas_internal_val_ptrIfEPKfPfEvbiT1_lT2_lllS6_lllS5_lT3_lllii,"axG",@progbits,_ZL58rocblas_symv_kernel_upper_double_buffered_diagonal_genericILi32ELi8E24rocblas_internal_val_ptrIfEPKfPfEvbiT1_lT2_lllS6_lllS5_lT3_lllii,comdat
	.globl	_ZL58rocblas_symv_kernel_upper_double_buffered_diagonal_genericILi32ELi8E24rocblas_internal_val_ptrIfEPKfPfEvbiT1_lT2_lllS6_lllS5_lT3_lllii ; -- Begin function _ZL58rocblas_symv_kernel_upper_double_buffered_diagonal_genericILi32ELi8E24rocblas_internal_val_ptrIfEPKfPfEvbiT1_lT2_lllS6_lllS5_lT3_lllii
	.p2align	8
	.type	_ZL58rocblas_symv_kernel_upper_double_buffered_diagonal_genericILi32ELi8E24rocblas_internal_val_ptrIfEPKfPfEvbiT1_lT2_lllS6_lllS5_lT3_lllii,@function
_ZL58rocblas_symv_kernel_upper_double_buffered_diagonal_genericILi32ELi8E24rocblas_internal_val_ptrIfEPKfPfEvbiT1_lT2_lllS6_lllS5_lT3_lllii: ; @_ZL58rocblas_symv_kernel_upper_double_buffered_diagonal_genericILi32ELi8E24rocblas_internal_val_ptrIfEPKfPfEvbiT1_lT2_lllS6_lllS5_lT3_lllii
; %bb.0:
	s_load_b64 s[0:1], s[0:1], 0x4
	s_load_b512 s[8:23], s[2:3], 0x8
	v_and_b32_e32 v1, 0x3ff, v0
	s_clause 0x1
	s_load_b256 s[24:31], s[2:3], 0x48
	s_load_b64 s[34:35], s[2:3], 0x88
	v_bfe_u32 v2, v0, 10, 10
	v_bfe_u32 v0, v0, 20, 10
	s_wait_kmcnt 0x0
	s_lshr_b32 s0, s0, 16
	v_mov_b32_e32 v4, s9
	s_mul_i32 s0, s0, s1
	v_mov_b32_e32 v5, s28
	v_mul_lo_u32 v3, s0, v1
	s_lshr_b32 s28, ttmp7, 16
	v_mov_b32_e32 v6, s29
	s_wait_alu 0xfffe
	s_cmp_ge_u32 s28, s35
	s_delay_alu instid0(VALU_DEP_2) | instskip(NEXT) | instid1(VALU_DEP_1)
	v_mad_u32_u24 v3, v2, s1, v3
	v_add_lshl_u32 v0, v3, v0, 3
	v_mov_b32_e32 v3, s8
	s_delay_alu instid0(VALU_DEP_2)
	v_add_nc_u32_e32 v7, 0x80, v0
	ds_store_2addr_stride64_b64 v7, v[5:6], v[3:4] offset0:12 offset1:16
	s_cbranch_scc1 .LBB66_51
; %bb.1:
	s_clause 0x1
	s_load_b32 s1, s[2:3], 0x0
	s_load_b128 s[4:7], s[2:3], 0x70
	v_mad_co_u64_u32 v[3:4], null, s16, v2, 0
	s_clause 0x1
	s_load_b64 s[38:39], s[2:3], 0x68
	s_load_b64 s[36:37], s[2:3], 0x80
	v_add_nc_u32_e32 v8, 0x2080, v0
	v_add_nc_u32_e32 v9, 0x1880, v0
	v_mad_co_u64_u32 v[13:14], null, s24, v1, 0
	v_lshlrev_b32_e32 v20, 7, v2
	v_mov_b32_e32 v0, v4
	v_lshl_add_u32 v19, v2, 5, v1
	v_cmp_gt_i32_e64 s33, s34, v1
	v_mov_b32_e32 v10, 0
	v_add_nc_u32_e32 v24, 0xc00, v20
	v_mad_co_u64_u32 v[4:5], null, s17, v2, v[0:1]
	v_cmp_eq_u32_e64 s0, 0, v2
	v_lshl_add_u32 v19, v19, 2, 0x1000
	s_mov_b32 s29, 0
	s_wait_kmcnt 0x0
	s_bitcmp1_b32 s1, 0
	v_mad_co_u64_u32 v[5:6], null, s6, v1, 0
	s_cselect_b32 s1, -1, 0
	s_lshl_b64 s[40:41], s[14:15], 2
	s_lshl_b64 s[14:15], s[22:23], 2
	s_lshl_b32 s22, ttmp9, 5
	s_lshl_b64 s[4:5], s[4:5], 2
	s_ashr_i32 s23, s22, 31
	v_dual_mov_b32 v0, v6 :: v_dual_lshlrev_b32 v23, 2, v1
	s_add_nc_u64 s[20:21], s[20:21], s[14:15]
	s_mul_u64 s[14:15], s[6:7], s[22:23]
	s_add_nc_u64 s[4:5], s[38:39], s[4:5]
	s_lshl_b64 s[14:15], s[14:15], 2
	v_mad_co_u64_u32 v[6:7], null, s7, v1, v[0:1]
	s_add_nc_u64 s[14:15], s[4:5], s[14:15]
	s_add_nc_u64 s[4:5], s[16:17], 1
	v_dual_mov_b32 v0, v14 :: v_dual_add_nc_u32 v15, 0x1800, v23
	s_mul_u64 s[4:5], s[4:5], s[22:23]
	v_lshlrev_b64_e32 v[3:4], 2, v[3:4]
	s_add_nc_u64 s[42:43], s[12:13], s[40:41]
	s_lshl_b64 s[44:45], s[4:5], 2
	v_mad_co_u64_u32 v[11:12], null, s25, v1, v[0:1]
	s_add_nc_u64 s[4:5], s[42:43], s[44:45]
	v_add_nc_u32_e32 v21, 0x400, v20
	v_add_co_u32 v0, vcc_lo, s4, v3
	s_delay_alu instid0(VALU_DEP_1) | instskip(SKIP_1) | instid1(VALU_DEP_3)
	v_add_co_ci_u32_e64 v7, null, s5, v4, vcc_lo
	v_mov_b32_e32 v14, v11
	v_add_co_u32 v11, vcc_lo, v0, v23
	v_sub_co_u32 v0, s39, v1, v2
	s_wait_alu 0xfffd
	v_add_co_ci_u32_e64 v12, null, 0, v7, vcc_lo
	s_mul_u64 s[4:5], s[24:25], s[22:23]
	v_sub_nc_u32_e32 v7, 0, v0
	v_lshlrev_b64_e32 v[13:14], 2, v[13:14]
	s_wait_alu 0xfffe
	s_lshl_b64 s[4:5], s[4:5], 2
	s_xor_b32 s9, s1, -1
	s_wait_alu 0xfffe
	s_add_nc_u64 s[6:7], s[20:21], s[4:5]
	v_max_i32_e32 v0, v0, v7
	v_cmp_le_i32_e64 s1, s34, v1
	v_mul_u32_u24_e32 v1, 0x7c, v1
	v_lshlrev_b32_e32 v7, 2, v2
	s_wait_alu 0xfffe
	v_add_co_u32 v13, vcc_lo, s6, v13
	s_add_nc_u64 s[22:23], s[40:41], s[44:45]
	s_wait_alu 0xfffd
	v_add_co_ci_u32_e64 v14, null, s7, v14, vcc_lo
	v_cmp_lt_u32_e64 s6, 16, v0
	v_cmp_lt_u32_e64 s7, 24, v0
	;; [unrolled: 1-line block ×3, first 2 shown]
	v_add_co_u32 v0, vcc_lo, s22, v3
	v_cmp_ne_u32_e64 s4, 0, v2
	v_add3_u32 v17, v23, v1, v7
	s_wait_alu 0xfffd
	v_add_co_ci_u32_e64 v1, null, s23, v4, vcc_lo
	v_add_co_u32 v0, vcc_lo, v0, v23
	s_lshl_b64 s[20:21], s[16:17], 5
	s_nor_b32 s24, s4, s33
	s_lshr_b32 s25, s34, 3
	s_cmp_gt_u32 s34, 7
	v_add_nc_u32_e32 v18, 0x1800, v7
	v_add_nc_u32_e32 v7, 0x800, v20
	s_wait_alu 0xfffd
	v_add_co_ci_u32_e64 v1, null, 0, v1, vcc_lo
	s_cselect_b32 s38, -1, 0
	s_and_b32 s5, s34, 7
	v_add_co_u32 v0, vcc_lo, s12, v0
	s_wait_alu 0xfffe
	v_cmp_gt_u32_e64 s5, s5, v2
	v_lshlrev_b64_e32 v[2:3], 2, v[5:6]
	v_add_nc_u32_e32 v16, v23, v20
	v_or_b32_e32 v20, 0x1000, v23
	s_wait_alu 0xfffd
	v_add_co_ci_u32_e64 v1, null, s13, v1, vcc_lo
	v_add_nc_u32_e32 v21, v23, v21
	v_add_nc_u32_e32 v22, v23, v7
	;; [unrolled: 1-line block ×3, first 2 shown]
	s_add_nc_u64 s[12:13], s[2:3], 0x90
	s_xor_b32 s34, s39, -1
	s_lshl_b64 s[22:23], s[18:19], 2
	s_branch .LBB66_4
.LBB66_2:                               ;   in Loop: Header=BB66_4 Depth=1
	s_wait_alu 0xfffe
	s_or_b32 exec_lo, exec_lo, s40
.LBB66_3:                               ;   in Loop: Header=BB66_4 Depth=1
	s_delay_alu instid0(SALU_CYCLE_1)
	s_or_b32 exec_lo, exec_lo, s39
	s_add_co_i32 s28, s28, 0x10000
	s_wait_alu 0xfffe
	s_cmp_lt_u32 s28, s35
	s_cbranch_scc0 .LBB66_51
.LBB66_4:                               ; =>This Loop Header: Depth=1
                                        ;     Child Loop BB66_34 Depth 2
	s_and_b32 vcc_lo, exec_lo, s9
	s_mov_b32 s2, -1
                                        ; implicit-def: $vgpr25
	s_wait_alu 0xfffe
	s_cbranch_vccnz .LBB66_45
; %bb.5:                                ;   in Loop: Header=BB66_4 Depth=1
	s_and_not1_b32 vcc_lo, exec_lo, s2
	s_wait_alu 0xfffe
	s_cbranch_vccz .LBB66_46
.LBB66_6:                               ;   in Loop: Header=BB66_4 Depth=1
	s_and_b32 vcc_lo, exec_lo, s9
	s_mov_b32 s2, -1
                                        ; implicit-def: $vgpr24
	s_wait_alu 0xfffe
	s_cbranch_vccnz .LBB66_47
.LBB66_7:                               ;   in Loop: Header=BB66_4 Depth=1
	s_and_not1_b32 vcc_lo, exec_lo, s2
	s_wait_alu 0xfffe
	s_cbranch_vccnz .LBB66_9
.LBB66_8:                               ;   in Loop: Header=BB66_4 Depth=1
	s_wait_loadcnt_dscnt 0x0
	ds_load_b32 v24, v9
.LBB66_9:                               ;   in Loop: Header=BB66_4 Depth=1
	s_wait_loadcnt_dscnt 0x0
	v_cmp_neq_f32_e32 vcc_lo, 0, v25
	v_cmp_neq_f32_e64 s2, 1.0, v24
	s_or_b32 s2, vcc_lo, s2
	s_wait_alu 0xfffe
	s_and_saveexec_b32 s39, s2
	s_cbranch_execz .LBB66_3
; %bb.10:                               ;   in Loop: Header=BB66_4 Depth=1
	s_mul_u64 s[2:3], s[36:37], s[28:29]
	s_mov_b32 s40, exec_lo
	s_wait_alu 0xfffe
	s_lshl_b64 s[2:3], s[2:3], 2
	s_wait_alu 0xfffe
	s_add_nc_u64 s[2:3], s[14:15], s[2:3]
	v_cmpx_eq_f32_e32 0, v25
	s_xor_b32 s40, exec_lo, s40
	s_cbranch_execz .LBB66_17
; %bb.11:                               ;   in Loop: Header=BB66_4 Depth=1
	s_and_saveexec_b32 s41, s0
	s_cbranch_execz .LBB66_16
; %bb.12:                               ;   in Loop: Header=BB66_4 Depth=1
	s_mov_b32 s43, s33
	s_and_saveexec_b32 s42, s1
	s_cbranch_execz .LBB66_14
; %bb.13:                               ;   in Loop: Header=BB66_4 Depth=1
	s_load_b32 s43, s[12:13], 0x0
	s_wait_kmcnt 0x0
	s_add_co_i32 s43, s43, -1
	s_wait_alu 0xfffe
	s_cmp_lt_u32 ttmp9, s43
	s_cselect_b32 s43, -1, 0
	s_and_not1_b32 s44, s33, exec_lo
	s_wait_alu 0xfffe
	s_and_b32 s43, s43, exec_lo
	s_wait_alu 0xfffe
	s_or_b32 s43, s44, s43
.LBB66_14:                              ;   in Loop: Header=BB66_4 Depth=1
	s_wait_alu 0xfffe
	s_or_b32 exec_lo, exec_lo, s42
	s_delay_alu instid0(SALU_CYCLE_1)
	s_and_b32 exec_lo, exec_lo, s43
	s_cbranch_execz .LBB66_16
; %bb.15:                               ;   in Loop: Header=BB66_4 Depth=1
	v_add_co_u32 v4, vcc_lo, s2, v2
	s_wait_alu 0xfffd
	v_add_co_ci_u32_e64 v5, null, s3, v3, vcc_lo
	global_load_b32 v6, v[4:5], off
	s_wait_loadcnt 0x0
	v_mul_f32_e32 v6, v24, v6
	global_store_b32 v[4:5], v6, off
.LBB66_16:                              ;   in Loop: Header=BB66_4 Depth=1
	s_wait_alu 0xfffe
	s_or_b32 exec_lo, exec_lo, s41
                                        ; implicit-def: $vgpr24
                                        ; implicit-def: $vgpr25
.LBB66_17:                              ;   in Loop: Header=BB66_4 Depth=1
	s_wait_alu 0xfffe
	s_and_not1_saveexec_b32 s40, s40
	s_cbranch_execz .LBB66_3
; %bb.18:                               ;   in Loop: Header=BB66_4 Depth=1
	v_mov_b32_e32 v26, 0
	s_and_saveexec_b32 s40, s0
	s_cbranch_execz .LBB66_26
; %bb.19:                               ;   in Loop: Header=BB66_4 Depth=1
	s_mov_b32 s42, s33
	s_and_saveexec_b32 s41, s1
	s_cbranch_execz .LBB66_21
; %bb.20:                               ;   in Loop: Header=BB66_4 Depth=1
	s_load_b32 s42, s[12:13], 0x0
	s_wait_kmcnt 0x0
	s_add_co_i32 s42, s42, -1
	s_wait_alu 0xfffe
	s_cmp_lt_u32 ttmp9, s42
	s_cselect_b32 s42, -1, 0
	s_and_not1_b32 s43, s33, exec_lo
	s_wait_alu 0xfffe
	s_and_b32 s42, s42, exec_lo
	s_wait_alu 0xfffe
	s_or_b32 s42, s43, s42
.LBB66_21:                              ;   in Loop: Header=BB66_4 Depth=1
	s_wait_alu 0xfffe
	s_or_b32 exec_lo, exec_lo, s41
	v_mov_b32_e32 v26, 0
	s_and_saveexec_b32 s41, s42
	s_cbranch_execz .LBB66_25
; %bb.22:                               ;   in Loop: Header=BB66_4 Depth=1
	s_mul_u64 s[42:43], s[26:27], s[28:29]
	v_mov_b32_e32 v26, 0
	s_wait_alu 0xfffe
	s_lshl_b64 s[42:43], s[42:43], 2
	s_wait_alu 0xfffe
	v_add_co_u32 v4, vcc_lo, v13, s42
	s_wait_alu 0xfffd
	v_add_co_ci_u32_e64 v5, null, s43, v14, vcc_lo
	s_mov_b32 s42, exec_lo
	global_load_b32 v4, v[4:5], off
	s_wait_loadcnt 0x0
	ds_store_b32 v15, v4
	v_cmpx_neq_f32_e32 0, v24
	s_cbranch_execz .LBB66_24
; %bb.23:                               ;   in Loop: Header=BB66_4 Depth=1
	v_add_co_u32 v4, vcc_lo, s2, v2
	s_wait_alu 0xfffd
	v_add_co_ci_u32_e64 v5, null, s3, v3, vcc_lo
	global_load_b32 v4, v[4:5], off
	s_wait_loadcnt 0x0
	v_mul_f32_e32 v26, v24, v4
.LBB66_24:                              ;   in Loop: Header=BB66_4 Depth=1
	s_wait_alu 0xfffe
	s_or_b32 exec_lo, exec_lo, s42
.LBB66_25:                              ;   in Loop: Header=BB66_4 Depth=1
	s_wait_alu 0xfffe
	s_or_b32 exec_lo, exec_lo, s41
.LBB66_26:                              ;   in Loop: Header=BB66_4 Depth=1
	s_wait_alu 0xfffe
	s_or_b32 exec_lo, exec_lo, s40
	s_load_b32 s42, s[12:13], 0x0
	s_mul_u64 s[40:41], s[18:19], s[28:29]
	s_wait_alu 0xfffe
	s_lshl_b64 s[40:41], s[40:41], 2
	s_wait_alu 0xfffe
	v_add_co_u32 v4, vcc_lo, v11, s40
	s_wait_alu 0xfffd
	v_add_co_ci_u32_e64 v5, null, s41, v12, vcc_lo
	s_mov_b32 s41, -1
	s_wait_kmcnt 0x0
	s_add_co_i32 s40, s42, -1
	s_wait_alu 0xfffe
	s_cmp_eq_u32 ttmp9, s40
	s_cbranch_scc1 .LBB66_28
; %bb.27:                               ;   in Loop: Header=BB66_4 Depth=1
	v_add_co_u32 v6, vcc_lo, v4, s20
	s_wait_alu 0xfffd
	v_add_co_ci_u32_e64 v7, null, s21, v5, vcc_lo
	s_mov_b32 s41, 0
	v_add_co_u32 v27, vcc_lo, v6, s20
	s_wait_alu 0xfffd
	v_add_co_ci_u32_e64 v28, null, s21, v7, vcc_lo
	s_delay_alu instid0(VALU_DEP_2) | instskip(SKIP_1) | instid1(VALU_DEP_2)
	v_add_co_u32 v29, vcc_lo, v27, s20
	s_wait_alu 0xfffd
	v_add_co_ci_u32_e64 v30, null, s21, v28, vcc_lo
	s_clause 0x3
	global_load_b32 v31, v[4:5], off
	global_load_b32 v6, v[6:7], off
	;; [unrolled: 1-line block ×4, first 2 shown]
	s_wait_loadcnt 0x2
	ds_store_2addr_stride64_b32 v16, v31, v6 offset1:4
	s_wait_loadcnt 0x0
	ds_store_2addr_stride64_b32 v16, v7, v27 offset0:8 offset1:12
.LBB66_28:                              ;   in Loop: Header=BB66_4 Depth=1
	s_wait_alu 0xfffe
	s_and_not1_b32 vcc_lo, exec_lo, s41
	s_wait_alu 0xfffe
	s_cbranch_vccnz .LBB66_38
; %bb.29:                               ;   in Loop: Header=BB66_4 Depth=1
	ds_store_2addr_stride64_b32 v16, v10, v10 offset1:4
	ds_store_2addr_stride64_b32 v16, v10, v10 offset0:8 offset1:12
	s_and_saveexec_b32 s41, s24
; %bb.30:                               ;   in Loop: Header=BB66_4 Depth=1
	ds_store_b32 v15, v10
; %bb.31:                               ;   in Loop: Header=BB66_4 Depth=1
	s_wait_alu 0xfffe
	s_or_b32 exec_lo, exec_lo, s41
	s_and_saveexec_b32 s41, s33
	s_cbranch_execz .LBB66_37
; %bb.32:                               ;   in Loop: Header=BB66_4 Depth=1
	s_and_not1_b32 vcc_lo, exec_lo, s38
	s_mov_b32 s42, 0
	s_wait_alu 0xfffe
	s_cbranch_vccnz .LBB66_35
; %bb.33:                               ;   in Loop: Header=BB66_4 Depth=1
	v_mad_co_u64_u32 v[6:7], null, s22, s28, v[0:1]
	s_mov_b32 s43, s25
	v_mad_co_u64_u32 v[27:28], null, s23, s28, v[7:8]
	s_delay_alu instid0(VALU_DEP_1)
	v_mov_b32_e32 v7, v27
	v_mov_b32_e32 v27, v16
.LBB66_34:                              ;   Parent Loop BB66_4 Depth=1
                                        ; =>  This Inner Loop Header: Depth=2
	global_load_b32 v28, v[6:7], off
	v_add_co_u32 v6, vcc_lo, v6, s20
	s_wait_alu 0xfffd
	v_add_co_ci_u32_e64 v7, null, s21, v7, vcc_lo
	s_wait_alu 0xfffe
	s_add_co_i32 s43, s43, -1
	s_mov_b32 s42, s25
	s_wait_alu 0xfffe
	s_cmp_lg_u32 s43, 0
	s_wait_loadcnt 0x0
	ds_store_b32 v27, v28
	v_add_nc_u32_e32 v27, 0x400, v27
	s_cbranch_scc1 .LBB66_34
.LBB66_35:                              ;   in Loop: Header=BB66_4 Depth=1
	s_and_b32 exec_lo, exec_lo, s5
	s_cbranch_execz .LBB66_37
; %bb.36:                               ;   in Loop: Header=BB66_4 Depth=1
	s_lshl_b32 s44, s42, 3
	s_mov_b32 s45, s29
	s_wait_alu 0xfffe
	s_mul_u64 s[44:45], s[16:17], s[44:45]
	s_wait_alu 0xfffe
	s_lshl_b64 s[44:45], s[44:45], 2
	s_wait_alu 0xfffe
	v_add_co_u32 v4, vcc_lo, v4, s44
	s_wait_alu 0xfffd
	v_add_co_ci_u32_e64 v5, null, s45, v5, vcc_lo
	global_load_b32 v4, v[4:5], off
	v_lshl_add_u32 v5, s42, 10, v16
	s_wait_loadcnt 0x0
	ds_store_b32 v5, v4
.LBB66_37:                              ;   in Loop: Header=BB66_4 Depth=1
	s_wait_alu 0xfffe
	s_or_b32 exec_lo, exec_lo, s41
.LBB66_38:                              ;   in Loop: Header=BB66_4 Depth=1
	s_wait_storecnt_dscnt 0x0
	s_barrier_signal -1
	s_barrier_wait -1
	global_inv scope:SCOPE_SE
	s_and_saveexec_b32 s41, s6
	s_cbranch_execnz .LBB66_48
; %bb.39:                               ;   in Loop: Header=BB66_4 Depth=1
	s_wait_alu 0xfffe
	s_or_b32 exec_lo, exec_lo, s41
	s_and_saveexec_b32 s41, s7
	s_cbranch_execnz .LBB66_49
.LBB66_40:                              ;   in Loop: Header=BB66_4 Depth=1
	s_wait_alu 0xfffe
	s_or_b32 exec_lo, exec_lo, s41
	s_and_saveexec_b32 s41, s34
	s_cbranch_execnz .LBB66_50
.LBB66_41:                              ;   in Loop: Header=BB66_4 Depth=1
	s_wait_alu 0xfffe
	s_or_b32 exec_lo, exec_lo, s41
	s_and_saveexec_b32 s41, s8
	s_cbranch_execz .LBB66_43
.LBB66_42:                              ;   in Loop: Header=BB66_4 Depth=1
	ds_load_b32 v4, v17 offset:32
	s_wait_dscnt 0x0
	ds_store_b32 v21, v4
.LBB66_43:                              ;   in Loop: Header=BB66_4 Depth=1
	s_wait_alu 0xfffe
	s_or_b32 exec_lo, exec_lo, s41
	s_wait_loadcnt_dscnt 0x0
	s_barrier_signal -1
	s_barrier_wait -1
	global_inv scope:SCOPE_SE
	ds_load_2addr_b32 v[4:5], v18 offset1:8
	ds_load_b32 v27, v16
	ds_load_b32 v28, v21
	ds_load_2addr_b32 v[6:7], v18 offset0:16 offset1:24
	ds_load_b32 v29, v22
	ds_load_b32 v30, v23
	s_cmp_ge_u32 ttmp9, s40
	s_cselect_b32 s40, -1, 0
	s_wait_alu 0xfffe
	s_and_b32 s40, s1, s40
	s_wait_alu 0xfffe
	s_nor_b32 s41, s40, s4
	s_wait_dscnt 0x4
	v_fma_f32 v4, v27, v4, 0
	s_wait_dscnt 0x3
	s_delay_alu instid0(VALU_DEP_1) | instskip(SKIP_1) | instid1(VALU_DEP_1)
	v_fmac_f32_e32 v4, v28, v5
	s_wait_dscnt 0x1
	v_fmac_f32_e32 v4, v29, v6
	s_wait_dscnt 0x0
	s_delay_alu instid0(VALU_DEP_1)
	v_fmac_f32_e32 v4, v30, v7
	ds_store_b32 v19, v4
	s_wait_loadcnt_dscnt 0x0
	s_barrier_signal -1
	s_barrier_wait -1
	global_inv scope:SCOPE_SE
	s_wait_alu 0xfffe
	s_and_saveexec_b32 s40, s41
	s_cbranch_execz .LBB66_2
; %bb.44:                               ;   in Loop: Header=BB66_4 Depth=1
	ds_load_2addr_b32 v[4:5], v20 offset1:32
	ds_load_2addr_b32 v[6:7], v20 offset0:64 offset1:96
	ds_load_2addr_b32 v[27:28], v20 offset0:128 offset1:160
	v_cmp_neq_f32_e32 vcc_lo, 0, v24
	s_wait_dscnt 0x2
	v_add_f32_e32 v4, 0, v4
	s_delay_alu instid0(VALU_DEP_1) | instskip(SKIP_3) | instid1(VALU_DEP_1)
	v_add_f32_e32 v29, v4, v5
	ds_load_2addr_b32 v[4:5], v20 offset0:192 offset1:224
	s_wait_dscnt 0x2
	v_add_f32_e32 v6, v29, v6
	v_add_f32_e32 v6, v6, v7
	s_wait_dscnt 0x1
	s_delay_alu instid0(VALU_DEP_1) | instskip(NEXT) | instid1(VALU_DEP_1)
	v_add_f32_e32 v6, v6, v27
	v_add_f32_e32 v6, v6, v28
	s_wait_dscnt 0x0
	s_delay_alu instid0(VALU_DEP_1) | instskip(NEXT) | instid1(VALU_DEP_1)
	v_add_f32_e32 v4, v6, v4
	v_add_f32_e32 v4, v4, v5
	s_delay_alu instid0(VALU_DEP_1) | instskip(SKIP_2) | instid1(VALU_DEP_1)
	v_mul_f32_e32 v5, v25, v4
	v_fmac_f32_e32 v26, v25, v4
	s_wait_alu 0xfffd
	v_cndmask_b32_e32 v6, v5, v26, vcc_lo
	v_add_co_u32 v4, vcc_lo, s2, v2
	s_wait_alu 0xfffd
	v_add_co_ci_u32_e64 v5, null, s3, v3, vcc_lo
	global_store_b32 v[4:5], v6, off
	s_branch .LBB66_2
.LBB66_45:                              ;   in Loop: Header=BB66_4 Depth=1
	ds_load_b64 v[4:5], v8
	s_mul_u64 s[2:3], s[10:11], s[28:29]
	s_wait_alu 0xfffe
	s_lshl_b64 s[2:3], s[2:3], 2
	s_wait_dscnt 0x0
	s_wait_alu 0xfffe
	v_add_co_u32 v4, vcc_lo, v4, s2
	s_wait_alu 0xfffd
	v_add_co_ci_u32_e64 v5, null, s3, v5, vcc_lo
	flat_load_b32 v25, v[4:5]
	s_cbranch_execnz .LBB66_6
.LBB66_46:                              ;   in Loop: Header=BB66_4 Depth=1
	s_wait_loadcnt_dscnt 0x0
	ds_load_b32 v25, v8
	s_and_b32 vcc_lo, exec_lo, s9
	s_mov_b32 s2, -1
                                        ; implicit-def: $vgpr24
	s_wait_alu 0xfffe
	s_cbranch_vccz .LBB66_7
.LBB66_47:                              ;   in Loop: Header=BB66_4 Depth=1
	ds_load_b64 v[4:5], v9
	s_mul_u64 s[2:3], s[30:31], s[28:29]
	s_wait_alu 0xfffe
	s_lshl_b64 s[2:3], s[2:3], 2
	s_wait_dscnt 0x0
	s_wait_alu 0xfffe
	v_add_co_u32 v4, vcc_lo, v4, s2
	s_wait_alu 0xfffd
	v_add_co_ci_u32_e64 v5, null, s3, v5, vcc_lo
	flat_load_b32 v24, v[4:5]
	s_cbranch_execz .LBB66_8
	s_branch .LBB66_9
.LBB66_48:                              ;   in Loop: Header=BB66_4 Depth=1
	ds_load_b32 v4, v17 offset:64
	s_wait_dscnt 0x0
	ds_store_b32 v16, v4 offset:2048
	s_wait_alu 0xfffe
	s_or_b32 exec_lo, exec_lo, s41
	s_and_saveexec_b32 s41, s7
	s_cbranch_execz .LBB66_40
.LBB66_49:                              ;   in Loop: Header=BB66_4 Depth=1
	ds_load_b32 v4, v17 offset:96
	s_wait_dscnt 0x0
	ds_store_b32 v16, v4 offset:3072
	s_wait_alu 0xfffe
	s_or_b32 exec_lo, exec_lo, s41
	s_and_saveexec_b32 s41, s34
	s_cbranch_execz .LBB66_41
.LBB66_50:                              ;   in Loop: Header=BB66_4 Depth=1
	ds_load_b32 v4, v17
	s_wait_dscnt 0x0
	ds_store_b32 v16, v4
	s_wait_alu 0xfffe
	s_or_b32 exec_lo, exec_lo, s41
	s_and_saveexec_b32 s41, s8
	s_cbranch_execnz .LBB66_42
	s_branch .LBB66_43
.LBB66_51:
	s_endpgm
	.section	.rodata,"a",@progbits
	.p2align	6, 0x0
	.amdhsa_kernel _ZL58rocblas_symv_kernel_upper_double_buffered_diagonal_genericILi32ELi8E24rocblas_internal_val_ptrIfEPKfPfEvbiT1_lT2_lllS6_lllS5_lT3_lllii
		.amdhsa_group_segment_fixed_size 10368
		.amdhsa_private_segment_fixed_size 0
		.amdhsa_kernarg_size 400
		.amdhsa_user_sgpr_count 4
		.amdhsa_user_sgpr_dispatch_ptr 1
		.amdhsa_user_sgpr_queue_ptr 0
		.amdhsa_user_sgpr_kernarg_segment_ptr 1
		.amdhsa_user_sgpr_dispatch_id 0
		.amdhsa_user_sgpr_private_segment_size 0
		.amdhsa_wavefront_size32 1
		.amdhsa_uses_dynamic_stack 0
		.amdhsa_enable_private_segment 0
		.amdhsa_system_sgpr_workgroup_id_x 1
		.amdhsa_system_sgpr_workgroup_id_y 0
		.amdhsa_system_sgpr_workgroup_id_z 1
		.amdhsa_system_sgpr_workgroup_info 0
		.amdhsa_system_vgpr_workitem_id 2
		.amdhsa_next_free_vgpr 32
		.amdhsa_next_free_sgpr 46
		.amdhsa_reserve_vcc 1
		.amdhsa_float_round_mode_32 0
		.amdhsa_float_round_mode_16_64 0
		.amdhsa_float_denorm_mode_32 3
		.amdhsa_float_denorm_mode_16_64 3
		.amdhsa_fp16_overflow 0
		.amdhsa_workgroup_processor_mode 1
		.amdhsa_memory_ordered 1
		.amdhsa_forward_progress 1
		.amdhsa_inst_pref_size 20
		.amdhsa_round_robin_scheduling 0
		.amdhsa_exception_fp_ieee_invalid_op 0
		.amdhsa_exception_fp_denorm_src 0
		.amdhsa_exception_fp_ieee_div_zero 0
		.amdhsa_exception_fp_ieee_overflow 0
		.amdhsa_exception_fp_ieee_underflow 0
		.amdhsa_exception_fp_ieee_inexact 0
		.amdhsa_exception_int_div_zero 0
	.end_amdhsa_kernel
	.section	.text._ZL58rocblas_symv_kernel_upper_double_buffered_diagonal_genericILi32ELi8E24rocblas_internal_val_ptrIfEPKfPfEvbiT1_lT2_lllS6_lllS5_lT3_lllii,"axG",@progbits,_ZL58rocblas_symv_kernel_upper_double_buffered_diagonal_genericILi32ELi8E24rocblas_internal_val_ptrIfEPKfPfEvbiT1_lT2_lllS6_lllS5_lT3_lllii,comdat
.Lfunc_end66:
	.size	_ZL58rocblas_symv_kernel_upper_double_buffered_diagonal_genericILi32ELi8E24rocblas_internal_val_ptrIfEPKfPfEvbiT1_lT2_lllS6_lllS5_lT3_lllii, .Lfunc_end66-_ZL58rocblas_symv_kernel_upper_double_buffered_diagonal_genericILi32ELi8E24rocblas_internal_val_ptrIfEPKfPfEvbiT1_lT2_lllS6_lllS5_lT3_lllii
                                        ; -- End function
	.set _ZL58rocblas_symv_kernel_upper_double_buffered_diagonal_genericILi32ELi8E24rocblas_internal_val_ptrIfEPKfPfEvbiT1_lT2_lllS6_lllS5_lT3_lllii.num_vgpr, 32
	.set _ZL58rocblas_symv_kernel_upper_double_buffered_diagonal_genericILi32ELi8E24rocblas_internal_val_ptrIfEPKfPfEvbiT1_lT2_lllS6_lllS5_lT3_lllii.num_agpr, 0
	.set _ZL58rocblas_symv_kernel_upper_double_buffered_diagonal_genericILi32ELi8E24rocblas_internal_val_ptrIfEPKfPfEvbiT1_lT2_lllS6_lllS5_lT3_lllii.numbered_sgpr, 46
	.set _ZL58rocblas_symv_kernel_upper_double_buffered_diagonal_genericILi32ELi8E24rocblas_internal_val_ptrIfEPKfPfEvbiT1_lT2_lllS6_lllS5_lT3_lllii.num_named_barrier, 0
	.set _ZL58rocblas_symv_kernel_upper_double_buffered_diagonal_genericILi32ELi8E24rocblas_internal_val_ptrIfEPKfPfEvbiT1_lT2_lllS6_lllS5_lT3_lllii.private_seg_size, 0
	.set _ZL58rocblas_symv_kernel_upper_double_buffered_diagonal_genericILi32ELi8E24rocblas_internal_val_ptrIfEPKfPfEvbiT1_lT2_lllS6_lllS5_lT3_lllii.uses_vcc, 1
	.set _ZL58rocblas_symv_kernel_upper_double_buffered_diagonal_genericILi32ELi8E24rocblas_internal_val_ptrIfEPKfPfEvbiT1_lT2_lllS6_lllS5_lT3_lllii.uses_flat_scratch, 0
	.set _ZL58rocblas_symv_kernel_upper_double_buffered_diagonal_genericILi32ELi8E24rocblas_internal_val_ptrIfEPKfPfEvbiT1_lT2_lllS6_lllS5_lT3_lllii.has_dyn_sized_stack, 0
	.set _ZL58rocblas_symv_kernel_upper_double_buffered_diagonal_genericILi32ELi8E24rocblas_internal_val_ptrIfEPKfPfEvbiT1_lT2_lllS6_lllS5_lT3_lllii.has_recursion, 0
	.set _ZL58rocblas_symv_kernel_upper_double_buffered_diagonal_genericILi32ELi8E24rocblas_internal_val_ptrIfEPKfPfEvbiT1_lT2_lllS6_lllS5_lT3_lllii.has_indirect_call, 0
	.section	.AMDGPU.csdata,"",@progbits
; Kernel info:
; codeLenInByte = 2532
; TotalNumSgprs: 48
; NumVgprs: 32
; ScratchSize: 0
; MemoryBound: 0
; FloatMode: 240
; IeeeMode: 1
; LDSByteSize: 10368 bytes/workgroup (compile time only)
; SGPRBlocks: 0
; VGPRBlocks: 3
; NumSGPRsForWavesPerEU: 48
; NumVGPRsForWavesPerEU: 32
; Occupancy: 16
; WaveLimiterHint : 1
; COMPUTE_PGM_RSRC2:SCRATCH_EN: 0
; COMPUTE_PGM_RSRC2:USER_SGPR: 4
; COMPUTE_PGM_RSRC2:TRAP_HANDLER: 0
; COMPUTE_PGM_RSRC2:TGID_X_EN: 1
; COMPUTE_PGM_RSRC2:TGID_Y_EN: 0
; COMPUTE_PGM_RSRC2:TGID_Z_EN: 1
; COMPUTE_PGM_RSRC2:TIDIG_COMP_CNT: 2
	.section	.text._ZL62rocblas_symv_kernel_upper_double_buffered_non_diagonal_genericILi32ELi8ELi2ELi0E24rocblas_internal_val_ptrIfEPKfPfEvbiT3_lT4_lllS6_lllT5_lllii,"axG",@progbits,_ZL62rocblas_symv_kernel_upper_double_buffered_non_diagonal_genericILi32ELi8ELi2ELi0E24rocblas_internal_val_ptrIfEPKfPfEvbiT3_lT4_lllS6_lllT5_lllii,comdat
	.globl	_ZL62rocblas_symv_kernel_upper_double_buffered_non_diagonal_genericILi32ELi8ELi2ELi0E24rocblas_internal_val_ptrIfEPKfPfEvbiT3_lT4_lllS6_lllT5_lllii ; -- Begin function _ZL62rocblas_symv_kernel_upper_double_buffered_non_diagonal_genericILi32ELi8ELi2ELi0E24rocblas_internal_val_ptrIfEPKfPfEvbiT3_lT4_lllS6_lllT5_lllii
	.p2align	8
	.type	_ZL62rocblas_symv_kernel_upper_double_buffered_non_diagonal_genericILi32ELi8ELi2ELi0E24rocblas_internal_val_ptrIfEPKfPfEvbiT3_lT4_lllS6_lllT5_lllii,@function
_ZL62rocblas_symv_kernel_upper_double_buffered_non_diagonal_genericILi32ELi8ELi2ELi0E24rocblas_internal_val_ptrIfEPKfPfEvbiT3_lT4_lllS6_lllT5_lllii: ; @_ZL62rocblas_symv_kernel_upper_double_buffered_non_diagonal_genericILi32ELi8ELi2ELi0E24rocblas_internal_val_ptrIfEPKfPfEvbiT3_lT4_lllS6_lllT5_lllii
; %bb.0:
	s_load_b64 s[0:1], s[0:1], 0x4
	s_load_b512 s[4:19], s[2:3], 0x8
	v_and_b32_e32 v1, 0x3ff, v0
	s_load_b64 s[28:29], s[2:3], 0x78
	v_bfe_u32 v2, v0, 10, 10
	v_bfe_u32 v0, v0, 20, 10
	s_wait_kmcnt 0x0
	s_lshr_b32 s0, s0, 16
	v_mov_b32_e32 v4, s5
	s_mul_i32 s0, s0, s1
	s_delay_alu instid0(SALU_CYCLE_1) | instskip(NEXT) | instid1(VALU_DEP_1)
	v_mul_lo_u32 v3, s0, v1
	v_mad_u32_u24 v5, v2, s1, v3
	v_mov_b32_e32 v3, s4
	s_lshr_b32 s4, ttmp7, 16
	s_wait_alu 0xfffe
	s_cmp_ge_u32 s4, s29
	v_add_lshl_u32 v0, v5, v0, 3
	ds_store_b64 v0, v[3:4] offset:4224
	s_cbranch_scc1 .LBB67_45
; %bb.1:
	s_clause 0x3
	s_load_b32 s5, s[2:3], 0x0
	s_load_b128 s[20:23], s[2:3], 0x48
	s_load_b128 s[24:27], s[2:3], 0x60
	s_load_b64 s[0:1], s[2:3], 0x58
	v_lshl_add_u32 v4, v2, 5, v1
	v_add_nc_u32_e32 v24, 0x1080, v0
	v_dual_mov_b32 v0, 0 :: v_dual_and_b32 v3, 15, v1
	v_lshlrev_b32_e32 v25, 2, v1
	s_delay_alu instid0(VALU_DEP_4) | instskip(SKIP_1) | instid1(VALU_DEP_4)
	v_lshrrev_b32_e32 v19, 4, v4
	v_add_nc_u32_e32 v22, 14, v1
	v_or_b32_e32 v18, 16, v3
	v_mov_b32_e32 v4, v0
	v_lshlrev_b32_e32 v20, 2, v3
	v_add_nc_u32_e32 v23, -1, v1
	s_load_b64 s[34:35], s[2:3], 0x70
	v_or_b32_e32 v26, 0x1000, v25
	v_add_nc_u32_e32 v53, 0x400, v25
	v_or_b32_e32 v50, 64, v20
	v_or_b32_e32 v51, 0x80, v20
	s_wait_kmcnt 0x0
	s_bitcmp1_b32 s5, 0
	v_mad_co_u64_u32 v[5:6], null, s20, v1, 0
	s_cselect_b32 s5, -1, 0
	s_lshl_b32 s42, ttmp9, 5
	s_and_b32 s33, ttmp7, 0xffff
	s_ashr_i32 s43, s42, 31
	s_lshl_b64 s[24:25], s[24:25], 2
	s_mul_u64 s[36:37], s[12:13], s[42:43]
	s_lshl_b64 s[44:45], s[10:11], 2
	s_lshl_b64 s[18:19], s[18:19], 2
	s_wait_alu 0xfffe
	s_xor_b32 s66, s5, -1
	s_lshl_b32 s67, s33, 5
	s_lshl_b64 s[46:47], s[36:37], 2
	s_add_nc_u64 s[24:25], s[0:1], s[24:25]
	s_add_nc_u64 s[0:1], s[8:9], s[44:45]
	s_wait_alu 0xfffe
	s_cmp_lg_u32 ttmp9, 0
	s_add_nc_u64 s[36:37], s[0:1], s[46:47]
	s_cselect_b32 s68, -1, 0
	s_lshr_b32 s0, s28, 31
	v_lshlrev_b32_e32 v15, 1, v19
	s_wait_alu 0xfffe
	s_add_co_i32 s0, s28, s0
	v_mad_co_u64_u32 v[9:10], null, s20, v3, 0
	s_wait_alu 0xfffe
	s_ashr_i32 s31, s0, 1
	v_cmp_eq_u32_e64 s0, 0, v2
	v_mov_b32_e32 v2, v6
	v_mad_co_u64_u32 v[11:12], null, s20, v18, 0
	v_mad_co_u64_u32 v[13:14], null, s26, v1, 0
	s_delay_alu instid0(VALU_DEP_3)
	v_mad_co_u64_u32 v[6:7], null, s21, v1, v[2:3]
	v_mad_co_u64_u32 v[7:8], null, s12, v15, v[3:4]
	v_dual_mov_b32 v4, v10 :: v_dual_lshlrev_b32 v21, 7, v19
	v_cmp_gt_i32_e64 s1, s28, v1
	v_cmp_gt_i32_e64 s28, s31, v19
	s_mul_u64 s[48:49], s[20:21], s[42:43]
	s_mul_u64 s[50:51], s[26:27], s[42:43]
	v_mov_b32_e32 v2, v8
	v_or_b32_e32 v8, 0x800, v20
	s_lshl_b64 s[42:43], s[42:43], 2
	v_or_b32_e32 v27, v20, v21
	v_add_nc_u32_e32 v52, v20, v21
	v_mad_co_u64_u32 v[15:16], null, s13, v15, v[2:3]
	v_mad_co_u64_u32 v[16:17], null, s21, v3, v[4:5]
	v_lshlrev_b32_e32 v4, 3, v19
	v_mov_b32_e32 v2, v12
	v_add_nc_u32_e32 v28, v8, v21
	v_dual_mov_b32 v8, v15 :: v_dual_add_nc_u32 v19, 6, v1
	s_delay_alu instid0(VALU_DEP_4) | instskip(NEXT) | instid1(VALU_DEP_4)
	v_add_nc_u32_e32 v29, 0x1000, v4
	v_mad_co_u64_u32 v[17:18], null, s21, v18, v[2:3]
	v_mov_b32_e32 v10, v16
	v_add_nc_u32_e32 v16, 2, v1
	v_add_nc_u32_e32 v18, 4, v1
	v_add_co_u32 v4, s31, v4, s42
	s_mov_b32 s5, 0
	v_dual_mov_b32 v12, v17 :: v_dual_add_nc_u32 v17, 3, v1
	v_mov_b32_e32 v2, v14
	v_and_b32_e32 v18, 15, v18
	s_mov_b32 s30, ttmp9
	s_add_nc_u64 s[2:3], s[2:3], 0x80
	v_and_b32_e32 v17, 15, v17
	v_mad_co_u64_u32 v[14:15], null, s27, v1, v[2:3]
	v_add_nc_u32_e32 v2, 1, v1
	v_lshl_add_u32 v15, v1, 6, 0x800
	v_xor_b32_e32 v3, 8, v3
	s_add_nc_u64 s[10:11], s[16:17], s[18:19]
	s_lshl_b64 s[38:39], s[20:21], 7
	v_and_b32_e32 v2, 15, v2
	v_lshl_or_b32 v33, v17, 2, v15
	v_lshl_or_b32 v34, v18, 2, v15
	v_add_nc_u32_e32 v17, 7, v1
	v_add_nc_u32_e32 v18, 10, v1
	v_lshl_or_b32 v31, v2, 2, v15
	v_and_b32_e32 v2, 15, v16
	v_add_nc_u32_e32 v16, 5, v1
	v_lshl_or_b32 v38, v3, 2, v15
	v_or_b32_e32 v30, v15, v20
	s_lshl_b64 s[40:41], s[26:27], 7
	v_lshl_or_b32 v32, v2, 2, v15
	v_and_b32_e32 v2, 15, v16
	v_and_b32_e32 v16, 15, v19
	s_lshl_b64 s[48:49], s[48:49], 2
	s_lshl_b64 s[50:51], s[50:51], 2
	s_delay_alu instid0(VALU_DEP_2)
	v_lshl_or_b32 v35, v2, 2, v15
	v_add_nc_u32_e32 v2, 9, v1
	v_lshl_or_b32 v36, v16, 2, v15
	v_and_b32_e32 v16, 15, v17
	v_and_b32_e32 v17, 15, v18
	v_add_nc_u32_e32 v18, 11, v1
	v_and_b32_e32 v2, 15, v2
	s_delay_alu instid0(VALU_DEP_4) | instskip(NEXT) | instid1(VALU_DEP_4)
	v_lshl_or_b32 v37, v16, 2, v15
	v_lshl_or_b32 v40, v17, 2, v15
	s_delay_alu instid0(VALU_DEP_4) | instskip(NEXT) | instid1(VALU_DEP_4)
	v_and_b32_e32 v3, 15, v18
	v_lshl_or_b32 v39, v2, 2, v15
	v_add_nc_u32_e32 v2, 12, v1
	v_add_co_ci_u32_e64 v17, null, 0, s43, s31
	v_or_b32_e32 v18, 4, v4
	v_add_nc_u32_e32 v16, 13, v1
	s_delay_alu instid0(VALU_DEP_4) | instskip(NEXT) | instid1(VALU_DEP_4)
	v_and_b32_e32 v19, 15, v2
	v_mul_lo_u32 v17, s12, v17
	v_lshl_or_b32 v41, v3, 2, v15
	v_mul_lo_u32 v46, s13, v18
	v_mad_co_u64_u32 v[1:2], null, s12, v18, s[44:45]
	v_and_b32_e32 v16, 15, v16
	v_and_b32_e32 v18, 15, v22
	;; [unrolled: 1-line block ×3, first 2 shown]
	v_lshl_or_b32 v42, v19, 2, v15
	s_wait_alu 0xfffe
	s_mov_b32 s31, s5
	v_lshl_or_b32 v43, v16, 2, v15
	v_lshl_or_b32 v44, v18, 2, v15
	;; [unrolled: 1-line block ×3, first 2 shown]
	v_add3_u32 v15, v46, v2, v17
	v_mul_lo_u32 v16, s13, v4
	v_mad_co_u64_u32 v[2:3], null, s12, v4, s[44:45]
	v_add_co_u32 v1, vcc_lo, v1, v20
	s_delay_alu instid0(VALU_DEP_1)
	v_add_co_ci_u32_e64 v4, null, 0, v15, vcc_lo
	s_add_nc_u64 s[44:45], s[46:47], s[44:45]
	v_add_co_u32 v46, vcc_lo, s8, v1
	v_add3_u32 v1, v16, v3, v17
	s_wait_alu 0xfffd
	v_add_co_ci_u32_e64 v47, null, s9, v4, vcc_lo
	v_add_co_u32 v2, vcc_lo, v2, v20
	s_wait_alu 0xfffd
	v_add_co_ci_u32_e64 v1, null, 0, v1, vcc_lo
	s_lshl_b64 s[42:43], s[14:15], 2
	v_add_co_u32 v48, vcc_lo, s8, v2
	v_lshlrev_b64_e32 v[2:3], 2, v[5:6]
	v_lshlrev_b64_e32 v[4:5], 2, v[7:8]
	;; [unrolled: 1-line block ×5, first 2 shown]
	s_wait_alu 0xfffd
	v_add_co_ci_u32_e64 v49, null, s9, v1, vcc_lo
	s_wait_alu 0xfffe
	s_add_nc_u64 s[8:9], s[8:9], s[44:45]
	s_lshl_b64 s[44:45], s[22:23], 2
	s_lshl_b64 s[46:47], s[20:21], 2
	s_branch .LBB67_3
.LBB67_2:                               ;   in Loop: Header=BB67_3 Depth=1
	s_or_b32 exec_lo, exec_lo, s69
	s_add_co_i32 s4, s4, 0x10000
	s_wait_alu 0xfffe
	s_cmp_lt_u32 s4, s29
	s_cbranch_scc0 .LBB67_45
.LBB67_3:                               ; =>This Loop Header: Depth=1
                                        ;     Child Loop BB67_27 Depth 2
	s_and_b32 vcc_lo, exec_lo, s66
	s_mov_b32 s52, -1
                                        ; implicit-def: $vgpr54
	s_wait_alu 0xfffe
	s_cbranch_vccz .LBB67_5
; %bb.4:                                ;   in Loop: Header=BB67_3 Depth=1
	ds_load_b64 v[12:13], v24
	s_mul_u64 s[52:53], s[6:7], s[4:5]
	s_wait_alu 0xfffe
	s_lshl_b64 s[52:53], s[52:53], 2
	s_wait_dscnt 0x0
	s_wait_alu 0xfffe
	v_add_co_u32 v12, vcc_lo, v12, s52
	s_wait_alu 0xfffd
	v_add_co_ci_u32_e64 v13, null, s53, v13, vcc_lo
	s_mov_b32 s52, 0
	flat_load_b32 v54, v[12:13]
.LBB67_5:                               ;   in Loop: Header=BB67_3 Depth=1
	s_wait_alu 0xfffe
	s_and_not1_b32 vcc_lo, exec_lo, s52
	s_wait_alu 0xfffe
	s_cbranch_vccnz .LBB67_7
; %bb.6:                                ;   in Loop: Header=BB67_3 Depth=1
	s_wait_loadcnt_dscnt 0x0
	ds_load_b32 v54, v24
.LBB67_7:                               ;   in Loop: Header=BB67_3 Depth=1
	s_mov_b32 s69, exec_lo
	s_wait_loadcnt_dscnt 0x0
	v_cmpx_neq_f32_e32 0, v54
	s_cbranch_execz .LBB67_2
; %bb.8:                                ;   in Loop: Header=BB67_3 Depth=1
	s_and_not1_b32 vcc_lo, exec_lo, s68
	s_wait_alu 0xfffe
	s_cbranch_vccnz .LBB67_2
; %bb.9:                                ;   in Loop: Header=BB67_3 Depth=1
	s_load_b32 s52, s[2:3], 0x4
	s_mov_b32 s55, s5
	s_wait_kmcnt 0x0
	s_cvt_f32_u32 s53, s52
	s_sub_co_i32 s54, 0, s52
	s_wait_alu 0xfffe
	s_delay_alu instid0(SALU_CYCLE_1) | instskip(NEXT) | instid1(TRANS32_DEP_1)
	v_rcp_iflag_f32_e32 v1, s53
	v_readfirstlane_b32 s53, v1
	s_mul_f32 s53, s53, 0x4f7ffffe
	s_wait_alu 0xfffe
	s_delay_alu instid0(SALU_CYCLE_2) | instskip(SKIP_1) | instid1(SALU_CYCLE_2)
	s_cvt_u32_f32 s53, s53
	s_wait_alu 0xfffe
	s_mul_i32 s54, s54, s53
	s_wait_alu 0xfffe
	s_mul_hi_u32 s54, s53, s54
	s_wait_alu 0xfffe
	s_add_co_i32 s54, s53, s54
	s_wait_alu 0xfffe
	s_mul_u64 s[54:55], s[30:31], s[54:55]
	s_wait_alu 0xfffe
	s_mul_i32 s53, s55, s52
	s_add_co_i32 s54, s55, 1
	s_wait_alu 0xfffe
	s_sub_co_i32 s53, s30, s53
	s_wait_alu 0xfffe
	s_sub_co_i32 s56, s53, s52
	s_cmp_ge_u32 s53, s52
	s_cselect_b32 s54, s54, s55
	s_wait_alu 0xfffe
	s_cselect_b32 s53, s56, s53
	s_add_co_i32 s55, s54, 1
	s_wait_alu 0xfffe
	s_cmp_ge_u32 s53, s52
	s_cselect_b32 s54, s55, s54
	s_add_co_i32 s53, s52, -1
	s_wait_alu 0xfffe
	s_mov_b32 s72, s54
	s_cmp_lg_u32 s33, s53
	s_cbranch_scc1 .LBB67_11
; %bb.10:                               ;   in Loop: Header=BB67_3 Depth=1
	s_mul_i32 s52, s54, s52
	s_wait_alu 0xfffe
	s_sub_co_i32 s52, s30, s52
	s_wait_alu 0xfffe
	s_add_co_i32 s72, s52, s54
.LBB67_11:                              ;   in Loop: Header=BB67_3 Depth=1
	s_wait_alu 0xfffe
	s_cmp_eq_u32 s72, 0
	s_cbranch_scc1 .LBB67_2
; %bb.12:                               ;   in Loop: Header=BB67_3 Depth=1
	s_load_b32 s70, s[2:3], 0x0
	s_mul_u64 s[52:53], s[22:23], s[4:5]
	s_mov_b32 s71, -1
	s_wait_alu 0xfffe
	s_lshl_b64 s[52:53], s[52:53], 2
	s_mov_b32 s55, -1
	s_wait_alu 0xfffe
	s_add_nc_u64 s[56:57], s[10:11], s[52:53]
	s_wait_alu 0xfffe
	s_add_nc_u64 s[52:53], s[56:57], s[48:49]
	s_wait_kmcnt 0x0
	s_add_co_i32 s70, s70, -1
	s_delay_alu instid0(SALU_CYCLE_1)
	s_cmp_lg_u32 s30, s70
	s_cbranch_scc0 .LBB67_16
; %bb.13:                               ;   in Loop: Header=BB67_3 Depth=1
	s_and_saveexec_b32 s55, s0
	s_cbranch_execz .LBB67_15
; %bb.14:                               ;   in Loop: Header=BB67_3 Depth=1
	s_wait_alu 0xfffe
	v_add_co_u32 v12, vcc_lo, s52, v2
	s_wait_alu 0xfffd
	v_add_co_ci_u32_e64 v13, null, s53, v3, vcc_lo
	global_load_b32 v1, v[12:13], off
	s_wait_loadcnt 0x0
	ds_store_b32 v26, v1
.LBB67_15:                              ;   in Loop: Header=BB67_3 Depth=1
	s_wait_alu 0xfffe
	s_or_b32 exec_lo, exec_lo, s55
	s_mov_b32 s55, 0
.LBB67_16:                              ;   in Loop: Header=BB67_3 Depth=1
	s_wait_alu 0xfffe
	s_and_not1_b32 vcc_lo, exec_lo, s55
	s_wait_alu 0xfffe
	s_cbranch_vccnz .LBB67_22
; %bb.17:                               ;   in Loop: Header=BB67_3 Depth=1
	s_and_saveexec_b32 s55, s0
	s_cbranch_execz .LBB67_21
; %bb.18:                               ;   in Loop: Header=BB67_3 Depth=1
	v_mov_b32_e32 v1, 0
	s_and_saveexec_b32 s58, s1
	s_cbranch_execz .LBB67_20
; %bb.19:                               ;   in Loop: Header=BB67_3 Depth=1
	v_add_co_u32 v12, vcc_lo, s52, v2
	s_wait_alu 0xfffd
	v_add_co_ci_u32_e64 v13, null, s53, v3, vcc_lo
	global_load_b32 v1, v[12:13], off
.LBB67_20:                              ;   in Loop: Header=BB67_3 Depth=1
	s_or_b32 exec_lo, exec_lo, s58
	s_wait_loadcnt 0x0
	ds_store_b32 v26, v1
.LBB67_21:                              ;   in Loop: Header=BB67_3 Depth=1
	s_wait_alu 0xfffe
	s_or_b32 exec_lo, exec_lo, s55
	s_mov_b32 s71, s28
	ds_store_2addr_b32 v27, v0, v0 offset1:16
	ds_store_2addr_b32 v28, v0, v0 offset1:16
.LBB67_22:                              ;   in Loop: Header=BB67_3 Depth=1
	v_mov_b32_e32 v1, v0
	s_mul_u64 s[52:53], s[14:15], s[4:5]
	s_mul_i32 s58, s67, s54
	s_wait_alu 0xfffe
	s_lshl_b64 s[52:53], s[52:53], 2
	s_ashr_i32 s59, s58, 31
	v_dual_mov_b32 v17, v1 :: v_dual_mov_b32 v16, v0
	s_wait_alu 0xfffe
	s_add_nc_u64 s[52:53], s[36:37], s[52:53]
	s_lshl_b64 s[54:55], s[58:59], 2
	s_wait_dscnt 0x0
	s_wait_alu 0xfffe
	s_add_nc_u64 s[60:61], s[52:53], s[54:55]
	s_barrier_signal -1
	s_barrier_wait -1
	global_inv scope:SCOPE_SE
	s_and_saveexec_b32 s52, s71
	s_cbranch_execz .LBB67_24
; %bb.23:                               ;   in Loop: Header=BB67_3 Depth=1
	s_wait_alu 0xfffe
	v_add_co_u32 v12, vcc_lo, s60, v4
	s_wait_alu 0xfffd
	v_add_co_ci_u32_e64 v13, null, s61, v5, vcc_lo
	s_lshl_b64 s[62:63], s[12:13], 2
	s_wait_alu 0xfffe
	v_add_co_u32 v14, vcc_lo, v12, s62
	s_wait_alu 0xfffd
	v_add_co_ci_u32_e64 v15, null, s63, v13, vcc_lo
	s_clause 0x1
	global_load_b32 v16, v[12:13], off
	global_load_b32 v17, v[14:15], off
.LBB67_24:                              ;   in Loop: Header=BB67_3 Depth=1
	s_wait_alu 0xfffe
	s_or_b32 exec_lo, exec_lo, s52
	s_mul_u64 s[52:53], s[34:35], s[4:5]
	s_wait_alu 0xfffe
	s_lshl_b64 s[52:53], s[52:53], 2
	s_cmp_lt_i32 s72, 1
	s_wait_alu 0xfffe
	s_add_nc_u64 s[52:53], s[24:25], s[52:53]
	s_cbranch_scc1 .LBB67_35
; %bb.25:                               ;   in Loop: Header=BB67_3 Depth=1
	s_mul_u64 s[62:63], s[20:21], s[58:59]
	v_mov_b32_e32 v56, 0
	s_wait_alu 0xfffe
	s_lshl_b64 s[62:63], s[62:63], 2
	s_wait_alu 0xfffe
	s_add_nc_u64 s[62:63], s[56:57], s[62:63]
	s_mul_u64 s[56:57], s[26:27], s[58:59]
	s_wait_alu 0xfffe
	v_add_co_u32 v12, vcc_lo, s62, v6
	s_wait_alu 0xfffd
	v_add_co_ci_u32_e64 v13, null, s63, v7, vcc_lo
	s_lshl_b64 s[56:57], s[56:57], 2
	s_cmp_eq_u32 s72, 1
	s_wait_alu 0xfffe
	s_add_nc_u64 s[64:65], s[52:53], s[56:57]
	global_load_b32 v61, v[12:13], off
	s_cbranch_scc1 .LBB67_36
; %bb.26:                               ;   in Loop: Header=BB67_3 Depth=1
	v_add_co_u32 v1, s62, v50, s54
	v_add_co_u32 v13, s73, v51, s54
	s_wait_alu 0xf1ff
	v_add_co_ci_u32_e64 v12, null, 0, s55, s62
	v_add_co_ci_u32_e64 v14, null, 0, s55, s73
	s_mul_u64 s[60:61], s[44:45], s[4:5]
	v_mul_lo_u32 v12, s20, v12
	s_wait_alu 0xfffe
	s_add_nc_u64 s[62:63], s[16:17], s[60:61]
	v_mul_lo_u32 v14, s20, v14
	s_wait_alu 0xfffe
	v_mad_co_u64_u32 v[18:19], null, s20, v1, s[62:63]
	v_mul_lo_u32 v1, s21, v1
	v_mad_co_u64_u32 v[20:21], null, s20, v13, s[62:63]
	v_mul_lo_u32 v13, s21, v13
	s_mul_u64 s[56:57], s[42:43], s[4:5]
	s_mul_u64 s[58:59], s[46:47], s[58:59]
	s_wait_alu 0xfffe
	v_add_co_u32 v58, vcc_lo, v46, s56
	s_wait_alu 0xfffd
	v_add_co_ci_u32_e64 v59, null, s57, v47, vcc_lo
	v_add_co_u32 v62, vcc_lo, v48, s56
	v_add3_u32 v19, v1, v19, v12
	v_add3_u32 v21, v13, v21, v14
	v_dual_mov_b32 v1, 0 :: v_dual_mov_b32 v12, s64
	s_wait_alu 0xfffd
	v_add_co_ci_u32_e64 v63, null, s57, v49, vcc_lo
	v_dual_mov_b32 v13, s65 :: v_dual_mov_b32 v56, 0
	v_mov_b32_e32 v55, 0
	v_mov_b32_e32 v57, 0
	s_add_nc_u64 s[58:59], s[58:59], s[60:61]
	s_add_nc_u64 s[56:57], s[8:9], s[56:57]
	s_add_co_i32 s60, s72, -1
	s_add_nc_u64 s[58:59], s[16:17], s[58:59]
.LBB67_27:                              ;   Parent Loop BB67_3 Depth=1
                                        ; =>  This Inner Loop Header: Depth=2
	v_add_co_u32 v14, vcc_lo, v18, s18
	s_wait_alu 0xfffd
	v_add_co_ci_u32_e64 v15, null, s19, v19, vcc_lo
	global_load_b32 v64, v[14:15], off
	s_and_saveexec_b32 s61, s71
	s_cbranch_execz .LBB67_29
; %bb.28:                               ;   in Loop: Header=BB67_27 Depth=2
	v_add_co_u32 v14, vcc_lo, v62, s54
	s_wait_alu 0xfffd
	v_add_co_ci_u32_e64 v15, null, s55, v63, vcc_lo
	v_add_co_u32 v22, vcc_lo, v58, s54
	s_wait_alu 0xfffd
	v_add_co_ci_u32_e64 v23, null, s55, v59, vcc_lo
	global_load_b32 v57, v[14:15], off offset:64
	global_load_b32 v56, v[22:23], off offset:64
.LBB67_29:                              ;   in Loop: Header=BB67_27 Depth=2
	s_wait_alu 0xfffe
	s_or_b32 exec_lo, exec_lo, s61
	ds_load_b64 v[22:23], v29
	s_wait_loadcnt 0x2
	v_dual_mov_b32 v14, v16 :: v_dual_mov_b32 v15, v17
	s_and_saveexec_b32 s61, s71
	s_cbranch_execz .LBB67_31
; %bb.30:                               ;   in Loop: Header=BB67_27 Depth=2
	v_add_co_u32 v14, vcc_lo, v62, s54
	s_wait_alu 0xfffd
	v_add_co_ci_u32_e64 v15, null, s55, v63, vcc_lo
	v_add_co_u32 v65, vcc_lo, v58, s54
	s_wait_alu 0xfffd
	v_add_co_ci_u32_e64 v66, null, s55, v59, vcc_lo
	global_load_b32 v14, v[14:15], off offset:128
	global_load_b32 v15, v[65:66], off offset:128
.LBB67_31:                              ;   in Loop: Header=BB67_27 Depth=2
	s_wait_alu 0xfffe
	s_or_b32 exec_lo, exec_lo, s61
	v_add_co_u32 v65, vcc_lo, v20, s18
	s_wait_alu 0xfffd
	v_add_co_ci_u32_e64 v66, null, s19, v21, vcc_lo
	global_load_b32 v60, v[65:66], off
	s_wait_dscnt 0x0
	v_fma_f32 v65, v16, v22, 0
	s_wait_loadcnt 0x2
	v_fma_f32 v22, v57, v22, 0
	s_wait_loadcnt 0x0
	s_barrier_signal -1
	s_barrier_wait -1
	v_fmac_f32_e32 v65, v17, v23
	v_fmac_f32_e32 v22, v56, v23
	global_inv scope:SCOPE_SE
	ds_store_2addr_b32 v52, v65, v22 offset1:16
	s_wait_loadcnt_dscnt 0x0
	s_barrier_signal -1
	s_barrier_wait -1
	global_inv scope:SCOPE_SE
	s_and_saveexec_b32 s61, s0
	s_cbranch_execz .LBB67_33
; %bb.32:                               ;   in Loop: Header=BB67_27 Depth=2
	ds_load_2addr_b32 v[22:23], v25 offset1:32
	ds_load_2addr_b32 v[65:66], v25 offset0:64 offset1:96
	ds_load_2addr_b32 v[67:68], v25 offset0:128 offset1:160
	s_wait_dscnt 0x2
	v_add_f32_e32 v22, 0, v22
	s_delay_alu instid0(VALU_DEP_1) | instskip(SKIP_3) | instid1(VALU_DEP_1)
	v_add_f32_e32 v69, v22, v23
	ds_load_2addr_b32 v[22:23], v25 offset0:192 offset1:224
	s_wait_dscnt 0x2
	v_add_f32_e32 v65, v69, v65
	v_add_f32_e32 v69, v65, v66
	ds_load_2addr_b32 v[65:66], v53 offset1:32
	s_wait_dscnt 0x2
	v_add_f32_e32 v67, v69, v67
	s_delay_alu instid0(VALU_DEP_1) | instskip(SKIP_3) | instid1(VALU_DEP_1)
	v_add_f32_e32 v69, v67, v68
	ds_load_2addr_b32 v[67:68], v53 offset0:64 offset1:96
	s_wait_dscnt 0x2
	v_add_f32_e32 v22, v69, v22
	v_add_f32_e32 v22, v22, v23
	s_wait_dscnt 0x1
	s_delay_alu instid0(VALU_DEP_1) | instskip(SKIP_3) | instid1(VALU_DEP_1)
	v_add_f32_e32 v65, v22, v65
	ds_load_2addr_b32 v[22:23], v53 offset0:128 offset1:160
	v_add_f32_e32 v65, v65, v66
	s_wait_dscnt 0x1
	v_add_f32_e32 v67, v65, v67
	ds_load_2addr_b32 v[65:66], v53 offset0:192 offset1:224
	v_add_f32_e32 v67, v67, v68
	s_wait_dscnt 0x1
	s_delay_alu instid0(VALU_DEP_1) | instskip(NEXT) | instid1(VALU_DEP_1)
	v_add_f32_e32 v22, v67, v22
	v_add_f32_e32 v22, v22, v23
	s_wait_dscnt 0x0
	s_delay_alu instid0(VALU_DEP_1) | instskip(NEXT) | instid1(VALU_DEP_1)
	v_add_f32_e32 v22, v22, v65
	v_add_f32_e32 v65, v22, v66
	v_add_co_u32 v22, vcc_lo, v12, v8
	s_wait_alu 0xfffd
	v_add_co_ci_u32_e64 v23, null, v13, v9, vcc_lo
	s_delay_alu instid0(VALU_DEP_3)
	v_mul_f32_e32 v65, v54, v65
	v_add_co_u32 v12, vcc_lo, v12, s40
	s_wait_alu 0xfffd
	v_add_co_ci_u32_e64 v13, null, s41, v13, vcc_lo
	global_atomic_add_f32 v[22:23], v65, off scope:SCOPE_DEV
.LBB67_33:                              ;   in Loop: Header=BB67_27 Depth=2
	s_wait_alu 0xfffe
	s_or_b32 exec_lo, exec_lo, s61
	v_add_co_u32 v58, vcc_lo, 0x80, v58
	s_wait_alu 0xfffd
	v_add_co_ci_u32_e64 v59, null, 0, v59, vcc_lo
	v_add_co_u32 v62, vcc_lo, 0x80, v62
	v_fmac_f32_e32 v1, v61, v16
	v_fmac_f32_e32 v55, v61, v17
	s_wait_alu 0xfffd
	v_add_co_ci_u32_e64 v63, null, 0, v63, vcc_lo
	v_add_co_u32 v18, vcc_lo, v18, s38
	s_wait_alu 0xfffd
	v_add_co_ci_u32_e64 v19, null, s39, v19, vcc_lo
	v_add_co_u32 v20, vcc_lo, v20, s38
	v_fmac_f32_e32 v1, v64, v57
	v_fmac_f32_e32 v55, v64, v56
	s_wait_alu 0xfffd
	v_add_co_ci_u32_e64 v21, null, s39, v21, vcc_lo
	s_add_co_i32 s60, s60, -1
	s_add_nc_u64 s[56:57], s[56:57], 0x80
	s_wait_alu 0xfffe
	s_cmp_eq_u32 s60, 0
	s_add_nc_u64 s[58:59], s[58:59], s[38:39]
	s_cbranch_scc1 .LBB67_37
; %bb.34:                               ;   in Loop: Header=BB67_27 Depth=2
	v_mov_b32_e32 v17, v15
	v_dual_mov_b32 v61, v60 :: v_dual_mov_b32 v16, v14
	s_branch .LBB67_27
.LBB67_35:                              ;   in Loop: Header=BB67_3 Depth=1
	v_mov_b32_e32 v55, 0
	v_mov_b32_e32 v1, 0
	s_branch .LBB67_43
.LBB67_36:                              ;   in Loop: Header=BB67_3 Depth=1
	s_wait_loadcnt 0x1
	v_dual_mov_b32 v57, 0 :: v_dual_mov_b32 v14, v16
	s_wait_alu 0xfffe
	v_dual_mov_b32 v12, s64 :: v_dual_mov_b32 v13, s65
	s_wait_loadcnt 0x0
	v_dual_mov_b32 v55, 0 :: v_dual_mov_b32 v60, v61
	v_mov_b32_e32 v1, 0
	v_mov_b32_e32 v15, v17
	s_branch .LBB67_38
.LBB67_37:                              ;   in Loop: Header=BB67_3 Depth=1
	s_add_nc_u64 s[62:63], s[58:59], s[18:19]
	s_add_nc_u64 s[60:61], s[56:57], s[54:55]
.LBB67_38:                              ;   in Loop: Header=BB67_3 Depth=1
	s_wait_alu 0xfffe
	v_add_co_u32 v16, vcc_lo, s62, v10
	s_wait_alu 0xfffd
	v_add_co_ci_u32_e64 v17, null, s63, v11, vcc_lo
	global_load_b32 v16, v[16:17], off
	s_and_saveexec_b32 s54, s71
	s_cbranch_execz .LBB67_40
; %bb.39:                               ;   in Loop: Header=BB67_3 Depth=1
	v_add_co_u32 v17, vcc_lo, s60, v4
	s_wait_alu 0xfffd
	v_add_co_ci_u32_e64 v18, null, s61, v5, vcc_lo
	s_lshl_b64 s[56:57], s[12:13], 2
	s_wait_alu 0xfffe
	v_add_co_u32 v19, vcc_lo, v17, s56
	s_wait_alu 0xfffd
	v_add_co_ci_u32_e64 v20, null, s57, v18, vcc_lo
	s_clause 0x1
	global_load_b32 v57, v[17:18], off offset:64
	global_load_b32 v56, v[19:20], off offset:64
.LBB67_40:                              ;   in Loop: Header=BB67_3 Depth=1
	s_wait_alu 0xfffe
	s_or_b32 exec_lo, exec_lo, s54
	ds_load_b64 v[17:18], v29
	s_wait_storecnt 0x0
	s_wait_loadcnt_dscnt 0x0
	s_barrier_signal -1
	s_barrier_wait -1
	global_inv scope:SCOPE_SE
	v_fma_f32 v19, v14, v17, 0
	v_fma_f32 v17, v57, v17, 0
	s_delay_alu instid0(VALU_DEP_2) | instskip(NEXT) | instid1(VALU_DEP_2)
	v_fmac_f32_e32 v19, v15, v18
	v_fmac_f32_e32 v17, v56, v18
	ds_store_2addr_b32 v52, v19, v17 offset1:16
	s_wait_loadcnt_dscnt 0x0
	s_barrier_signal -1
	s_barrier_wait -1
	global_inv scope:SCOPE_SE
	s_and_saveexec_b32 s54, s0
	s_cbranch_execz .LBB67_42
; %bb.41:                               ;   in Loop: Header=BB67_3 Depth=1
	ds_load_2addr_b32 v[17:18], v25 offset1:32
	ds_load_2addr_b32 v[19:20], v25 offset0:64 offset1:96
	ds_load_2addr_b32 v[21:22], v25 offset0:128 offset1:160
	v_add_co_u32 v12, vcc_lo, v12, v8
	s_wait_alu 0xfffd
	v_add_co_ci_u32_e64 v13, null, v13, v9, vcc_lo
	s_wait_dscnt 0x2
	v_add_f32_e32 v17, 0, v17
	s_delay_alu instid0(VALU_DEP_1) | instskip(SKIP_3) | instid1(VALU_DEP_1)
	v_add_f32_e32 v23, v17, v18
	ds_load_2addr_b32 v[17:18], v25 offset0:192 offset1:224
	s_wait_dscnt 0x2
	v_add_f32_e32 v19, v23, v19
	v_add_f32_e32 v23, v19, v20
	ds_load_2addr_b32 v[19:20], v53 offset1:32
	s_wait_dscnt 0x2
	v_add_f32_e32 v21, v23, v21
	s_delay_alu instid0(VALU_DEP_1) | instskip(SKIP_3) | instid1(VALU_DEP_1)
	v_add_f32_e32 v23, v21, v22
	ds_load_2addr_b32 v[21:22], v53 offset0:64 offset1:96
	s_wait_dscnt 0x2
	v_add_f32_e32 v17, v23, v17
	v_add_f32_e32 v17, v17, v18
	s_wait_dscnt 0x1
	s_delay_alu instid0(VALU_DEP_1) | instskip(SKIP_3) | instid1(VALU_DEP_1)
	v_add_f32_e32 v19, v17, v19
	ds_load_2addr_b32 v[17:18], v53 offset0:128 offset1:160
	v_add_f32_e32 v19, v19, v20
	s_wait_dscnt 0x1
	v_add_f32_e32 v21, v19, v21
	ds_load_2addr_b32 v[19:20], v53 offset0:192 offset1:224
	v_add_f32_e32 v21, v21, v22
	s_wait_dscnt 0x1
	s_delay_alu instid0(VALU_DEP_1) | instskip(NEXT) | instid1(VALU_DEP_1)
	v_add_f32_e32 v17, v21, v17
	v_add_f32_e32 v17, v17, v18
	s_wait_dscnt 0x0
	s_delay_alu instid0(VALU_DEP_1) | instskip(NEXT) | instid1(VALU_DEP_1)
	v_add_f32_e32 v17, v17, v19
	v_add_f32_e32 v17, v17, v20
	s_delay_alu instid0(VALU_DEP_1)
	v_mul_f32_e32 v17, v54, v17
	global_atomic_add_f32 v[12:13], v17, off scope:SCOPE_DEV
.LBB67_42:                              ;   in Loop: Header=BB67_3 Depth=1
	s_wait_alu 0xfffe
	s_or_b32 exec_lo, exec_lo, s54
	v_fmac_f32_e32 v1, v60, v14
	v_fmac_f32_e32 v55, v60, v15
	s_delay_alu instid0(VALU_DEP_2) | instskip(NEXT) | instid1(VALU_DEP_2)
	v_fmac_f32_e32 v1, v16, v57
	v_fmac_f32_e32 v55, v16, v56
.LBB67_43:                              ;   in Loop: Header=BB67_3 Depth=1
	s_cmp_lt_u32 s30, s70
	ds_store_2addr_b32 v28, v1, v55 offset1:16
	s_cselect_b32 s54, -1, 0
	s_wait_storecnt 0x0
	s_wait_loadcnt_dscnt 0x0
	s_wait_alu 0xfffe
	s_or_b32 s54, s1, s54
	s_barrier_signal -1
	s_wait_alu 0xfffe
	s_and_b32 s54, s0, s54
	s_barrier_wait -1
	global_inv scope:SCOPE_SE
	s_wait_alu 0xfffe
	s_and_b32 exec_lo, exec_lo, s54
	s_cbranch_execz .LBB67_2
; %bb.44:                               ;   in Loop: Header=BB67_3 Depth=1
	ds_load_b32 v1, v30
	ds_load_b32 v12, v31
	;; [unrolled: 1-line block ×8, first 2 shown]
	s_add_nc_u64 s[52:53], s[52:53], s[50:51]
	s_wait_dscnt 0x7
	v_add_f32_e32 v1, 0, v1
	s_wait_dscnt 0x6
	s_delay_alu instid0(VALU_DEP_1)
	v_add_f32_e32 v1, v1, v12
	ds_load_b32 v12, v38
	s_wait_dscnt 0x6
	v_add_f32_e32 v1, v1, v13
	ds_load_b32 v13, v39
	s_wait_dscnt 0x6
	;; [unrolled: 3-line block ×3, first 2 shown]
	v_add_f32_e32 v1, v1, v15
	s_wait_dscnt 0x5
	s_delay_alu instid0(VALU_DEP_1) | instskip(SKIP_1) | instid1(VALU_DEP_1)
	v_add_f32_e32 v1, v1, v16
	s_wait_dscnt 0x4
	v_add_f32_e32 v1, v1, v17
	s_wait_dscnt 0x3
	s_delay_alu instid0(VALU_DEP_1)
	v_add_f32_e32 v1, v1, v18
	ds_load_b32 v15, v41
	ds_load_b32 v16, v42
	;; [unrolled: 1-line block ×5, first 2 shown]
	s_wait_dscnt 0x7
	v_add_f32_e32 v1, v1, v12
	s_wait_alu 0xfffe
	v_add_co_u32 v12, vcc_lo, s52, v8
	s_wait_dscnt 0x6
	s_delay_alu instid0(VALU_DEP_2) | instskip(SKIP_3) | instid1(VALU_DEP_2)
	v_add_f32_e32 v1, v1, v13
	s_wait_alu 0xfffd
	v_add_co_ci_u32_e64 v13, null, s53, v9, vcc_lo
	s_wait_dscnt 0x5
	v_add_f32_e32 v1, v1, v14
	s_wait_dscnt 0x4
	s_delay_alu instid0(VALU_DEP_1) | instskip(SKIP_1) | instid1(VALU_DEP_1)
	v_add_f32_e32 v1, v1, v15
	s_wait_dscnt 0x3
	v_add_f32_e32 v1, v1, v16
	s_wait_dscnt 0x2
	s_delay_alu instid0(VALU_DEP_1) | instskip(SKIP_1) | instid1(VALU_DEP_1)
	v_add_f32_e32 v1, v1, v17
	s_wait_dscnt 0x1
	v_add_f32_e32 v1, v1, v18
	s_wait_dscnt 0x0
	s_delay_alu instid0(VALU_DEP_1) | instskip(NEXT) | instid1(VALU_DEP_1)
	v_add_f32_e32 v1, v1, v19
	v_mul_f32_e32 v1, v54, v1
	global_atomic_add_f32 v[12:13], v1, off scope:SCOPE_DEV
	s_branch .LBB67_2
.LBB67_45:
	s_endpgm
	.section	.rodata,"a",@progbits
	.p2align	6, 0x0
	.amdhsa_kernel _ZL62rocblas_symv_kernel_upper_double_buffered_non_diagonal_genericILi32ELi8ELi2ELi0E24rocblas_internal_val_ptrIfEPKfPfEvbiT3_lT4_lllS6_lllT5_lllii
		.amdhsa_group_segment_fixed_size 6272
		.amdhsa_private_segment_fixed_size 0
		.amdhsa_kernarg_size 384
		.amdhsa_user_sgpr_count 4
		.amdhsa_user_sgpr_dispatch_ptr 1
		.amdhsa_user_sgpr_queue_ptr 0
		.amdhsa_user_sgpr_kernarg_segment_ptr 1
		.amdhsa_user_sgpr_dispatch_id 0
		.amdhsa_user_sgpr_private_segment_size 0
		.amdhsa_wavefront_size32 1
		.amdhsa_uses_dynamic_stack 0
		.amdhsa_enable_private_segment 0
		.amdhsa_system_sgpr_workgroup_id_x 1
		.amdhsa_system_sgpr_workgroup_id_y 1
		.amdhsa_system_sgpr_workgroup_id_z 1
		.amdhsa_system_sgpr_workgroup_info 0
		.amdhsa_system_vgpr_workitem_id 2
		.amdhsa_next_free_vgpr 70
		.amdhsa_next_free_sgpr 74
		.amdhsa_reserve_vcc 1
		.amdhsa_float_round_mode_32 0
		.amdhsa_float_round_mode_16_64 0
		.amdhsa_float_denorm_mode_32 3
		.amdhsa_float_denorm_mode_16_64 3
		.amdhsa_fp16_overflow 0
		.amdhsa_workgroup_processor_mode 1
		.amdhsa_memory_ordered 1
		.amdhsa_forward_progress 1
		.amdhsa_inst_pref_size 31
		.amdhsa_round_robin_scheduling 0
		.amdhsa_exception_fp_ieee_invalid_op 0
		.amdhsa_exception_fp_denorm_src 0
		.amdhsa_exception_fp_ieee_div_zero 0
		.amdhsa_exception_fp_ieee_overflow 0
		.amdhsa_exception_fp_ieee_underflow 0
		.amdhsa_exception_fp_ieee_inexact 0
		.amdhsa_exception_int_div_zero 0
	.end_amdhsa_kernel
	.section	.text._ZL62rocblas_symv_kernel_upper_double_buffered_non_diagonal_genericILi32ELi8ELi2ELi0E24rocblas_internal_val_ptrIfEPKfPfEvbiT3_lT4_lllS6_lllT5_lllii,"axG",@progbits,_ZL62rocblas_symv_kernel_upper_double_buffered_non_diagonal_genericILi32ELi8ELi2ELi0E24rocblas_internal_val_ptrIfEPKfPfEvbiT3_lT4_lllS6_lllT5_lllii,comdat
.Lfunc_end67:
	.size	_ZL62rocblas_symv_kernel_upper_double_buffered_non_diagonal_genericILi32ELi8ELi2ELi0E24rocblas_internal_val_ptrIfEPKfPfEvbiT3_lT4_lllS6_lllT5_lllii, .Lfunc_end67-_ZL62rocblas_symv_kernel_upper_double_buffered_non_diagonal_genericILi32ELi8ELi2ELi0E24rocblas_internal_val_ptrIfEPKfPfEvbiT3_lT4_lllS6_lllT5_lllii
                                        ; -- End function
	.set _ZL62rocblas_symv_kernel_upper_double_buffered_non_diagonal_genericILi32ELi8ELi2ELi0E24rocblas_internal_val_ptrIfEPKfPfEvbiT3_lT4_lllS6_lllT5_lllii.num_vgpr, 70
	.set _ZL62rocblas_symv_kernel_upper_double_buffered_non_diagonal_genericILi32ELi8ELi2ELi0E24rocblas_internal_val_ptrIfEPKfPfEvbiT3_lT4_lllS6_lllT5_lllii.num_agpr, 0
	.set _ZL62rocblas_symv_kernel_upper_double_buffered_non_diagonal_genericILi32ELi8ELi2ELi0E24rocblas_internal_val_ptrIfEPKfPfEvbiT3_lT4_lllS6_lllT5_lllii.numbered_sgpr, 74
	.set _ZL62rocblas_symv_kernel_upper_double_buffered_non_diagonal_genericILi32ELi8ELi2ELi0E24rocblas_internal_val_ptrIfEPKfPfEvbiT3_lT4_lllS6_lllT5_lllii.num_named_barrier, 0
	.set _ZL62rocblas_symv_kernel_upper_double_buffered_non_diagonal_genericILi32ELi8ELi2ELi0E24rocblas_internal_val_ptrIfEPKfPfEvbiT3_lT4_lllS6_lllT5_lllii.private_seg_size, 0
	.set _ZL62rocblas_symv_kernel_upper_double_buffered_non_diagonal_genericILi32ELi8ELi2ELi0E24rocblas_internal_val_ptrIfEPKfPfEvbiT3_lT4_lllS6_lllT5_lllii.uses_vcc, 1
	.set _ZL62rocblas_symv_kernel_upper_double_buffered_non_diagonal_genericILi32ELi8ELi2ELi0E24rocblas_internal_val_ptrIfEPKfPfEvbiT3_lT4_lllS6_lllT5_lllii.uses_flat_scratch, 0
	.set _ZL62rocblas_symv_kernel_upper_double_buffered_non_diagonal_genericILi32ELi8ELi2ELi0E24rocblas_internal_val_ptrIfEPKfPfEvbiT3_lT4_lllS6_lllT5_lllii.has_dyn_sized_stack, 0
	.set _ZL62rocblas_symv_kernel_upper_double_buffered_non_diagonal_genericILi32ELi8ELi2ELi0E24rocblas_internal_val_ptrIfEPKfPfEvbiT3_lT4_lllS6_lllT5_lllii.has_recursion, 0
	.set _ZL62rocblas_symv_kernel_upper_double_buffered_non_diagonal_genericILi32ELi8ELi2ELi0E24rocblas_internal_val_ptrIfEPKfPfEvbiT3_lT4_lllS6_lllT5_lllii.has_indirect_call, 0
	.section	.AMDGPU.csdata,"",@progbits
; Kernel info:
; codeLenInByte = 3848
; TotalNumSgprs: 76
; NumVgprs: 70
; ScratchSize: 0
; MemoryBound: 0
; FloatMode: 240
; IeeeMode: 1
; LDSByteSize: 6272 bytes/workgroup (compile time only)
; SGPRBlocks: 0
; VGPRBlocks: 8
; NumSGPRsForWavesPerEU: 76
; NumVGPRsForWavesPerEU: 70
; Occupancy: 16
; WaveLimiterHint : 1
; COMPUTE_PGM_RSRC2:SCRATCH_EN: 0
; COMPUTE_PGM_RSRC2:USER_SGPR: 4
; COMPUTE_PGM_RSRC2:TRAP_HANDLER: 0
; COMPUTE_PGM_RSRC2:TGID_X_EN: 1
; COMPUTE_PGM_RSRC2:TGID_Y_EN: 1
; COMPUTE_PGM_RSRC2:TGID_Z_EN: 1
; COMPUTE_PGM_RSRC2:TIDIG_COMP_CNT: 2
	.section	.text._ZL62rocblas_symv_kernel_upper_double_buffered_non_diagonal_genericILi32ELi8ELi2ELi1E24rocblas_internal_val_ptrIfEPKfPfEvbiT3_lT4_lllS6_lllT5_lllii,"axG",@progbits,_ZL62rocblas_symv_kernel_upper_double_buffered_non_diagonal_genericILi32ELi8ELi2ELi1E24rocblas_internal_val_ptrIfEPKfPfEvbiT3_lT4_lllS6_lllT5_lllii,comdat
	.globl	_ZL62rocblas_symv_kernel_upper_double_buffered_non_diagonal_genericILi32ELi8ELi2ELi1E24rocblas_internal_val_ptrIfEPKfPfEvbiT3_lT4_lllS6_lllT5_lllii ; -- Begin function _ZL62rocblas_symv_kernel_upper_double_buffered_non_diagonal_genericILi32ELi8ELi2ELi1E24rocblas_internal_val_ptrIfEPKfPfEvbiT3_lT4_lllS6_lllT5_lllii
	.p2align	8
	.type	_ZL62rocblas_symv_kernel_upper_double_buffered_non_diagonal_genericILi32ELi8ELi2ELi1E24rocblas_internal_val_ptrIfEPKfPfEvbiT3_lT4_lllS6_lllT5_lllii,@function
_ZL62rocblas_symv_kernel_upper_double_buffered_non_diagonal_genericILi32ELi8ELi2ELi1E24rocblas_internal_val_ptrIfEPKfPfEvbiT3_lT4_lllS6_lllT5_lllii: ; @_ZL62rocblas_symv_kernel_upper_double_buffered_non_diagonal_genericILi32ELi8ELi2ELi1E24rocblas_internal_val_ptrIfEPKfPfEvbiT3_lT4_lllS6_lllT5_lllii
; %bb.0:
	s_load_b64 s[0:1], s[0:1], 0x4
	s_load_b512 s[4:19], s[2:3], 0x8
	v_and_b32_e32 v1, 0x3ff, v0
	s_load_b64 s[28:29], s[2:3], 0x78
	v_bfe_u32 v2, v0, 10, 10
	v_bfe_u32 v0, v0, 20, 10
	s_wait_kmcnt 0x0
	s_lshr_b32 s0, s0, 16
	v_mov_b32_e32 v4, s5
	s_mul_i32 s0, s0, s1
	s_delay_alu instid0(SALU_CYCLE_1) | instskip(NEXT) | instid1(VALU_DEP_1)
	v_mul_lo_u32 v3, s0, v1
	v_mad_u32_u24 v5, v2, s1, v3
	v_mov_b32_e32 v3, s4
	s_lshr_b32 s4, ttmp7, 16
	s_wait_alu 0xfffe
	s_cmp_ge_u32 s4, s29
	v_add_lshl_u32 v0, v5, v0, 3
	ds_store_b64 v0, v[3:4] offset:4224
	s_cbranch_scc1 .LBB68_77
; %bb.1:
	s_clause 0x3
	s_load_b32 s5, s[2:3], 0x0
	s_load_b128 s[20:23], s[2:3], 0x48
	s_load_b128 s[24:27], s[2:3], 0x60
	s_load_b64 s[0:1], s[2:3], 0x58
	v_lshl_add_u32 v4, v2, 5, v1
	v_add_nc_u32_e32 v24, 0x1080, v0
	s_load_b64 s[34:35], s[2:3], 0x70
	s_add_nc_u64 s[36:37], s[2:3], 0x80
	v_add_nc_u32_e32 v22, 14, v1
	v_lshrrev_b32_e32 v19, 4, v4
	v_add_nc_u32_e32 v23, -1, v1
	s_mov_b32 s30, ttmp9
	v_lshlrev_b32_e32 v25, 2, v1
	s_delay_alu instid0(VALU_DEP_3) | instskip(NEXT) | instid1(VALU_DEP_2)
	v_lshlrev_b32_e32 v15, 1, v19
	v_or_b32_e32 v26, 0x1000, v25
	v_add_nc_u32_e32 v53, 0x400, v25
	s_wait_kmcnt 0x0
	s_bitcmp1_b32 s5, 0
	v_mad_co_u64_u32 v[5:6], null, s20, v1, 0
	v_and_b32_e32 v3, 15, v1
	s_cselect_b32 s5, -1, 0
	s_lshl_b32 s44, ttmp9, 5
	s_lshl_b64 s[2:3], s[24:25], 2
	s_ashr_i32 s45, s44, 31
	s_and_b32 s33, ttmp7, 0xffff
	s_delay_alu instid0(VALU_DEP_2)
	v_mov_b32_e32 v0, v6
	s_add_nc_u64 s[24:25], s[0:1], s[2:3]
	s_mul_u64 s[2:3], s[12:13], s[44:45]
	s_lshl_b64 s[46:47], s[10:11], 2
	s_lshl_b64 s[18:19], s[18:19], 2
	v_mad_co_u64_u32 v[6:7], null, s21, v1, v[0:1]
	v_mov_b32_e32 v0, 0
	s_wait_alu 0xfffe
	s_xor_b32 s66, s5, -1
	s_lshl_b32 s67, s33, 5
	s_lshl_b64 s[48:49], s[2:3], 2
	v_mad_co_u64_u32 v[9:10], null, s20, v3, 0
	v_mov_b32_e32 v4, v0
	v_or_b32_e32 v18, 16, v3
	s_add_nc_u64 s[0:1], s[8:9], s[46:47]
	s_wait_alu 0xfffe
	s_cmp_lg_u32 ttmp9, 0
	s_add_nc_u64 s[38:39], s[0:1], s[48:49]
	v_mad_co_u64_u32 v[7:8], null, s12, v15, v[3:4]
	s_cselect_b32 s68, -1, 0
	s_lshr_b32 s0, s28, 31
	v_lshlrev_b32_e32 v20, 2, v3
	s_wait_alu 0xfffe
	s_add_co_i32 s0, s28, s0
	v_mad_co_u64_u32 v[11:12], null, s20, v18, 0
	s_wait_alu 0xfffe
	s_ashr_i32 s3, s0, 1
	v_cmp_eq_u32_e64 s0, 0, v2
	v_dual_mov_b32 v2, v8 :: v_dual_lshlrev_b32 v21, 7, v19
	v_or_b32_e32 v17, 0x800, v20
	v_mov_b32_e32 v4, v10
	v_mad_co_u64_u32 v[13:14], null, s26, v1, 0
	s_delay_alu instid0(VALU_DEP_4) | instskip(NEXT) | instid1(VALU_DEP_4)
	v_mad_co_u64_u32 v[15:16], null, s13, v15, v[2:3]
	v_add_nc_u32_e32 v28, v17, v21
	s_delay_alu instid0(VALU_DEP_4)
	v_mad_co_u64_u32 v[16:17], null, s21, v3, v[4:5]
	v_lshlrev_b32_e32 v4, 3, v19
	v_mov_b32_e32 v2, v12
	v_cmp_le_i32_e64 s2, s3, v19
	v_mov_b32_e32 v8, v15
	v_cmp_eq_u32_e64 s3, s3, v19
	v_add_nc_u32_e32 v29, 0x1000, v4
	v_mad_co_u64_u32 v[17:18], null, s21, v18, v[2:3]
	v_mov_b32_e32 v10, v16
	v_add_nc_u32_e32 v16, 2, v1
	v_add_nc_u32_e32 v18, 4, v1
	;; [unrolled: 1-line block ×3, first 2 shown]
	s_mul_u64 s[50:51], s[20:21], s[44:45]
	s_mul_u64 s[52:53], s[26:27], s[44:45]
	v_dual_mov_b32 v12, v17 :: v_dual_add_nc_u32 v17, 3, v1
	v_mov_b32_e32 v2, v14
	v_and_b32_e32 v18, 15, v18
	s_lshl_b64 s[44:45], s[44:45], 2
	v_cmp_gt_i32_e64 s1, s28, v1
	v_and_b32_e32 v17, 15, v17
	v_mad_co_u64_u32 v[14:15], null, s27, v1, v[2:3]
	v_add_nc_u32_e32 v2, 1, v1
	v_lshl_add_u32 v15, v1, 6, 0x800
	v_xor_b32_e32 v3, 8, v3
	v_add_co_u32 v4, s28, v4, s44
	s_delay_alu instid0(VALU_DEP_4) | instskip(NEXT) | instid1(VALU_DEP_4)
	v_and_b32_e32 v2, 15, v2
	v_lshl_or_b32 v33, v17, 2, v15
	v_lshl_or_b32 v34, v18, 2, v15
	v_add_nc_u32_e32 v17, 7, v1
	v_add_nc_u32_e32 v18, 10, v1
	v_lshl_or_b32 v31, v2, 2, v15
	v_and_b32_e32 v2, 15, v16
	v_add_nc_u32_e32 v16, 5, v1
	v_lshl_or_b32 v38, v3, 2, v15
	v_or_b32_e32 v30, v15, v20
	v_or_b32_e32 v27, v20, v21
	v_lshl_or_b32 v32, v2, 2, v15
	v_and_b32_e32 v2, 15, v16
	v_and_b32_e32 v16, 15, v19
	v_or_b32_e32 v50, 64, v20
	v_or_b32_e32 v51, 0x80, v20
	v_add_nc_u32_e32 v52, v20, v21
	v_lshl_or_b32 v35, v2, 2, v15
	v_add_nc_u32_e32 v2, 9, v1
	v_lshl_or_b32 v36, v16, 2, v15
	v_and_b32_e32 v16, 15, v17
	v_and_b32_e32 v17, 15, v18
	v_add_nc_u32_e32 v18, 11, v1
	v_and_b32_e32 v2, 15, v2
	s_mov_b32 s5, 0
	v_lshl_or_b32 v37, v16, 2, v15
	v_lshl_or_b32 v40, v17, 2, v15
	v_and_b32_e32 v3, 15, v18
	v_lshl_or_b32 v39, v2, 2, v15
	v_add_nc_u32_e32 v2, 12, v1
	s_wait_alu 0xf1ff
	v_add_co_ci_u32_e64 v17, null, 0, s45, s28
	v_or_b32_e32 v18, 4, v4
	v_add_nc_u32_e32 v16, 13, v1
	v_and_b32_e32 v19, 15, v2
	s_delay_alu instid0(VALU_DEP_4)
	v_mul_lo_u32 v17, s12, v17
	v_lshl_or_b32 v41, v3, 2, v15
	v_mul_lo_u32 v46, s13, v18
	v_mad_co_u64_u32 v[1:2], null, s12, v18, s[46:47]
	v_and_b32_e32 v16, 15, v16
	v_and_b32_e32 v18, 15, v22
	;; [unrolled: 1-line block ×3, first 2 shown]
	v_lshl_or_b32 v42, v19, 2, v15
	s_add_nc_u64 s[10:11], s[16:17], s[18:19]
	v_lshl_or_b32 v43, v16, 2, v15
	v_lshl_or_b32 v44, v18, 2, v15
	;; [unrolled: 1-line block ×3, first 2 shown]
	v_add3_u32 v15, v46, v2, v17
	v_mul_lo_u32 v16, s13, v4
	v_mad_co_u64_u32 v[2:3], null, s12, v4, s[46:47]
	v_add_co_u32 v1, vcc_lo, v1, v20
	s_delay_alu instid0(VALU_DEP_1)
	v_add_co_ci_u32_e64 v4, null, 0, v15, vcc_lo
	s_add_nc_u64 s[46:47], s[48:49], s[46:47]
	v_add_co_u32 v46, vcc_lo, s8, v1
	v_add3_u32 v1, v16, v3, v17
	s_wait_alu 0xfffd
	v_add_co_ci_u32_e64 v47, null, s9, v4, vcc_lo
	v_add_co_u32 v2, vcc_lo, v2, v20
	s_wait_alu 0xfffd
	v_add_co_ci_u32_e64 v1, null, 0, v1, vcc_lo
	s_lshl_b64 s[40:41], s[20:21], 7
	v_add_co_u32 v48, vcc_lo, s8, v2
	v_lshlrev_b64_e32 v[2:3], 2, v[5:6]
	v_lshlrev_b64_e32 v[4:5], 2, v[7:8]
	;; [unrolled: 1-line block ×5, first 2 shown]
	s_wait_alu 0xfffd
	v_add_co_ci_u32_e64 v49, null, s9, v1, vcc_lo
	s_lshl_b64 s[42:43], s[26:27], 7
	s_wait_alu 0xfffe
	s_mov_b32 s31, s5
	s_lshl_b64 s[44:45], s[14:15], 2
	s_add_nc_u64 s[8:9], s[8:9], s[46:47]
	s_lshl_b64 s[46:47], s[22:23], 2
	s_lshl_b64 s[48:49], s[20:21], 2
	;; [unrolled: 1-line block ×4, first 2 shown]
	s_branch .LBB68_3
.LBB68_2:                               ;   in Loop: Header=BB68_3 Depth=1
	s_wait_alu 0xfffe
	s_or_b32 exec_lo, exec_lo, s28
	s_add_co_i32 s4, s4, 0x10000
	s_wait_alu 0xfffe
	s_cmp_lt_u32 s4, s29
	s_cbranch_scc0 .LBB68_77
.LBB68_3:                               ; =>This Loop Header: Depth=1
                                        ;     Child Loop BB68_35 Depth 2
	s_and_b32 vcc_lo, exec_lo, s66
	s_mov_b32 s28, -1
                                        ; implicit-def: $vgpr54
	s_wait_alu 0xfffe
	s_cbranch_vccz .LBB68_5
; %bb.4:                                ;   in Loop: Header=BB68_3 Depth=1
	ds_load_b64 v[12:13], v24
	s_mul_u64 s[54:55], s[6:7], s[4:5]
	s_mov_b32 s28, 0
	s_wait_alu 0xfffe
	s_lshl_b64 s[54:55], s[54:55], 2
	s_wait_dscnt 0x0
	s_wait_alu 0xfffe
	v_add_co_u32 v12, vcc_lo, v12, s54
	s_wait_alu 0xfffd
	v_add_co_ci_u32_e64 v13, null, s55, v13, vcc_lo
	flat_load_b32 v54, v[12:13]
.LBB68_5:                               ;   in Loop: Header=BB68_3 Depth=1
	s_wait_alu 0xfffe
	s_and_not1_b32 vcc_lo, exec_lo, s28
	s_wait_alu 0xfffe
	s_cbranch_vccnz .LBB68_7
; %bb.6:                                ;   in Loop: Header=BB68_3 Depth=1
	s_wait_loadcnt_dscnt 0x0
	ds_load_b32 v54, v24
.LBB68_7:                               ;   in Loop: Header=BB68_3 Depth=1
	s_mov_b32 s28, exec_lo
	s_wait_loadcnt_dscnt 0x0
	v_cmpx_neq_f32_e32 0, v54
	s_cbranch_execz .LBB68_2
; %bb.8:                                ;   in Loop: Header=BB68_3 Depth=1
	s_and_not1_b32 vcc_lo, exec_lo, s68
	s_wait_alu 0xfffe
	s_cbranch_vccnz .LBB68_2
; %bb.9:                                ;   in Loop: Header=BB68_3 Depth=1
	s_load_b32 s54, s[36:37], 0x4
	s_mov_b32 s57, s5
	s_wait_kmcnt 0x0
	s_cvt_f32_u32 s55, s54
	s_sub_co_i32 s56, 0, s54
	s_wait_alu 0xfffe
	s_delay_alu instid0(SALU_CYCLE_1) | instskip(NEXT) | instid1(TRANS32_DEP_1)
	v_rcp_iflag_f32_e32 v1, s55
	v_readfirstlane_b32 s55, v1
	s_mul_f32 s55, s55, 0x4f7ffffe
	s_wait_alu 0xfffe
	s_delay_alu instid0(SALU_CYCLE_2) | instskip(SKIP_1) | instid1(SALU_CYCLE_2)
	s_cvt_u32_f32 s55, s55
	s_wait_alu 0xfffe
	s_mul_i32 s56, s56, s55
	s_wait_alu 0xfffe
	s_mul_hi_u32 s56, s55, s56
	s_wait_alu 0xfffe
	s_add_co_i32 s56, s55, s56
	s_wait_alu 0xfffe
	s_mul_u64 s[56:57], s[30:31], s[56:57]
	s_wait_alu 0xfffe
	s_mul_i32 s55, s57, s54
	s_add_co_i32 s56, s57, 1
	s_wait_alu 0xfffe
	s_sub_co_i32 s55, s30, s55
	s_wait_alu 0xfffe
	s_sub_co_i32 s58, s55, s54
	s_cmp_ge_u32 s55, s54
	s_cselect_b32 s56, s56, s57
	s_wait_alu 0xfffe
	s_cselect_b32 s55, s58, s55
	s_add_co_i32 s57, s56, 1
	s_wait_alu 0xfffe
	s_cmp_ge_u32 s55, s54
	s_cselect_b32 s56, s57, s56
	s_add_co_i32 s55, s54, -1
	s_wait_alu 0xfffe
	s_mov_b32 s70, s56
	s_cmp_lg_u32 s33, s55
	s_cbranch_scc1 .LBB68_11
; %bb.10:                               ;   in Loop: Header=BB68_3 Depth=1
	s_mul_i32 s54, s56, s54
	s_wait_alu 0xfffe
	s_sub_co_i32 s54, s30, s54
	s_wait_alu 0xfffe
	s_add_co_i32 s70, s54, s56
.LBB68_11:                              ;   in Loop: Header=BB68_3 Depth=1
	s_wait_alu 0xfffe
	s_cmp_eq_u32 s70, 0
	s_cbranch_scc1 .LBB68_2
; %bb.12:                               ;   in Loop: Header=BB68_3 Depth=1
	s_load_b32 s69, s[36:37], 0x0
	s_mul_u64 s[54:55], s[22:23], s[4:5]
	s_mov_b32 s57, -1
	s_wait_alu 0xfffe
	s_lshl_b64 s[54:55], s[54:55], 2
	s_wait_alu 0xfffe
	s_add_nc_u64 s[60:61], s[10:11], s[54:55]
	s_wait_alu 0xfffe
	s_add_nc_u64 s[54:55], s[60:61], s[50:51]
	s_wait_kmcnt 0x0
	s_add_co_i32 s69, s69, -1
	s_delay_alu instid0(SALU_CYCLE_1)
	s_cmp_lg_u32 s30, s69
	s_cselect_b32 s64, -1, 0
	s_wait_alu 0xfffe
	s_and_b32 vcc_lo, exec_lo, s64
	s_wait_alu 0xfffe
	s_cbranch_vccz .LBB68_16
; %bb.13:                               ;   in Loop: Header=BB68_3 Depth=1
	s_and_saveexec_b32 s57, s0
	s_cbranch_execz .LBB68_15
; %bb.14:                               ;   in Loop: Header=BB68_3 Depth=1
	v_add_co_u32 v12, vcc_lo, s54, v2
	s_wait_alu 0xfffd
	v_add_co_ci_u32_e64 v13, null, s55, v3, vcc_lo
	global_load_b32 v1, v[12:13], off
	s_wait_loadcnt 0x0
	ds_store_b32 v26, v1
.LBB68_15:                              ;   in Loop: Header=BB68_3 Depth=1
	s_wait_alu 0xfffe
	s_or_b32 exec_lo, exec_lo, s57
	s_mov_b32 s57, 0
.LBB68_16:                              ;   in Loop: Header=BB68_3 Depth=1
	s_wait_alu 0xfffe
	s_and_not1_b32 vcc_lo, exec_lo, s57
	s_wait_alu 0xfffe
	s_cbranch_vccnz .LBB68_22
; %bb.17:                               ;   in Loop: Header=BB68_3 Depth=1
	s_and_saveexec_b32 s57, s0
	s_cbranch_execz .LBB68_21
; %bb.18:                               ;   in Loop: Header=BB68_3 Depth=1
	v_mov_b32_e32 v1, 0
	s_and_saveexec_b32 s58, s1
	s_cbranch_execz .LBB68_20
; %bb.19:                               ;   in Loop: Header=BB68_3 Depth=1
	v_add_co_u32 v12, vcc_lo, s54, v2
	s_wait_alu 0xfffd
	v_add_co_ci_u32_e64 v13, null, s55, v3, vcc_lo
	global_load_b32 v1, v[12:13], off
.LBB68_20:                              ;   in Loop: Header=BB68_3 Depth=1
	s_wait_alu 0xfffe
	s_or_b32 exec_lo, exec_lo, s58
	s_wait_loadcnt 0x0
	ds_store_b32 v26, v1
.LBB68_21:                              ;   in Loop: Header=BB68_3 Depth=1
	s_wait_alu 0xfffe
	s_or_b32 exec_lo, exec_lo, s57
	ds_store_2addr_b32 v27, v0, v0 offset1:16
	ds_store_2addr_b32 v28, v0, v0 offset1:16
.LBB68_22:                              ;   in Loop: Header=BB68_3 Depth=1
	s_mul_u64 s[54:55], s[14:15], s[4:5]
	s_mul_i32 s62, s67, s56
	s_wait_alu 0xfffe
	s_lshl_b64 s[54:55], s[54:55], 2
	s_ashr_i32 s63, s62, 31
	v_cndmask_b32_e64 v55, 0, 1, s64
	s_wait_alu 0xfffe
	s_add_nc_u64 s[54:55], s[38:39], s[54:55]
	s_lshl_b64 s[56:57], s[62:63], 2
	s_and_not1_b32 vcc_lo, exec_lo, s64
	s_wait_alu 0xfffe
	s_add_nc_u64 s[58:59], s[54:55], s[56:57]
	s_mov_b32 s54, -1
	s_wait_dscnt 0x0
	s_barrier_signal -1
	s_barrier_wait -1
	global_inv scope:SCOPE_SE
                                        ; implicit-def: $vgpr14_vgpr15
	s_cbranch_vccnz .LBB68_24
; %bb.23:                               ;   in Loop: Header=BB68_3 Depth=1
	s_wait_alu 0xfffe
	v_add_co_u32 v12, vcc_lo, s58, v4
	s_wait_alu 0xfffd
	v_add_co_ci_u32_e64 v13, null, s59, v5, vcc_lo
	s_lshl_b64 s[54:55], s[12:13], 2
	s_wait_alu 0xfffe
	v_add_co_u32 v15, vcc_lo, v12, s54
	s_wait_alu 0xfffd
	v_add_co_ci_u32_e64 v16, null, s55, v13, vcc_lo
	s_mov_b32 s54, 0
	s_clause 0x1
	global_load_b32 v14, v[12:13], off
	global_load_b32 v15, v[15:16], off
.LBB68_24:                              ;   in Loop: Header=BB68_3 Depth=1
	s_wait_alu 0xfffe
	s_and_not1_b32 vcc_lo, exec_lo, s54
	s_wait_alu 0xfffe
	s_cbranch_vccnz .LBB68_32
; %bb.25:                               ;   in Loop: Header=BB68_3 Depth=1
                                        ; implicit-def: $vgpr14_vgpr15
	s_and_saveexec_b32 s54, s2
	s_wait_alu 0xfffe
	s_xor_b32 s54, exec_lo, s54
	s_cbranch_execz .LBB68_29
; %bb.26:                               ;   in Loop: Header=BB68_3 Depth=1
	v_mov_b32_e32 v1, v0
	s_wait_loadcnt 0x0
	s_delay_alu instid0(VALU_DEP_1)
	v_dual_mov_b32 v15, v1 :: v_dual_mov_b32 v14, v0
	s_and_saveexec_b32 s55, s3
	s_cbranch_execz .LBB68_28
; %bb.27:                               ;   in Loop: Header=BB68_3 Depth=1
	v_add_co_u32 v12, vcc_lo, s58, v4
	s_wait_alu 0xfffd
	v_add_co_ci_u32_e64 v13, null, s59, v5, vcc_lo
	v_mov_b32_e32 v15, v0
	global_load_b32 v14, v[12:13], off
.LBB68_28:                              ;   in Loop: Header=BB68_3 Depth=1
	s_wait_alu 0xfffe
	s_or_b32 exec_lo, exec_lo, s55
.LBB68_29:                              ;   in Loop: Header=BB68_3 Depth=1
	s_wait_alu 0xfffe
	s_and_not1_saveexec_b32 s54, s54
	s_cbranch_execz .LBB68_31
; %bb.30:                               ;   in Loop: Header=BB68_3 Depth=1
	v_add_co_u32 v12, vcc_lo, s58, v4
	s_wait_alu 0xfffd
	v_add_co_ci_u32_e64 v13, null, s59, v5, vcc_lo
	s_lshl_b64 s[64:65], s[12:13], 2
	s_wait_loadcnt 0x0
	s_wait_alu 0xfffe
	v_add_co_u32 v15, vcc_lo, v12, s64
	s_wait_alu 0xfffd
	v_add_co_ci_u32_e64 v16, null, s65, v13, vcc_lo
	s_clause 0x1
	global_load_b32 v14, v[12:13], off
	global_load_b32 v15, v[15:16], off
.LBB68_31:                              ;   in Loop: Header=BB68_3 Depth=1
	s_wait_alu 0xfffe
	s_or_b32 exec_lo, exec_lo, s54
.LBB68_32:                              ;   in Loop: Header=BB68_3 Depth=1
	s_mul_u64 s[54:55], s[34:35], s[4:5]
	s_wait_alu 0xfffe
	s_lshl_b64 s[54:55], s[54:55], 2
	s_cmp_lt_i32 s70, 1
	s_wait_alu 0xfffe
	s_add_nc_u64 s[54:55], s[24:25], s[54:55]
	s_cbranch_scc1 .LBB68_59
; %bb.33:                               ;   in Loop: Header=BB68_3 Depth=1
	s_mul_u64 s[64:65], s[20:21], s[62:63]
	v_mov_b32_e32 v60, 0
	s_wait_alu 0xfffe
	s_lshl_b64 s[64:65], s[64:65], 2
	s_wait_alu 0xfffe
	s_add_nc_u64 s[60:61], s[60:61], s[64:65]
	s_mul_u64 s[64:65], s[26:27], s[62:63]
	s_wait_alu 0xfffe
	v_add_co_u32 v12, vcc_lo, s60, v6
	s_wait_alu 0xfffd
	v_add_co_ci_u32_e64 v13, null, s61, v7, vcc_lo
	s_lshl_b64 s[64:65], s[64:65], 2
	s_cmp_eq_u32 s70, 1
	s_wait_alu 0xfffe
	s_add_nc_u64 s[64:65], s[54:55], s[64:65]
	global_load_b32 v59, v[12:13], off
	s_cbranch_scc1 .LBB68_60
; %bb.34:                               ;   in Loop: Header=BB68_3 Depth=1
	v_add_co_u32 v1, s71, v50, s56
	s_wait_alu 0xf1ff
	v_add_co_ci_u32_e64 v12, null, 0, s57, s71
	v_add_co_u32 v13, s71, v51, s56
	s_wait_alu 0xf1ff
	v_add_co_ci_u32_e64 v16, null, 0, s57, s71
	s_mul_u64 s[60:61], s[46:47], s[4:5]
	v_mul_lo_u32 v12, s20, v12
	s_wait_alu 0xfffe
	s_add_nc_u64 s[72:73], s[16:17], s[60:61]
	v_mul_lo_u32 v16, s20, v16
	s_wait_alu 0xfffe
	v_mad_co_u64_u32 v[18:19], null, s20, v1, s[72:73]
	v_mul_lo_u32 v1, s21, v1
	v_mad_co_u64_u32 v[20:21], null, s20, v13, s[72:73]
	v_mul_lo_u32 v13, s21, v13
	s_mul_u64 s[58:59], s[44:45], s[4:5]
	s_mul_u64 s[62:63], s[48:49], s[62:63]
	s_wait_alu 0xfffe
	v_add_co_u32 v57, vcc_lo, v46, s58
	s_wait_alu 0xfffd
	v_add_co_ci_u32_e64 v58, null, s59, v47, vcc_lo
	v_add_co_u32 v61, vcc_lo, v48, s58
	v_add3_u32 v19, v1, v19, v12
	v_add3_u32 v21, v13, v21, v16
	v_dual_mov_b32 v1, 0 :: v_dual_mov_b32 v12, s64
	s_wait_alu 0xfffd
	v_add_co_ci_u32_e64 v62, null, s59, v49, vcc_lo
	v_dual_mov_b32 v13, s65 :: v_dual_mov_b32 v56, 0
	v_dual_mov_b32 v17, 0 :: v_dual_mov_b32 v16, 0
	s_add_nc_u64 s[60:61], s[62:63], s[60:61]
	s_add_nc_u64 s[58:59], s[8:9], s[58:59]
	s_add_co_i32 s62, s70, -1
	s_wait_alu 0xfffe
	s_add_nc_u64 s[60:61], s[16:17], s[60:61]
.LBB68_35:                              ;   Parent Loop BB68_3 Depth=1
                                        ; =>  This Inner Loop Header: Depth=2
	v_add_co_u32 v22, vcc_lo, v18, s18
	s_wait_alu 0xfffd
	v_add_co_ci_u32_e64 v23, null, s19, v19, vcc_lo
	v_cmp_ne_u32_e32 vcc_lo, 1, v55
	s_mov_b32 s63, -1
                                        ; implicit-def: $vgpr60
                                        ; implicit-def: $vgpr63
	global_load_b32 v65, v[22:23], off
	s_cbranch_vccnz .LBB68_37
; %bb.36:                               ;   in Loop: Header=BB68_35 Depth=2
	v_add_co_u32 v22, vcc_lo, v61, s56
	s_wait_alu 0xfffd
	v_add_co_ci_u32_e64 v23, null, s57, v62, vcc_lo
	v_add_co_u32 v66, vcc_lo, v57, s56
	s_wait_alu 0xfffd
	v_add_co_ci_u32_e64 v67, null, s57, v58, vcc_lo
	global_load_b32 v63, v[22:23], off offset:64
	global_load_b32 v60, v[66:67], off offset:64
	s_mov_b32 s63, 0
.LBB68_37:                              ;   in Loop: Header=BB68_35 Depth=2
	s_delay_alu instid0(SALU_CYCLE_1)
	s_and_not1_b32 vcc_lo, exec_lo, s63
	s_wait_alu 0xfffe
	s_cbranch_vccnz .LBB68_45
; %bb.38:                               ;   in Loop: Header=BB68_35 Depth=2
	s_and_saveexec_b32 s63, s2
	s_delay_alu instid0(SALU_CYCLE_1)
	s_xor_b32 s63, exec_lo, s63
	s_cbranch_execz .LBB68_42
; %bb.39:                               ;   in Loop: Header=BB68_35 Depth=2
	s_and_saveexec_b32 s64, s3
	s_cbranch_execz .LBB68_41
; %bb.40:                               ;   in Loop: Header=BB68_35 Depth=2
	v_add_co_u32 v22, vcc_lo, v61, s56
	s_wait_alu 0xfffd
	v_add_co_ci_u32_e64 v23, null, s57, v62, vcc_lo
	global_load_b32 v17, v[22:23], off offset:64
.LBB68_41:                              ;   in Loop: Header=BB68_35 Depth=2
	s_wait_alu 0xfffe
	s_or_b32 exec_lo, exec_lo, s64
.LBB68_42:                              ;   in Loop: Header=BB68_35 Depth=2
	s_and_not1_saveexec_b32 s63, s63
	s_cbranch_execz .LBB68_44
; %bb.43:                               ;   in Loop: Header=BB68_35 Depth=2
	v_add_co_u32 v16, vcc_lo, v61, s56
	s_wait_loadcnt 0x0
	s_wait_alu 0xfffd
	v_add_co_ci_u32_e64 v17, null, s57, v62, vcc_lo
	v_add_co_u32 v22, vcc_lo, v57, s56
	s_wait_alu 0xfffd
	v_add_co_ci_u32_e64 v23, null, s57, v58, vcc_lo
	global_load_b32 v17, v[16:17], off offset:64
	global_load_b32 v16, v[22:23], off offset:64
.LBB68_44:                              ;   in Loop: Header=BB68_35 Depth=2
	s_or_b32 exec_lo, exec_lo, s63
	s_wait_loadcnt 0x0
	v_dual_mov_b32 v63, v17 :: v_dual_mov_b32 v60, v16
.LBB68_45:                              ;   in Loop: Header=BB68_35 Depth=2
	ds_load_b64 v[22:23], v29
	v_cmp_ne_u32_e32 vcc_lo, 1, v55
	s_mov_b32 s63, -1
                                        ; implicit-def: $vgpr16_vgpr17
	s_cbranch_vccnz .LBB68_47
; %bb.46:                               ;   in Loop: Header=BB68_35 Depth=2
	v_add_co_u32 v16, vcc_lo, v61, s56
	s_wait_alu 0xfffd
	v_add_co_ci_u32_e64 v17, null, s57, v62, vcc_lo
	v_add_co_u32 v66, vcc_lo, v57, s56
	s_wait_alu 0xfffd
	v_add_co_ci_u32_e64 v67, null, s57, v58, vcc_lo
	global_load_b32 v16, v[16:17], off offset:128
	global_load_b32 v17, v[66:67], off offset:128
	s_mov_b32 s63, 0
.LBB68_47:                              ;   in Loop: Header=BB68_35 Depth=2
	s_delay_alu instid0(SALU_CYCLE_1)
	s_and_not1_b32 vcc_lo, exec_lo, s63
	s_wait_alu 0xfffe
	s_cbranch_vccnz .LBB68_55
; %bb.48:                               ;   in Loop: Header=BB68_35 Depth=2
                                        ; implicit-def: $vgpr16_vgpr17
	s_and_saveexec_b32 s63, s2
	s_delay_alu instid0(SALU_CYCLE_1)
	s_xor_b32 s63, exec_lo, s63
	s_cbranch_execz .LBB68_52
; %bb.49:                               ;   in Loop: Header=BB68_35 Depth=2
	s_wait_loadcnt 0x0
	v_dual_mov_b32 v17, v15 :: v_dual_mov_b32 v16, v14
	s_and_saveexec_b32 s64, s3
	s_cbranch_execz .LBB68_51
; %bb.50:                               ;   in Loop: Header=BB68_35 Depth=2
	v_add_co_u32 v16, vcc_lo, v61, s56
	s_wait_alu 0xfffd
	v_add_co_ci_u32_e64 v17, null, s57, v62, vcc_lo
	global_load_b32 v16, v[16:17], off offset:128
	v_mov_b32_e32 v17, v15
.LBB68_51:                              ;   in Loop: Header=BB68_35 Depth=2
	s_wait_alu 0xfffe
	s_or_b32 exec_lo, exec_lo, s64
.LBB68_52:                              ;   in Loop: Header=BB68_35 Depth=2
	s_and_not1_saveexec_b32 s63, s63
	s_cbranch_execz .LBB68_54
; %bb.53:                               ;   in Loop: Header=BB68_35 Depth=2
	s_wait_loadcnt 0x0
	v_add_co_u32 v16, vcc_lo, v61, s56
	s_wait_alu 0xfffd
	v_add_co_ci_u32_e64 v17, null, s57, v62, vcc_lo
	v_add_co_u32 v66, vcc_lo, v57, s56
	s_wait_alu 0xfffd
	v_add_co_ci_u32_e64 v67, null, s57, v58, vcc_lo
	global_load_b32 v16, v[16:17], off offset:128
	global_load_b32 v17, v[66:67], off offset:128
.LBB68_54:                              ;   in Loop: Header=BB68_35 Depth=2
	s_or_b32 exec_lo, exec_lo, s63
.LBB68_55:                              ;   in Loop: Header=BB68_35 Depth=2
	v_add_co_u32 v66, vcc_lo, v20, s18
	s_wait_alu 0xfffd
	v_add_co_ci_u32_e64 v67, null, s19, v21, vcc_lo
	global_load_b32 v64, v[66:67], off
	s_wait_loadcnt_dscnt 0x300
	v_fma_f32 v66, v14, v22, 0
	s_wait_loadcnt 0x2
	v_fma_f32 v22, v63, v22, 0
	s_wait_loadcnt 0x0
	s_barrier_signal -1
	s_barrier_wait -1
	v_fmac_f32_e32 v66, v15, v23
	v_fmac_f32_e32 v22, v60, v23
	global_inv scope:SCOPE_SE
	ds_store_2addr_b32 v52, v66, v22 offset1:16
	s_wait_loadcnt_dscnt 0x0
	s_barrier_signal -1
	s_barrier_wait -1
	global_inv scope:SCOPE_SE
	s_and_saveexec_b32 s63, s0
	s_cbranch_execz .LBB68_57
; %bb.56:                               ;   in Loop: Header=BB68_35 Depth=2
	ds_load_2addr_b32 v[22:23], v25 offset1:32
	ds_load_2addr_b32 v[66:67], v25 offset0:64 offset1:96
	ds_load_2addr_b32 v[68:69], v25 offset0:128 offset1:160
	s_wait_dscnt 0x2
	v_add_f32_e32 v22, 0, v22
	s_delay_alu instid0(VALU_DEP_1) | instskip(SKIP_3) | instid1(VALU_DEP_1)
	v_add_f32_e32 v70, v22, v23
	ds_load_2addr_b32 v[22:23], v25 offset0:192 offset1:224
	s_wait_dscnt 0x2
	v_add_f32_e32 v66, v70, v66
	v_add_f32_e32 v70, v66, v67
	ds_load_2addr_b32 v[66:67], v53 offset1:32
	s_wait_dscnt 0x2
	v_add_f32_e32 v68, v70, v68
	s_delay_alu instid0(VALU_DEP_1) | instskip(SKIP_3) | instid1(VALU_DEP_1)
	v_add_f32_e32 v70, v68, v69
	ds_load_2addr_b32 v[68:69], v53 offset0:64 offset1:96
	s_wait_dscnt 0x2
	v_add_f32_e32 v22, v70, v22
	v_add_f32_e32 v22, v22, v23
	s_wait_dscnt 0x1
	s_delay_alu instid0(VALU_DEP_1) | instskip(SKIP_3) | instid1(VALU_DEP_1)
	v_add_f32_e32 v66, v22, v66
	ds_load_2addr_b32 v[22:23], v53 offset0:128 offset1:160
	v_add_f32_e32 v66, v66, v67
	s_wait_dscnt 0x1
	v_add_f32_e32 v68, v66, v68
	ds_load_2addr_b32 v[66:67], v53 offset0:192 offset1:224
	v_add_f32_e32 v68, v68, v69
	s_wait_dscnt 0x1
	s_delay_alu instid0(VALU_DEP_1) | instskip(NEXT) | instid1(VALU_DEP_1)
	v_add_f32_e32 v22, v68, v22
	v_add_f32_e32 v22, v22, v23
	s_wait_dscnt 0x0
	s_delay_alu instid0(VALU_DEP_1) | instskip(NEXT) | instid1(VALU_DEP_1)
	v_add_f32_e32 v22, v22, v66
	v_add_f32_e32 v66, v22, v67
	v_add_co_u32 v22, vcc_lo, v12, v10
	s_wait_alu 0xfffd
	v_add_co_ci_u32_e64 v23, null, v13, v11, vcc_lo
	s_delay_alu instid0(VALU_DEP_3)
	v_mul_f32_e32 v66, v54, v66
	v_add_co_u32 v12, vcc_lo, v12, s42
	s_wait_alu 0xfffd
	v_add_co_ci_u32_e64 v13, null, s43, v13, vcc_lo
	global_atomic_add_f32 v[22:23], v66, off scope:SCOPE_DEV
.LBB68_57:                              ;   in Loop: Header=BB68_35 Depth=2
	s_or_b32 exec_lo, exec_lo, s63
	v_add_co_u32 v57, vcc_lo, 0x80, v57
	s_wait_alu 0xfffd
	v_add_co_ci_u32_e64 v58, null, 0, v58, vcc_lo
	v_add_co_u32 v61, vcc_lo, 0x80, v61
	v_fmac_f32_e32 v56, v59, v15
	v_fmac_f32_e32 v1, v59, v14
	s_wait_alu 0xfffd
	v_add_co_ci_u32_e64 v62, null, 0, v62, vcc_lo
	v_add_co_u32 v18, vcc_lo, v18, s40
	s_wait_alu 0xfffd
	v_add_co_ci_u32_e64 v19, null, s41, v19, vcc_lo
	v_add_co_u32 v20, vcc_lo, v20, s40
	v_fmac_f32_e32 v56, v65, v60
	v_fmac_f32_e32 v1, v65, v63
	s_wait_alu 0xfffd
	v_add_co_ci_u32_e64 v21, null, s41, v21, vcc_lo
	s_add_co_i32 s62, s62, -1
	s_add_nc_u64 s[58:59], s[58:59], 0x80
	s_cmp_eq_u32 s62, 0
	s_add_nc_u64 s[60:61], s[60:61], s[40:41]
	s_cbranch_scc1 .LBB68_61
; %bb.58:                               ;   in Loop: Header=BB68_35 Depth=2
	v_dual_mov_b32 v59, v64 :: v_dual_mov_b32 v14, v16
	v_dual_mov_b32 v15, v17 :: v_dual_mov_b32 v16, v60
	v_mov_b32_e32 v17, v63
	s_branch .LBB68_35
.LBB68_59:                              ;   in Loop: Header=BB68_3 Depth=1
	v_dual_mov_b32 v56, 0 :: v_dual_mov_b32 v1, 0
	s_branch .LBB68_75
.LBB68_60:                              ;   in Loop: Header=BB68_3 Depth=1
	s_wait_loadcnt 0x0
	v_dual_mov_b32 v17, v15 :: v_dual_mov_b32 v64, v59
	s_wait_alu 0xfffe
	v_dual_mov_b32 v12, s64 :: v_dual_mov_b32 v13, s65
	v_dual_mov_b32 v63, 0 :: v_dual_mov_b32 v56, 0
	;; [unrolled: 1-line block ×3, first 2 shown]
	s_branch .LBB68_62
.LBB68_61:                              ;   in Loop: Header=BB68_3 Depth=1
	s_wait_alu 0xfffe
	s_add_nc_u64 s[60:61], s[60:61], s[18:19]
	s_add_nc_u64 s[58:59], s[58:59], s[56:57]
.LBB68_62:                              ;   in Loop: Header=BB68_3 Depth=1
	s_wait_alu 0xfffe
	v_add_co_u32 v14, vcc_lo, s60, v8
	s_wait_alu 0xfffd
	v_add_co_ci_u32_e64 v15, null, s61, v9, vcc_lo
	v_cmp_ne_u32_e32 vcc_lo, 1, v55
	s_mov_b32 s56, -1
                                        ; implicit-def: $vgpr18
	global_load_b32 v14, v[14:15], off
                                        ; implicit-def: $vgpr15
	s_cbranch_vccnz .LBB68_64
; %bb.63:                               ;   in Loop: Header=BB68_3 Depth=1
	v_add_co_u32 v18, vcc_lo, s58, v4
	s_wait_alu 0xfffd
	v_add_co_ci_u32_e64 v19, null, s59, v5, vcc_lo
	s_lshl_b64 s[56:57], s[12:13], 2
	s_wait_alu 0xfffe
	v_add_co_u32 v20, vcc_lo, v18, s56
	s_wait_alu 0xfffd
	v_add_co_ci_u32_e64 v21, null, s57, v19, vcc_lo
	s_mov_b32 s56, 0
	s_clause 0x1
	global_load_b32 v15, v[18:19], off offset:64
	global_load_b32 v18, v[20:21], off offset:64
.LBB68_64:                              ;   in Loop: Header=BB68_3 Depth=1
	s_wait_alu 0xfffe
	s_and_not1_b32 vcc_lo, exec_lo, s56
	s_wait_alu 0xfffe
	s_cbranch_vccnz .LBB68_72
; %bb.65:                               ;   in Loop: Header=BB68_3 Depth=1
	s_and_saveexec_b32 s56, s2
	s_wait_alu 0xfffe
	s_xor_b32 s56, exec_lo, s56
	s_cbranch_execz .LBB68_69
; %bb.66:                               ;   in Loop: Header=BB68_3 Depth=1
	s_and_saveexec_b32 s57, s3
	s_cbranch_execz .LBB68_68
; %bb.67:                               ;   in Loop: Header=BB68_3 Depth=1
	s_wait_loadcnt 0x0
	v_add_co_u32 v18, vcc_lo, s58, v4
	s_wait_alu 0xfffd
	v_add_co_ci_u32_e64 v19, null, s59, v5, vcc_lo
	global_load_b32 v63, v[18:19], off offset:64
.LBB68_68:                              ;   in Loop: Header=BB68_3 Depth=1
	s_wait_alu 0xfffe
	s_or_b32 exec_lo, exec_lo, s57
.LBB68_69:                              ;   in Loop: Header=BB68_3 Depth=1
	s_wait_alu 0xfffe
	s_and_not1_saveexec_b32 s56, s56
	s_cbranch_execz .LBB68_71
; %bb.70:                               ;   in Loop: Header=BB68_3 Depth=1
	s_wait_loadcnt 0x0
	v_add_co_u32 v18, vcc_lo, s58, v4
	s_wait_alu 0xfffd
	v_add_co_ci_u32_e64 v19, null, s59, v5, vcc_lo
	s_lshl_b64 s[58:59], s[12:13], 2
	s_wait_alu 0xfffe
	v_add_co_u32 v20, vcc_lo, v18, s58
	s_wait_alu 0xfffd
	v_add_co_ci_u32_e64 v21, null, s59, v19, vcc_lo
	s_clause 0x1
	global_load_b32 v63, v[18:19], off offset:64
	global_load_b32 v60, v[20:21], off offset:64
.LBB68_71:                              ;   in Loop: Header=BB68_3 Depth=1
	s_wait_alu 0xfffe
	s_or_b32 exec_lo, exec_lo, s56
	s_wait_loadcnt 0x0
	v_dual_mov_b32 v15, v63 :: v_dual_mov_b32 v18, v60
.LBB68_72:                              ;   in Loop: Header=BB68_3 Depth=1
	ds_load_b64 v[19:20], v29
	s_wait_storecnt 0x0
	s_wait_loadcnt_dscnt 0x0
	s_barrier_signal -1
	s_barrier_wait -1
	global_inv scope:SCOPE_SE
	v_fma_f32 v21, v16, v19, 0
	v_fma_f32 v19, v15, v19, 0
	s_delay_alu instid0(VALU_DEP_2) | instskip(NEXT) | instid1(VALU_DEP_2)
	v_fmac_f32_e32 v21, v17, v20
	v_fmac_f32_e32 v19, v18, v20
	ds_store_2addr_b32 v52, v21, v19 offset1:16
	s_wait_loadcnt_dscnt 0x0
	s_barrier_signal -1
	s_barrier_wait -1
	global_inv scope:SCOPE_SE
	s_and_saveexec_b32 s56, s0
	s_cbranch_execz .LBB68_74
; %bb.73:                               ;   in Loop: Header=BB68_3 Depth=1
	ds_load_2addr_b32 v[19:20], v25 offset1:32
	ds_load_2addr_b32 v[21:22], v25 offset0:64 offset1:96
	ds_load_2addr_b32 v[57:58], v25 offset0:128 offset1:160
	v_add_co_u32 v12, vcc_lo, v12, v10
	s_wait_alu 0xfffd
	v_add_co_ci_u32_e64 v13, null, v13, v11, vcc_lo
	s_wait_dscnt 0x2
	v_add_f32_e32 v19, 0, v19
	s_delay_alu instid0(VALU_DEP_1) | instskip(SKIP_3) | instid1(VALU_DEP_1)
	v_add_f32_e32 v23, v19, v20
	ds_load_2addr_b32 v[19:20], v25 offset0:192 offset1:224
	s_wait_dscnt 0x2
	v_add_f32_e32 v21, v23, v21
	v_add_f32_e32 v23, v21, v22
	ds_load_2addr_b32 v[21:22], v53 offset1:32
	s_wait_dscnt 0x2
	v_add_f32_e32 v23, v23, v57
	s_delay_alu instid0(VALU_DEP_1) | instskip(SKIP_3) | instid1(VALU_DEP_1)
	v_add_f32_e32 v23, v23, v58
	ds_load_2addr_b32 v[57:58], v53 offset0:64 offset1:96
	s_wait_dscnt 0x2
	v_add_f32_e32 v19, v23, v19
	v_add_f32_e32 v19, v19, v20
	s_wait_dscnt 0x1
	s_delay_alu instid0(VALU_DEP_1) | instskip(SKIP_3) | instid1(VALU_DEP_1)
	v_add_f32_e32 v21, v19, v21
	ds_load_2addr_b32 v[19:20], v53 offset0:128 offset1:160
	v_add_f32_e32 v21, v21, v22
	s_wait_dscnt 0x1
	v_add_f32_e32 v23, v21, v57
	ds_load_2addr_b32 v[21:22], v53 offset0:192 offset1:224
	v_add_f32_e32 v23, v23, v58
	s_wait_dscnt 0x1
	s_delay_alu instid0(VALU_DEP_1) | instskip(NEXT) | instid1(VALU_DEP_1)
	v_add_f32_e32 v19, v23, v19
	v_add_f32_e32 v19, v19, v20
	s_wait_dscnt 0x0
	s_delay_alu instid0(VALU_DEP_1) | instskip(NEXT) | instid1(VALU_DEP_1)
	v_add_f32_e32 v19, v19, v21
	v_add_f32_e32 v19, v19, v22
	s_delay_alu instid0(VALU_DEP_1)
	v_mul_f32_e32 v19, v54, v19
	global_atomic_add_f32 v[12:13], v19, off scope:SCOPE_DEV
.LBB68_74:                              ;   in Loop: Header=BB68_3 Depth=1
	s_wait_alu 0xfffe
	s_or_b32 exec_lo, exec_lo, s56
	v_fmac_f32_e32 v56, v64, v17
	s_delay_alu instid0(VALU_DEP_1) | instskip(NEXT) | instid1(VALU_DEP_1)
	v_dual_fmac_f32 v1, v64, v16 :: v_dual_fmac_f32 v56, v14, v18
	v_fmac_f32_e32 v1, v14, v15
.LBB68_75:                              ;   in Loop: Header=BB68_3 Depth=1
	s_cmp_lt_u32 s30, s69
	ds_store_2addr_b32 v28, v1, v56 offset1:16
	s_cselect_b32 s56, -1, 0
	s_wait_storecnt 0x0
	s_wait_loadcnt_dscnt 0x0
	s_wait_alu 0xfffe
	s_or_b32 s56, s1, s56
	s_barrier_signal -1
	s_wait_alu 0xfffe
	s_and_b32 s56, s0, s56
	s_barrier_wait -1
	global_inv scope:SCOPE_SE
	s_wait_alu 0xfffe
	s_and_b32 exec_lo, exec_lo, s56
	s_cbranch_execz .LBB68_2
; %bb.76:                               ;   in Loop: Header=BB68_3 Depth=1
	ds_load_b32 v1, v30
	ds_load_b32 v12, v31
	;; [unrolled: 1-line block ×8, first 2 shown]
	s_add_nc_u64 s[54:55], s[54:55], s[52:53]
	s_wait_dscnt 0x7
	v_add_f32_e32 v1, 0, v1
	s_wait_dscnt 0x6
	s_delay_alu instid0(VALU_DEP_1)
	v_add_f32_e32 v1, v1, v12
	ds_load_b32 v12, v38
	s_wait_dscnt 0x6
	v_add_f32_e32 v1, v1, v13
	ds_load_b32 v13, v39
	s_wait_dscnt 0x6
	;; [unrolled: 3-line block ×3, first 2 shown]
	v_add_f32_e32 v1, v1, v15
	s_wait_dscnt 0x5
	s_delay_alu instid0(VALU_DEP_1) | instskip(SKIP_1) | instid1(VALU_DEP_1)
	v_add_f32_e32 v1, v1, v16
	s_wait_dscnt 0x4
	v_add_f32_e32 v1, v1, v17
	s_wait_dscnt 0x3
	s_delay_alu instid0(VALU_DEP_1)
	v_add_f32_e32 v1, v1, v18
	ds_load_b32 v15, v41
	ds_load_b32 v16, v42
	ds_load_b32 v17, v43
	ds_load_b32 v18, v44
	ds_load_b32 v19, v45
	s_wait_dscnt 0x7
	v_add_f32_e32 v1, v1, v12
	s_wait_alu 0xfffe
	v_add_co_u32 v12, vcc_lo, s54, v10
	s_wait_dscnt 0x6
	s_delay_alu instid0(VALU_DEP_2) | instskip(SKIP_3) | instid1(VALU_DEP_2)
	v_add_f32_e32 v1, v1, v13
	s_wait_alu 0xfffd
	v_add_co_ci_u32_e64 v13, null, s55, v11, vcc_lo
	s_wait_dscnt 0x5
	v_add_f32_e32 v1, v1, v14
	s_wait_dscnt 0x4
	s_delay_alu instid0(VALU_DEP_1) | instskip(SKIP_1) | instid1(VALU_DEP_1)
	v_add_f32_e32 v1, v1, v15
	s_wait_dscnt 0x3
	v_add_f32_e32 v1, v1, v16
	s_wait_dscnt 0x2
	s_delay_alu instid0(VALU_DEP_1) | instskip(SKIP_1) | instid1(VALU_DEP_1)
	v_add_f32_e32 v1, v1, v17
	s_wait_dscnt 0x1
	v_add_f32_e32 v1, v1, v18
	s_wait_dscnt 0x0
	s_delay_alu instid0(VALU_DEP_1) | instskip(NEXT) | instid1(VALU_DEP_1)
	v_add_f32_e32 v1, v1, v19
	v_mul_f32_e32 v1, v54, v1
	global_atomic_add_f32 v[12:13], v1, off scope:SCOPE_DEV
	s_branch .LBB68_2
.LBB68_77:
	s_endpgm
	.section	.rodata,"a",@progbits
	.p2align	6, 0x0
	.amdhsa_kernel _ZL62rocblas_symv_kernel_upper_double_buffered_non_diagonal_genericILi32ELi8ELi2ELi1E24rocblas_internal_val_ptrIfEPKfPfEvbiT3_lT4_lllS6_lllT5_lllii
		.amdhsa_group_segment_fixed_size 6272
		.amdhsa_private_segment_fixed_size 0
		.amdhsa_kernarg_size 384
		.amdhsa_user_sgpr_count 4
		.amdhsa_user_sgpr_dispatch_ptr 1
		.amdhsa_user_sgpr_queue_ptr 0
		.amdhsa_user_sgpr_kernarg_segment_ptr 1
		.amdhsa_user_sgpr_dispatch_id 0
		.amdhsa_user_sgpr_private_segment_size 0
		.amdhsa_wavefront_size32 1
		.amdhsa_uses_dynamic_stack 0
		.amdhsa_enable_private_segment 0
		.amdhsa_system_sgpr_workgroup_id_x 1
		.amdhsa_system_sgpr_workgroup_id_y 1
		.amdhsa_system_sgpr_workgroup_id_z 1
		.amdhsa_system_sgpr_workgroup_info 0
		.amdhsa_system_vgpr_workitem_id 2
		.amdhsa_next_free_vgpr 71
		.amdhsa_next_free_sgpr 74
		.amdhsa_reserve_vcc 1
		.amdhsa_float_round_mode_32 0
		.amdhsa_float_round_mode_16_64 0
		.amdhsa_float_denorm_mode_32 3
		.amdhsa_float_denorm_mode_16_64 3
		.amdhsa_fp16_overflow 0
		.amdhsa_workgroup_processor_mode 1
		.amdhsa_memory_ordered 1
		.amdhsa_forward_progress 1
		.amdhsa_inst_pref_size 36
		.amdhsa_round_robin_scheduling 0
		.amdhsa_exception_fp_ieee_invalid_op 0
		.amdhsa_exception_fp_denorm_src 0
		.amdhsa_exception_fp_ieee_div_zero 0
		.amdhsa_exception_fp_ieee_overflow 0
		.amdhsa_exception_fp_ieee_underflow 0
		.amdhsa_exception_fp_ieee_inexact 0
		.amdhsa_exception_int_div_zero 0
	.end_amdhsa_kernel
	.section	.text._ZL62rocblas_symv_kernel_upper_double_buffered_non_diagonal_genericILi32ELi8ELi2ELi1E24rocblas_internal_val_ptrIfEPKfPfEvbiT3_lT4_lllS6_lllT5_lllii,"axG",@progbits,_ZL62rocblas_symv_kernel_upper_double_buffered_non_diagonal_genericILi32ELi8ELi2ELi1E24rocblas_internal_val_ptrIfEPKfPfEvbiT3_lT4_lllS6_lllT5_lllii,comdat
.Lfunc_end68:
	.size	_ZL62rocblas_symv_kernel_upper_double_buffered_non_diagonal_genericILi32ELi8ELi2ELi1E24rocblas_internal_val_ptrIfEPKfPfEvbiT3_lT4_lllS6_lllT5_lllii, .Lfunc_end68-_ZL62rocblas_symv_kernel_upper_double_buffered_non_diagonal_genericILi32ELi8ELi2ELi1E24rocblas_internal_val_ptrIfEPKfPfEvbiT3_lT4_lllS6_lllT5_lllii
                                        ; -- End function
	.set _ZL62rocblas_symv_kernel_upper_double_buffered_non_diagonal_genericILi32ELi8ELi2ELi1E24rocblas_internal_val_ptrIfEPKfPfEvbiT3_lT4_lllS6_lllT5_lllii.num_vgpr, 71
	.set _ZL62rocblas_symv_kernel_upper_double_buffered_non_diagonal_genericILi32ELi8ELi2ELi1E24rocblas_internal_val_ptrIfEPKfPfEvbiT3_lT4_lllS6_lllT5_lllii.num_agpr, 0
	.set _ZL62rocblas_symv_kernel_upper_double_buffered_non_diagonal_genericILi32ELi8ELi2ELi1E24rocblas_internal_val_ptrIfEPKfPfEvbiT3_lT4_lllS6_lllT5_lllii.numbered_sgpr, 74
	.set _ZL62rocblas_symv_kernel_upper_double_buffered_non_diagonal_genericILi32ELi8ELi2ELi1E24rocblas_internal_val_ptrIfEPKfPfEvbiT3_lT4_lllS6_lllT5_lllii.num_named_barrier, 0
	.set _ZL62rocblas_symv_kernel_upper_double_buffered_non_diagonal_genericILi32ELi8ELi2ELi1E24rocblas_internal_val_ptrIfEPKfPfEvbiT3_lT4_lllS6_lllT5_lllii.private_seg_size, 0
	.set _ZL62rocblas_symv_kernel_upper_double_buffered_non_diagonal_genericILi32ELi8ELi2ELi1E24rocblas_internal_val_ptrIfEPKfPfEvbiT3_lT4_lllS6_lllT5_lllii.uses_vcc, 1
	.set _ZL62rocblas_symv_kernel_upper_double_buffered_non_diagonal_genericILi32ELi8ELi2ELi1E24rocblas_internal_val_ptrIfEPKfPfEvbiT3_lT4_lllS6_lllT5_lllii.uses_flat_scratch, 0
	.set _ZL62rocblas_symv_kernel_upper_double_buffered_non_diagonal_genericILi32ELi8ELi2ELi1E24rocblas_internal_val_ptrIfEPKfPfEvbiT3_lT4_lllS6_lllT5_lllii.has_dyn_sized_stack, 0
	.set _ZL62rocblas_symv_kernel_upper_double_buffered_non_diagonal_genericILi32ELi8ELi2ELi1E24rocblas_internal_val_ptrIfEPKfPfEvbiT3_lT4_lllS6_lllT5_lllii.has_recursion, 0
	.set _ZL62rocblas_symv_kernel_upper_double_buffered_non_diagonal_genericILi32ELi8ELi2ELi1E24rocblas_internal_val_ptrIfEPKfPfEvbiT3_lT4_lllS6_lllT5_lllii.has_indirect_call, 0
	.section	.AMDGPU.csdata,"",@progbits
; Kernel info:
; codeLenInByte = 4604
; TotalNumSgprs: 76
; NumVgprs: 71
; ScratchSize: 0
; MemoryBound: 0
; FloatMode: 240
; IeeeMode: 1
; LDSByteSize: 6272 bytes/workgroup (compile time only)
; SGPRBlocks: 0
; VGPRBlocks: 8
; NumSGPRsForWavesPerEU: 76
; NumVGPRsForWavesPerEU: 71
; Occupancy: 16
; WaveLimiterHint : 1
; COMPUTE_PGM_RSRC2:SCRATCH_EN: 0
; COMPUTE_PGM_RSRC2:USER_SGPR: 4
; COMPUTE_PGM_RSRC2:TRAP_HANDLER: 0
; COMPUTE_PGM_RSRC2:TGID_X_EN: 1
; COMPUTE_PGM_RSRC2:TGID_Y_EN: 1
; COMPUTE_PGM_RSRC2:TGID_Z_EN: 1
; COMPUTE_PGM_RSRC2:TIDIG_COMP_CNT: 2
	.section	.text._ZL26rocblas_hemvn_kernel_upperILb0ELi64ELi4ELi33ELi32ELi16ElPKfS1_PfEviT6_lT7_lT5_lS4_lS5_lS3_lT8_i,"axG",@progbits,_ZL26rocblas_hemvn_kernel_upperILb0ELi64ELi4ELi33ELi32ELi16ElPKfS1_PfEviT6_lT7_lT5_lS4_lS5_lS3_lT8_i,comdat
	.globl	_ZL26rocblas_hemvn_kernel_upperILb0ELi64ELi4ELi33ELi32ELi16ElPKfS1_PfEviT6_lT7_lT5_lS4_lS5_lS3_lT8_i ; -- Begin function _ZL26rocblas_hemvn_kernel_upperILb0ELi64ELi4ELi33ELi32ELi16ElPKfS1_PfEviT6_lT7_lT5_lS4_lS5_lS3_lT8_i
	.p2align	8
	.type	_ZL26rocblas_hemvn_kernel_upperILb0ELi64ELi4ELi33ELi32ELi16ElPKfS1_PfEviT6_lT7_lT5_lS4_lS5_lS3_lT8_i,@function
_ZL26rocblas_hemvn_kernel_upperILb0ELi64ELi4ELi33ELi32ELi16ElPKfS1_PfEviT6_lT7_lT5_lS4_lS5_lS3_lT8_i: ; @_ZL26rocblas_hemvn_kernel_upperILb0ELi64ELi4ELi33ELi32ELi16ElPKfS1_PfEviT6_lT7_lT5_lS4_lS5_lS3_lT8_i
; %bb.0:
	s_clause 0x1
	s_load_b64 s[2:3], s[0:1], 0x84
	s_load_b32 s33, s[0:1], 0x70
	s_lshr_b32 s28, ttmp7, 16
	s_wait_kmcnt 0x0
	s_lshr_b32 s4, s2, 16
	s_and_b32 s2, s2, 0xffff
	s_and_b32 s3, s3, 0xffff
	s_mul_i32 s2, s4, s2
	s_delay_alu instid0(SALU_CYCLE_1) | instskip(NEXT) | instid1(SALU_CYCLE_1)
	s_mul_i32 s2, s2, s3
	s_cmp_lg_u32 s2, 0x100
	s_cselect_b32 s2, -1, 0
	s_cmp_ge_u32 s28, s33
	s_cselect_b32 s3, -1, 0
	s_delay_alu instid0(SALU_CYCLE_1) | instskip(NEXT) | instid1(SALU_CYCLE_1)
	s_or_b32 s2, s2, s3
	s_and_b32 vcc_lo, exec_lo, s2
	s_cbranch_vccnz .LBB69_129
; %bb.1:
	s_clause 0x1
	s_load_b256 s[20:27], s[0:1], 0x48
	s_load_b32 s4, s[0:1], 0x0
	v_dual_mov_b32 v16, 0 :: v_dual_and_b32 v33, 0x3ff, v0
	s_lshl_b32 s18, ttmp9, 6
	s_load_b512 s[36:51], s[0:1], 0x8
	v_bfe_u32 v9, v0, 10, 10
	s_delay_alu instid0(VALU_DEP_2)
	v_add_nc_u32_e32 v1, s18, v33
	s_add_nc_u64 s[6:7], s[0:1], 0x78
	v_and_b32_e32 v15, 31, v0
	s_load_b32 s30, s[6:7], 0x0
	v_lshl_add_u32 v7, v9, 6, v33
	v_ashrrev_i32_e32 v2, 31, v1
	s_load_b64 s[8:9], s[0:1], 0x68
	s_mov_b32 s2, ttmp9
	s_mov_b32 s29, 0
	v_lshrrev_b32_e32 v11, 5, v7
	s_mov_b32 s31, s29
	v_lshlrev_b32_e32 v20, 4, v9
	v_and_b32_e32 v26, 0x7ff0, v7
	s_wait_kmcnt 0x0
	v_mul_lo_u32 v8, s20, v2
	v_mul_lo_u32 v10, s21, v1
	v_mad_co_u64_u32 v[3:4], null, s20, v1, 0
	s_ashr_i32 s5, s4, 31
	v_mad_co_u64_u32 v[5:6], null, s44, v11, v[15:16]
	s_lshl_b64 s[0:1], s[50:51], 2
	s_lshr_b32 s3, s5, 26
	s_add_nc_u64 s[0:1], s[48:49], s[0:1]
	v_add3_u32 v4, v4, v8, v10
	s_add_co_i32 s3, s4, s3
	s_add_co_i32 s10, s30, -1
	s_and_not1_b32 s3, s3, 63
	s_lshl_b64 s[6:7], s[42:43], 2
	v_lshlrev_b64_e32 v[3:4], 2, v[3:4]
	s_sub_co_i32 s62, s4, s3
	s_cmp_eq_u32 ttmp9, s10
	s_add_nc_u64 s[6:7], s[40:41], s[6:7]
	v_lshlrev_b32_e32 v36, 2, v33
	s_cselect_b32 s34, s62, 0
	v_add_co_u32 v34, vcc_lo, s0, v3
	v_mov_b32_e32 v3, v6
	v_add_co_ci_u32_e64 v35, null, s1, v4, vcc_lo
	s_cmp_lg_u32 s34, 0
	v_cmp_gt_i32_e32 vcc_lo, s34, v33
	v_mad_co_u64_u32 v[3:4], null, s45, v11, v[3:4]
	s_cselect_b32 s63, -1, 0
	s_cmp_eq_u32 s34, 0
	s_mul_u64 s[40:41], s[30:31], s[4:5]
	s_cselect_b32 s1, -1, 0
	s_ashr_i32 s3, ttmp9, 31
	s_ashr_i32 s19, s18, 31
	v_mov_b32_e32 v6, v3
	s_mul_u64 s[2:3], s[4:5], s[2:3]
	s_wait_alu 0xfffe
	s_lshl_b64 s[4:5], s[18:19], 2
	s_lshl_b64 s[2:3], s[2:3], 2
	s_or_b32 s64, s1, vcc_lo
	v_lshlrev_b64_e32 v[3:4], 2, v[5:6]
	s_add_nc_u64 s[42:43], s[8:9], s[2:3]
	s_add_nc_u64 s[2:3], s[6:7], s[4:5]
	s_mul_u64 s[4:5], s[44:45], s[18:19]
	v_add_nc_u32_e32 v8, 8, v11
	v_add_nc_u32_e32 v10, 16, v11
	v_add_co_u32 v5, vcc_lo, s2, v3
	s_wait_alu 0xfffd
	v_add_co_ci_u32_e64 v6, null, s3, v4, vcc_lo
	s_lshl_b64 s[2:3], s[4:5], 2
	s_sub_co_i32 s15, s34, 32
	s_wait_alu 0xfffe
	v_add_co_u32 v38, vcc_lo, v5, s2
	v_sub_co_u32 v5, s2, 0, v15
	s_wait_alu 0xfffd
	v_add_co_ci_u32_e64 v39, null, s3, v6, vcc_lo
	s_wait_alu 0xf1ff
	v_sub_co_ci_u32_e64 v6, null, 0, 0, s2
	v_cmp_gt_i32_e64 s2, s34, v11
	v_mul_u32_u24_e32 v22, 0x84, v11
	v_cmp_gt_i32_e64 s3, s34, v8
	v_cmp_gt_i32_e64 s4, s34, v10
	v_add_nc_u32_e32 v12, 24, v11
	v_lshlrev_b32_e32 v13, 2, v11
	v_lshlrev_b32_e32 v14, 4, v11
	v_mul_u32_u24_e32 v23, 0x210, v11
	v_cmp_gt_i32_e64 s12, s15, v11
	v_cmp_gt_i32_e64 s13, s15, v8
	;; [unrolled: 1-line block ×3, first 2 shown]
	v_cmp_eq_u32_e64 s16, 1, v11
	v_mul_i32_i24_e32 v44, -12, v11
	v_and_b32_e32 v8, 15, v0
	v_lshrrev_b32_e32 v10, 2, v7
	v_and_b32_e32 v0, 48, v0
	v_or_b32_e32 v11, 60, v36
	s_add_co_i32 s17, ttmp9, 1
	s_ashr_i32 s35, s34, 31
	v_and_b32_e32 v10, 0x1ffc, v10
	v_lshlrev_b32_e32 v0, 2, v0
	v_mad_u32_u24 v51, 0x10c, v8, v11
	v_add_nc_u32_e32 v11, 0x80, v20
	s_lshl_b64 s[48:49], s[44:45], 5
	s_lshl_b64 s[50:51], s[44:45], 6
	v_cmp_gt_u32_e64 s10, 32, v7
	s_cmp_lt_u32 s17, s30
	v_mul_u32_u24_e32 v25, 0x10c, v8
	v_mad_u32_u24 v49, 0x10c, v8, v10
	v_cmp_gt_u32_e64 s17, 64, v7
	v_mad_u32_u24 v50, 0x10c, v8, v0
	v_mad_co_u64_u32 v[7:8], null, s44, v11, 0
	v_add_nc_u32_e32 v42, 0x11c0, v14
	v_or_b32_e32 v17, 1, v13
	v_cmp_eq_u32_e64 s0, 0, v9
	v_lshlrev_b32_e32 v45, 2, v9
	v_mad_u32_u24 v48, 0x430, v9, v36
	v_mad_u32_u24 v67, 0x10c, v9, v36
	v_dual_mov_b32 v0, v8 :: v_dual_lshlrev_b32 v21, 2, v15
	v_mul_u32_u24_e32 v24, 0x84, v17
	v_mul_u32_u24_e32 v17, 33, v15
	v_add_nc_u32_e32 v8, 0x8c, v20
	v_or_b32_e32 v18, 2, v13
	v_lshl_or_b32 v40, v15, 7, v21
	v_cmp_gt_i32_e64 s5, s34, v12
	v_cmp_gt_i32_e64 s15, s15, v12
	v_mad_co_u64_u32 v[11:12], null, s45, v11, v[0:1]
	s_delay_alu instid0(VALU_DEP_4)
	v_add_nc_u32_e32 v41, v40, v14
	v_add_nc_u32_e32 v14, 0x88, v20
	v_cmp_gt_u32_e64 s6, v13, v15
	v_or_b32_e32 v19, 3, v13
	v_cmp_ge_u32_e64 s7, v13, v15
	v_lshl_add_u32 v43, v17, 2, v13
	v_mad_co_u64_u32 v[9:10], null, s44, v14, 0
	v_add_nc_u32_e32 v68, v40, v13
	v_add_nc_u32_e32 v69, 0x11c0, v13
	v_mad_co_u64_u32 v[12:13], null, s44, v8, 0
	v_add_nc_u32_e32 v37, 0x11c0, v36
	v_cmp_gt_u32_e64 s8, v18, v15
	v_or_b32_e32 v18, 32, v15
	v_dual_mov_b32 v0, v10 :: v_dual_add_nc_u32 v27, 0x84, v20
	v_cmp_gt_u32_e64 s9, v19, v15
	v_sub_co_u32 v70, vcc_lo, v7, v3
	s_delay_alu instid0(VALU_DEP_4) | instskip(NEXT) | instid1(VALU_DEP_4)
	v_cmp_gt_i32_e64 s11, s34, v18
	v_mad_co_u64_u32 v[17:18], null, s45, v14, v[0:1]
	v_mad_co_u64_u32 v[18:19], null, s44, v27, 0
	v_mov_b32_e32 v0, v13
	s_wait_alu 0xfffd
	v_sub_co_ci_u32_e64 v71, null, v11, v4, vcc_lo
	v_sub_co_u32 v72, vcc_lo, v9, v3
	v_add_nc_u32_e32 v11, 0xc0, v20
	v_mad_co_u64_u32 v[8:9], null, s45, v8, v[0:1]
	v_mov_b32_e32 v7, v19
	s_wait_alu 0xfffd
	v_sub_co_ci_u32_e64 v73, null, v17, v4, vcc_lo
	v_mad_co_u64_u32 v[9:10], null, s44, v11, 0
	v_sub_co_u32 v74, vcc_lo, v12, v3
	v_mad_co_u64_u32 v[13:14], null, s45, v27, v[7:8]
	v_add_nc_u32_e32 v14, 0xc4, v20
	s_wait_alu 0xfffd
	v_sub_co_ci_u32_e64 v75, null, v8, v4, vcc_lo
	v_dual_mov_b32 v0, v10 :: v_dual_add_nc_u32 v19, 0xc8, v20
	s_delay_alu instid0(VALU_DEP_3) | instskip(SKIP_1) | instid1(VALU_DEP_3)
	v_mad_co_u64_u32 v[7:8], null, s44, v14, 0
	v_add_nc_u32_e32 v27, 0xcc, v20
	v_mad_co_u64_u32 v[10:11], null, s45, v11, v[0:1]
	s_delay_alu instid0(VALU_DEP_4)
	v_mad_co_u64_u32 v[11:12], null, s44, v19, 0
	v_sub_co_u32 v76, vcc_lo, v18, v3
	v_dual_mov_b32 v0, v8 :: v_dual_add_nc_u32 v47, 0x10c0, v20
	s_wait_alu 0xfffd
	v_sub_co_ci_u32_e64 v77, null, v13, v4, vcc_lo
	v_mad_co_u64_u32 v[17:18], null, s44, v27, 0
	s_delay_alu instid0(VALU_DEP_3)
	v_mad_co_u64_u32 v[13:14], null, s45, v14, v[0:1]
	v_mov_b32_e32 v0, v12
	v_sub_co_u32 v78, vcc_lo, v9, v3
	v_add_nc_u32_e32 v14, 0x100, v20
	s_wait_alu 0xfffd
	v_sub_co_ci_u32_e64 v79, null, v10, v4, vcc_lo
	v_mad_co_u64_u32 v[8:9], null, s45, v19, v[0:1]
	v_sub_co_u32 v80, vcc_lo, v7, v3
	v_mov_b32_e32 v7, v18
	v_mad_co_u64_u32 v[9:10], null, s44, v14, 0
	s_wait_alu 0xfffd
	v_sub_co_ci_u32_e64 v81, null, v13, v4, vcc_lo
	s_delay_alu instid0(VALU_DEP_3)
	v_mad_co_u64_u32 v[12:13], null, s45, v27, v[7:8]
	v_add_nc_u32_e32 v13, 0x104, v20
	v_sub_co_u32 v82, vcc_lo, v11, v3
	v_mov_b32_e32 v0, v10
	s_wait_alu 0xfffd
	v_sub_co_ci_u32_e64 v83, null, v8, v4, vcc_lo
	v_mad_co_u64_u32 v[7:8], null, s44, v13, 0
	v_add_nc_u32_e32 v19, 0x108, v20
	v_sub_co_u32 v84, vcc_lo, v17, v3
	v_mad_co_u64_u32 v[10:11], null, s45, v14, v[0:1]
	s_wait_alu 0xfffd
	v_sub_co_ci_u32_e64 v85, null, v12, v4, vcc_lo
	v_mad_co_u64_u32 v[11:12], null, s44, v19, 0
	v_dual_mov_b32 v0, v8 :: v_dual_add_nc_u32 v55, 16, v45
	v_add_nc_u32_e32 v27, 0x10c, v20
	v_add_nc_u32_e32 v57, 18, v45
	v_sub_co_u32 v86, vcc_lo, v9, v3
	s_delay_alu instid0(VALU_DEP_4) | instskip(NEXT) | instid1(VALU_DEP_4)
	v_mad_co_u64_u32 v[13:14], null, s45, v13, v[0:1]
	v_mad_co_u64_u32 v[17:18], null, s44, v27, 0
	v_mov_b32_e32 v0, v12
	s_wait_alu 0xfffd
	v_sub_co_ci_u32_e64 v87, null, v10, v4, vcc_lo
	v_sub_co_u32 v88, vcc_lo, v7, v3
	s_delay_alu instid0(VALU_DEP_3)
	v_mad_co_u64_u32 v[8:9], null, s45, v19, v[0:1]
	v_dual_mov_b32 v7, v18 :: v_dual_add_nc_u32 v14, 0x140, v20
	s_wait_alu 0xfffd
	v_sub_co_ci_u32_e64 v89, null, v13, v4, vcc_lo
	v_add_nc_u32_e32 v28, 0x144, v20
	v_sub_co_u32 v90, vcc_lo, v11, v3
	v_mad_co_u64_u32 v[9:10], null, s45, v27, v[7:8]
	v_mad_co_u64_u32 v[12:13], null, s44, v14, 0
	v_add_nc_u32_e32 v27, 0x148, v20
	v_mad_co_u64_u32 v[18:19], null, s44, v28, 0
	s_wait_alu 0xfffd
	v_sub_co_ci_u32_e64 v91, null, v8, v4, vcc_lo
	v_sub_co_u32 v92, vcc_lo, v17, v3
	v_dual_mov_b32 v0, v13 :: v_dual_add_nc_u32 v59, 32, v45
	s_wait_alu 0xfffd
	v_sub_co_ci_u32_e64 v93, null, v9, v4, vcc_lo
	v_mad_co_u64_u32 v[8:9], null, s44, v27, 0
	v_add_nc_u32_e32 v17, 0x14c, v20
	v_mov_b32_e32 v7, v19
	v_mad_co_u64_u32 v[10:11], null, s45, v14, v[0:1]
	v_add_nc_u32_e32 v61, 34, v45
	s_delay_alu instid0(VALU_DEP_4) | instskip(SKIP_4) | instid1(VALU_DEP_3)
	v_mad_co_u64_u32 v[19:20], null, s44, v17, 0
	v_mov_b32_e32 v0, v9
	v_sub_co_u32 v94, vcc_lo, v12, v3
	s_wait_alu 0xfffd
	v_sub_co_ci_u32_e64 v95, null, v10, v4, vcc_lo
	v_mad_co_u64_u32 v[9:10], null, s45, v27, v[0:1]
	v_mov_b32_e32 v0, v20
	v_mad_co_u64_u32 v[13:14], null, s45, v28, v[7:8]
	v_sub_co_u32 v96, vcc_lo, v18, v3
	s_delay_alu instid0(VALU_DEP_3)
	v_mad_co_u64_u32 v[10:11], null, s45, v17, v[0:1]
	s_mul_u64 s[54:55], s[20:21], s[18:19]
	v_lshlrev_b64_e32 v[17:18], 2, v[1:2]
	s_wait_alu 0xfffd
	v_sub_co_ci_u32_e64 v97, null, v13, v4, vcc_lo
	v_sub_co_u32 v98, vcc_lo, v8, v3
	s_wait_alu 0xfffd
	v_sub_co_ci_u32_e64 v99, null, v9, v4, vcc_lo
	v_sub_co_u32 v100, vcc_lo, v19, v3
	v_lshlrev_b64_e32 v[19:20], 2, v[5:6]
	v_cmp_gt_i32_e64 s1, s34, v15
	v_add_nc_u32_e32 v46, 0x10c0, v36
	v_or_b32_e32 v52, 1, v45
	v_or_b32_e32 v53, 2, v45
	;; [unrolled: 1-line block ×3, first 2 shown]
	v_add_nc_u32_e32 v56, 17, v45
	v_add_nc_u32_e32 v58, 19, v45
	;; [unrolled: 1-line block ×8, first 2 shown]
	s_wait_alu 0xfffd
	v_sub_co_ci_u32_e64 v101, null, v10, v4, vcc_lo
	v_add_nc_u32_e32 v102, v21, v22
	v_lshlrev_b32_e32 v103, 2, v15
	v_add_nc_u32_e32 v104, v21, v23
	v_add_nc_u32_e32 v105, v21, v24
	;; [unrolled: 1-line block ×3, first 2 shown]
	s_sub_nc_u64 s[56:57], 0, s[54:55]
	s_mul_u64 s[52:53], s[44:45], 0x60
	s_cselect_b32 s19, -1, 0
	s_add_co_i32 s31, s30, -2
	s_and_b32 s65, s0, s64
	s_wait_alu 0xfffe
	s_sub_nc_u64 s[54:55], 0, s[34:35]
	s_add_co_i32 s66, s18, 64
	s_lshl_b64 s[44:45], s[44:45], 8
	s_lshl_b64 s[56:57], s[56:57], 2
	s_branch .LBB69_4
.LBB69_2:                               ;   in Loop: Header=BB69_4 Depth=1
	s_wait_alu 0xfffe
	s_or_b32 exec_lo, exec_lo, s18
.LBB69_3:                               ;   in Loop: Header=BB69_4 Depth=1
	s_add_co_i32 s28, s28, 0x10000
	s_delay_alu instid0(SALU_CYCLE_1)
	s_cmp_lt_u32 s28, s33
	s_cbranch_scc0 .LBB69_129
.LBB69_4:                               ; =>This Loop Header: Depth=1
                                        ;     Child Loop BB69_69 Depth 2
	s_mul_u64 s[58:59], s[38:39], s[28:29]
	s_mul_u64 s[60:61], s[26:27], s[28:29]
	s_wait_alu 0xfffe
	s_lshl_b64 s[58:59], s[58:59], 2
	s_lshl_b64 s[60:61], s[60:61], 2
	s_wait_alu 0xfffe
	s_add_nc_u64 s[58:59], s[36:37], s[58:59]
	s_add_nc_u64 s[60:61], s[24:25], s[60:61]
	s_clause 0x1
	global_load_b32 v0, v16, s[58:59]
	global_load_b32 v1, v16, s[60:61]
	s_wait_loadcnt 0x1
	v_cmp_eq_f32_e64 s18, 0, v0
	s_wait_loadcnt 0x0
	v_cmp_eq_f32_e32 vcc_lo, 1.0, v1
	s_and_b32 s58, s18, vcc_lo
	s_wait_alu 0xfffe
	s_and_b32 vcc_lo, exec_lo, s58
	s_wait_alu 0xfffe
	s_cbranch_vccnz .LBB69_3
; %bb.5:                                ;   in Loop: Header=BB69_4 Depth=1
	s_and_b32 vcc_lo, exec_lo, s18
	s_wait_alu 0xfffe
	s_cbranch_vccnz .LBB69_3
; %bb.6:                                ;   in Loop: Header=BB69_4 Depth=1
	s_mul_u64 s[58:59], s[22:23], s[28:29]
	s_wait_alu 0xfffe
	s_lshl_b64 s[58:59], s[58:59], 2
	s_wait_alu 0xfffe
	v_add_co_u32 v4, vcc_lo, v34, s58
	s_wait_alu 0xfffd
	v_add_co_ci_u32_e64 v5, null, s59, v35, vcc_lo
	s_and_saveexec_b32 s18, s0
	s_cbranch_execz .LBB69_10
; %bb.7:                                ;   in Loop: Header=BB69_4 Depth=1
	v_mov_b32_e32 v0, 0
	s_and_saveexec_b32 s58, s64
	s_cbranch_execz .LBB69_9
; %bb.8:                                ;   in Loop: Header=BB69_4 Depth=1
	global_load_b32 v0, v[4:5], off
.LBB69_9:                               ;   in Loop: Header=BB69_4 Depth=1
	s_wait_alu 0xfffe
	s_or_b32 exec_lo, exec_lo, s58
	s_wait_loadcnt 0x0
	ds_store_b32 v37, v0
.LBB69_10:                              ;   in Loop: Header=BB69_4 Depth=1
	s_wait_alu 0xfffe
	s_or_b32 exec_lo, exec_lo, s18
	s_mul_u64 s[58:59], s[46:47], s[28:29]
	s_mov_b32 s18, -1
	s_wait_alu 0xfffe
	s_lshl_b64 s[58:59], s[58:59], 2
                                        ; implicit-def: $vgpr2_vgpr3
	s_wait_alu 0xfffe
	v_add_co_u32 v0, vcc_lo, v38, s58
	s_wait_alu 0xfffd
	v_add_co_ci_u32_e64 v1, null, s59, v39, vcc_lo
	s_and_b32 vcc_lo, exec_lo, s63
	s_wait_alu 0xfffe
	s_cbranch_vccz .LBB69_20
; %bb.11:                               ;   in Loop: Header=BB69_4 Depth=1
	v_add_co_u32 v2, vcc_lo, v0, v19
	s_wait_alu 0xfffd
	v_add_co_ci_u32_e64 v3, null, v1, v20, vcc_lo
	s_lshl_b64 s[58:59], s[34:35], 2
	v_dual_mov_b32 v7, 0 :: v_dual_mov_b32 v6, 0
	s_wait_alu 0xfffe
	v_add_co_u32 v2, vcc_lo, v2, s58
	s_wait_alu 0xfffd
	v_add_co_ci_u32_e64 v3, null, s59, v3, vcc_lo
	s_delay_alu instid0(VALU_DEP_2) | instskip(SKIP_1) | instid1(VALU_DEP_2)
	v_add_co_u32 v2, vcc_lo, v2, -4
	s_wait_alu 0xfffd
	v_add_co_ci_u32_e64 v3, null, -1, v3, vcc_lo
	s_delay_alu instid0(VALU_DEP_2) | instskip(NEXT) | instid1(VALU_DEP_2)
	v_cndmask_b32_e64 v2, v2, v0, s1
	v_cndmask_b32_e64 v3, v3, v1, s1
	s_and_saveexec_b32 s18, s2
	s_cbranch_execz .LBB69_13
; %bb.12:                               ;   in Loop: Header=BB69_4 Depth=1
	global_load_b32 v6, v[2:3], off
.LBB69_13:                              ;   in Loop: Header=BB69_4 Depth=1
	s_wait_alu 0xfffe
	s_or_b32 exec_lo, exec_lo, s18
	s_wait_loadcnt 0x0
	ds_store_b32 v102, v6
	s_and_saveexec_b32 s18, s3
	s_cbranch_execz .LBB69_15
; %bb.14:                               ;   in Loop: Header=BB69_4 Depth=1
	v_add_co_u32 v6, vcc_lo, v2, s48
	s_wait_alu 0xfffd
	v_add_co_ci_u32_e64 v7, null, s49, v3, vcc_lo
	global_load_b32 v7, v[6:7], off
.LBB69_15:                              ;   in Loop: Header=BB69_4 Depth=1
	s_wait_alu 0xfffe
	s_or_b32 exec_lo, exec_lo, s18
	v_mov_b32_e32 v6, 0
	v_mov_b32_e32 v8, 0
	s_wait_loadcnt 0x0
	ds_store_b32 v102, v7 offset:1056
	s_and_saveexec_b32 s18, s4
	s_cbranch_execz .LBB69_17
; %bb.16:                               ;   in Loop: Header=BB69_4 Depth=1
	v_add_co_u32 v7, vcc_lo, v2, s50
	s_wait_alu 0xfffd
	v_add_co_ci_u32_e64 v8, null, s51, v3, vcc_lo
	global_load_b32 v8, v[7:8], off
.LBB69_17:                              ;   in Loop: Header=BB69_4 Depth=1
	s_wait_alu 0xfffe
	s_or_b32 exec_lo, exec_lo, s18
	s_wait_loadcnt 0x0
	ds_store_b32 v102, v8 offset:2112
	s_and_saveexec_b32 s18, s5
	s_cbranch_execz .LBB69_19
; %bb.18:                               ;   in Loop: Header=BB69_4 Depth=1
	v_add_co_u32 v6, vcc_lo, v2, s52
	s_wait_alu 0xfffd
	v_add_co_ci_u32_e64 v7, null, s53, v3, vcc_lo
	global_load_b32 v6, v[6:7], off
.LBB69_19:                              ;   in Loop: Header=BB69_4 Depth=1
	s_wait_alu 0xfffe
	s_or_b32 exec_lo, exec_lo, s18
	v_add_co_u32 v2, vcc_lo, v2, v103
	s_wait_alu 0xfffd
	v_add_co_ci_u32_e64 v3, null, 0, v3, vcc_lo
	s_lshl_b64 s[58:59], s[54:55], 2
	s_mov_b32 s18, 0
	s_wait_alu 0xfffe
	v_add_co_u32 v2, vcc_lo, v2, s58
	s_wait_alu 0xfffd
	v_add_co_ci_u32_e64 v3, null, s59, v3, vcc_lo
	s_wait_loadcnt 0x0
	ds_store_b32 v102, v6 offset:3168
	v_add_co_u32 v2, vcc_lo, v2, 4
	s_wait_alu 0xfffd
	v_add_co_ci_u32_e64 v3, null, 0, v3, vcc_lo
	s_delay_alu instid0(VALU_DEP_2) | instskip(NEXT) | instid1(VALU_DEP_2)
	v_cndmask_b32_e64 v2, v2, v0, s1
	v_cndmask_b32_e64 v3, v3, v1, s1
.LBB69_20:                              ;   in Loop: Header=BB69_4 Depth=1
	s_and_b32 vcc_lo, exec_lo, s18
	s_wait_alu 0xfffe
	s_cbranch_vccz .LBB69_22
; %bb.21:                               ;   in Loop: Header=BB69_4 Depth=1
	v_add_co_u32 v2, vcc_lo, v0, s48
	s_wait_alu 0xfffd
	v_add_co_ci_u32_e64 v3, null, s49, v1, vcc_lo
	s_delay_alu instid0(VALU_DEP_2) | instskip(SKIP_1) | instid1(VALU_DEP_2)
	v_add_co_u32 v6, vcc_lo, v2, s48
	s_wait_alu 0xfffd
	v_add_co_ci_u32_e64 v7, null, s49, v3, vcc_lo
	s_delay_alu instid0(VALU_DEP_2) | instskip(SKIP_1) | instid1(VALU_DEP_2)
	v_add_co_u32 v8, vcc_lo, v6, s48
	s_wait_alu 0xfffd
	v_add_co_ci_u32_e64 v9, null, s49, v7, vcc_lo
	s_clause 0x3
	global_load_b32 v10, v[0:1], off
	global_load_b32 v11, v[2:3], off
	global_load_b32 v6, v[6:7], off
	global_load_b32 v7, v[8:9], off
	v_dual_mov_b32 v3, v1 :: v_dual_mov_b32 v2, v0
	s_wait_loadcnt 0x3
	ds_store_b32 v102, v10
	s_wait_loadcnt 0x2
	ds_store_b32 v102, v11 offset:1056
	s_wait_loadcnt 0x1
	ds_store_b32 v102, v6 offset:2112
	;; [unrolled: 2-line block ×3, first 2 shown]
.LBB69_22:                              ;   in Loop: Header=BB69_4 Depth=1
	s_wait_dscnt 0x0
	s_barrier_signal -1
	s_barrier_wait -1
	global_inv scope:SCOPE_SE
	s_and_saveexec_b32 s18, s6
	s_cbranch_execnz .LBB69_123
; %bb.23:                               ;   in Loop: Header=BB69_4 Depth=1
	s_wait_alu 0xfffe
	s_or_b32 exec_lo, exec_lo, s18
	s_and_saveexec_b32 s18, s7
	s_cbranch_execnz .LBB69_124
.LBB69_24:                              ;   in Loop: Header=BB69_4 Depth=1
	s_wait_alu 0xfffe
	s_or_b32 exec_lo, exec_lo, s18
	s_and_saveexec_b32 s18, s8
	s_cbranch_execnz .LBB69_125
.LBB69_25:                              ;   in Loop: Header=BB69_4 Depth=1
	s_wait_alu 0xfffe
	s_or_b32 exec_lo, exec_lo, s18
	s_and_saveexec_b32 s18, s9
	s_cbranch_execz .LBB69_27
.LBB69_26:                              ;   in Loop: Header=BB69_4 Depth=1
	ds_load_b32 v0, v105 offset:264
	s_wait_dscnt 0x0
	ds_store_b32 v41, v0 offset:12
.LBB69_27:                              ;   in Loop: Header=BB69_4 Depth=1
	s_wait_alu 0xfffe
	s_or_b32 exec_lo, exec_lo, s18
	s_wait_loadcnt_dscnt 0x0
	s_barrier_signal -1
	s_barrier_wait -1
	global_inv scope:SCOPE_SE
	ds_load_b32 v10, v104
	ds_load_b128 v[6:9], v42
	ds_load_2addr_b32 v[0:1], v105 offset1:33
	ds_load_b32 v11, v105 offset:264
	s_wait_loadcnt_dscnt 0x0
	s_barrier_signal -1
	s_barrier_wait -1
	global_inv scope:SCOPE_SE
	v_mov_b32_e32 v107, 0
	v_fma_f32 v6, v10, v6, 0
	s_delay_alu instid0(VALU_DEP_1) | instskip(NEXT) | instid1(VALU_DEP_1)
	v_fmac_f32_e32 v6, v0, v7
	v_fmac_f32_e32 v6, v1, v8
	s_delay_alu instid0(VALU_DEP_1)
	v_fmac_f32_e32 v6, v11, v9
	ds_store_b32 v43, v6
	s_wait_loadcnt_dscnt 0x0
	s_barrier_signal -1
	s_barrier_wait -1
	global_inv scope:SCOPE_SE
	s_and_saveexec_b32 s18, s10
	s_cbranch_execz .LBB69_29
; %bb.28:                               ;   in Loop: Header=BB69_4 Depth=1
	ds_load_2addr_b32 v[0:1], v40 offset1:1
	ds_load_2addr_b32 v[6:7], v40 offset0:2 offset1:3
	ds_load_2addr_b32 v[8:9], v40 offset0:4 offset1:5
	;; [unrolled: 1-line block ×3, first 2 shown]
	s_wait_dscnt 0x3
	v_add_f32_e32 v0, v0, v1
	s_wait_dscnt 0x2
	s_delay_alu instid0(VALU_DEP_1) | instskip(NEXT) | instid1(VALU_DEP_1)
	v_add_f32_e32 v0, v0, v6
	v_add_f32_e32 v0, v0, v7
	s_wait_dscnt 0x1
	s_delay_alu instid0(VALU_DEP_1) | instskip(NEXT) | instid1(VALU_DEP_1)
	v_add_f32_e32 v0, v0, v8
	;; [unrolled: 4-line block ×3, first 2 shown]
	v_add_f32_e32 v107, v0, v11
.LBB69_29:                              ;   in Loop: Header=BB69_4 Depth=1
	s_wait_alu 0xfffe
	s_or_b32 exec_lo, exec_lo, s18
	s_lshl_b64 s[58:59], s[48:49], 2
	s_mov_b32 s18, -1
	s_wait_alu 0xfffe
	v_add_co_u32 v6, vcc_lo, v2, s58
	s_wait_alu 0xfffd
	v_add_co_ci_u32_e64 v7, null, s59, v3, vcc_lo
	s_wait_loadcnt 0x0
	s_delay_alu instid0(VALU_DEP_2) | instskip(SKIP_1) | instid1(VALU_DEP_2)
	v_add_co_u32 v2, vcc_lo, 0x80, v6
	s_wait_alu 0xfffd
	v_add_co_ci_u32_e64 v3, null, 0, v7, vcc_lo
	s_and_b32 vcc_lo, exec_lo, s63
	s_barrier_signal -1
	s_barrier_wait -1
	global_inv scope:SCOPE_SE
                                        ; implicit-def: $vgpr0_vgpr1
	s_wait_alu 0xfffe
	s_cbranch_vccz .LBB69_39
; %bb.30:                               ;   in Loop: Header=BB69_4 Depth=1
	v_add_co_u32 v0, vcc_lo, v6, v19
	s_wait_alu 0xfffd
	v_add_co_ci_u32_e64 v1, null, v7, v20, vcc_lo
	s_lshl_b64 s[58:59], s[34:35], 2
	v_dual_mov_b32 v9, 0 :: v_dual_mov_b32 v8, 0
	s_wait_alu 0xfffe
	v_add_co_u32 v0, vcc_lo, v0, s58
	s_wait_alu 0xfffd
	v_add_co_ci_u32_e64 v1, null, s59, v1, vcc_lo
	s_delay_alu instid0(VALU_DEP_2) | instskip(SKIP_1) | instid1(VALU_DEP_2)
	v_add_co_u32 v0, vcc_lo, v0, -4
	s_wait_alu 0xfffd
	v_add_co_ci_u32_e64 v1, null, -1, v1, vcc_lo
	s_delay_alu instid0(VALU_DEP_2) | instskip(NEXT) | instid1(VALU_DEP_2)
	v_cndmask_b32_e64 v0, v0, v2, s11
	v_cndmask_b32_e64 v1, v1, v3, s11
	s_and_saveexec_b32 s18, s12
	s_cbranch_execz .LBB69_32
; %bb.31:                               ;   in Loop: Header=BB69_4 Depth=1
	global_load_b32 v8, v[0:1], off
.LBB69_32:                              ;   in Loop: Header=BB69_4 Depth=1
	s_wait_alu 0xfffe
	s_or_b32 exec_lo, exec_lo, s18
	s_wait_loadcnt 0x0
	ds_store_b32 v102, v8
	s_and_saveexec_b32 s18, s13
	s_cbranch_execz .LBB69_34
; %bb.33:                               ;   in Loop: Header=BB69_4 Depth=1
	v_add_co_u32 v8, vcc_lo, v0, s48
	s_wait_alu 0xfffd
	v_add_co_ci_u32_e64 v9, null, s49, v1, vcc_lo
	global_load_b32 v9, v[8:9], off
.LBB69_34:                              ;   in Loop: Header=BB69_4 Depth=1
	s_wait_alu 0xfffe
	s_or_b32 exec_lo, exec_lo, s18
	v_mov_b32_e32 v8, 0
	v_mov_b32_e32 v10, 0
	s_wait_loadcnt 0x0
	ds_store_b32 v102, v9 offset:1056
	s_and_saveexec_b32 s18, s14
	s_cbranch_execz .LBB69_36
; %bb.35:                               ;   in Loop: Header=BB69_4 Depth=1
	v_add_co_u32 v9, vcc_lo, v0, s50
	s_wait_alu 0xfffd
	v_add_co_ci_u32_e64 v10, null, s51, v1, vcc_lo
	global_load_b32 v10, v[9:10], off
.LBB69_36:                              ;   in Loop: Header=BB69_4 Depth=1
	s_wait_alu 0xfffe
	s_or_b32 exec_lo, exec_lo, s18
	s_wait_loadcnt 0x0
	ds_store_b32 v102, v10 offset:2112
	s_and_saveexec_b32 s18, s15
	s_cbranch_execz .LBB69_38
; %bb.37:                               ;   in Loop: Header=BB69_4 Depth=1
	v_add_co_u32 v8, vcc_lo, v0, s52
	s_wait_alu 0xfffd
	v_add_co_ci_u32_e64 v9, null, s53, v1, vcc_lo
	global_load_b32 v8, v[8:9], off
.LBB69_38:                              ;   in Loop: Header=BB69_4 Depth=1
	s_wait_alu 0xfffe
	s_or_b32 exec_lo, exec_lo, s18
	v_add_co_u32 v0, vcc_lo, v0, v103
	s_wait_alu 0xfffd
	v_add_co_ci_u32_e64 v1, null, 0, v1, vcc_lo
	s_lshl_b64 s[58:59], s[54:55], 2
	s_mov_b32 s18, 0
	s_wait_alu 0xfffe
	v_add_co_u32 v0, vcc_lo, v0, s58
	s_wait_alu 0xfffd
	v_add_co_ci_u32_e64 v1, null, s59, v1, vcc_lo
	s_wait_loadcnt 0x0
	ds_store_b32 v102, v8 offset:3168
	v_add_co_u32 v0, vcc_lo, 0x84, v0
	s_wait_alu 0xfffd
	v_add_co_ci_u32_e64 v1, null, 0, v1, vcc_lo
	s_delay_alu instid0(VALU_DEP_2) | instskip(NEXT) | instid1(VALU_DEP_2)
	v_cndmask_b32_e64 v0, v0, v2, s11
	v_cndmask_b32_e64 v1, v1, v3, s11
.LBB69_39:                              ;   in Loop: Header=BB69_4 Depth=1
	s_and_b32 vcc_lo, exec_lo, s18
	s_wait_alu 0xfffe
	s_cbranch_vccz .LBB69_41
; %bb.40:                               ;   in Loop: Header=BB69_4 Depth=1
	v_add_co_u32 v0, vcc_lo, v6, s48
	s_wait_alu 0xfffd
	v_add_co_ci_u32_e64 v1, null, s49, v7, vcc_lo
	s_delay_alu instid0(VALU_DEP_2) | instskip(SKIP_1) | instid1(VALU_DEP_2)
	v_add_co_u32 v8, vcc_lo, v0, s48
	s_wait_alu 0xfffd
	v_add_co_ci_u32_e64 v9, null, s49, v1, vcc_lo
	s_delay_alu instid0(VALU_DEP_2) | instskip(SKIP_1) | instid1(VALU_DEP_2)
	v_add_co_u32 v10, vcc_lo, v8, s48
	s_wait_alu 0xfffd
	v_add_co_ci_u32_e64 v11, null, s49, v9, vcc_lo
	s_clause 0x3
	global_load_b32 v6, v[6:7], off offset:128
	global_load_b32 v7, v[0:1], off offset:128
	;; [unrolled: 1-line block ×4, first 2 shown]
	v_dual_mov_b32 v0, v2 :: v_dual_mov_b32 v1, v3
	s_wait_loadcnt 0x3
	ds_store_b32 v102, v6
	s_wait_loadcnt 0x2
	ds_store_b32 v102, v7 offset:1056
	s_wait_loadcnt 0x1
	ds_store_b32 v102, v8 offset:2112
	;; [unrolled: 2-line block ×3, first 2 shown]
.LBB69_41:                              ;   in Loop: Header=BB69_4 Depth=1
	s_wait_loadcnt_dscnt 0x0
	s_barrier_signal -1
	s_barrier_wait -1
	global_inv scope:SCOPE_SE
	s_and_saveexec_b32 s18, s6
	s_cbranch_execnz .LBB69_126
; %bb.42:                               ;   in Loop: Header=BB69_4 Depth=1
	s_wait_alu 0xfffe
	s_or_b32 exec_lo, exec_lo, s18
	s_and_saveexec_b32 s18, s7
	s_cbranch_execnz .LBB69_127
.LBB69_43:                              ;   in Loop: Header=BB69_4 Depth=1
	s_wait_alu 0xfffe
	s_or_b32 exec_lo, exec_lo, s18
	s_and_saveexec_b32 s18, s8
	s_cbranch_execnz .LBB69_128
.LBB69_44:                              ;   in Loop: Header=BB69_4 Depth=1
	s_wait_alu 0xfffe
	s_or_b32 exec_lo, exec_lo, s18
	s_and_saveexec_b32 s18, s9
	s_cbranch_execz .LBB69_46
.LBB69_45:                              ;   in Loop: Header=BB69_4 Depth=1
	ds_load_b32 v2, v105 offset:264
	s_wait_dscnt 0x0
	ds_store_b32 v41, v2 offset:12
.LBB69_46:                              ;   in Loop: Header=BB69_4 Depth=1
	s_wait_alu 0xfffe
	s_or_b32 exec_lo, exec_lo, s18
	s_wait_loadcnt_dscnt 0x0
	s_barrier_signal -1
	s_barrier_wait -1
	global_inv scope:SCOPE_SE
	ds_load_b32 v10, v104
	ds_load_b128 v[6:9], v42 offset:128
	ds_load_2addr_b32 v[2:3], v105 offset1:33
	ds_load_b32 v11, v105 offset:264
	s_wait_loadcnt_dscnt 0x0
	s_barrier_signal -1
	s_barrier_wait -1
	global_inv scope:SCOPE_SE
	v_fma_f32 v6, v10, v6, 0
	s_delay_alu instid0(VALU_DEP_1) | instskip(NEXT) | instid1(VALU_DEP_1)
	v_fmac_f32_e32 v6, v2, v7
	v_fmac_f32_e32 v6, v3, v8
	s_delay_alu instid0(VALU_DEP_1)
	v_fmac_f32_e32 v6, v11, v9
	ds_store_b32 v43, v6
	s_wait_loadcnt_dscnt 0x0
	s_barrier_signal -1
	s_barrier_wait -1
	global_inv scope:SCOPE_SE
	s_and_saveexec_b32 s18, s16
	s_cbranch_execz .LBB69_48
; %bb.47:                               ;   in Loop: Header=BB69_4 Depth=1
	ds_load_2addr_b32 v[2:3], v40 offset1:1
	ds_load_2addr_b32 v[6:7], v40 offset0:2 offset1:3
	ds_load_2addr_b32 v[8:9], v40 offset0:4 offset1:5
	;; [unrolled: 1-line block ×3, first 2 shown]
	s_wait_dscnt 0x3
	v_add_f32_e32 v2, v2, v3
	s_wait_dscnt 0x2
	s_delay_alu instid0(VALU_DEP_1) | instskip(NEXT) | instid1(VALU_DEP_1)
	v_add_f32_e32 v2, v2, v6
	v_add_f32_e32 v2, v2, v7
	s_wait_dscnt 0x1
	s_delay_alu instid0(VALU_DEP_1) | instskip(NEXT) | instid1(VALU_DEP_1)
	v_add_f32_e32 v2, v2, v8
	;; [unrolled: 4-line block ×3, first 2 shown]
	v_add_f32_e32 v107, v2, v11
.LBB69_48:                              ;   in Loop: Header=BB69_4 Depth=1
	s_wait_alu 0xfffe
	s_or_b32 exec_lo, exec_lo, s18
	v_add_co_u32 v2, vcc_lo, 0xffffff80, v0
	s_wait_alu 0xfffd
	v_add_co_ci_u32_e64 v3, null, -1, v1, vcc_lo
	s_and_b32 vcc_lo, exec_lo, s63
	s_mov_b32 s18, -1
	s_wait_loadcnt 0x0
	s_barrier_signal -1
	s_barrier_wait -1
	global_inv scope:SCOPE_SE
                                        ; implicit-def: $vgpr6_vgpr7
	s_wait_alu 0xfffe
	s_cbranch_vccz .LBB69_58
; %bb.49:                               ;   in Loop: Header=BB69_4 Depth=1
	v_add_co_u32 v6, vcc_lo, v0, v19
	s_wait_alu 0xfffd
	v_add_co_ci_u32_e64 v7, null, v1, v20, vcc_lo
	s_lshl_b64 s[58:59], s[34:35], 2
	v_dual_mov_b32 v9, 0 :: v_dual_mov_b32 v8, 0
	s_wait_alu 0xfffe
	v_add_co_u32 v6, vcc_lo, v6, s58
	s_wait_alu 0xfffd
	v_add_co_ci_u32_e64 v7, null, s59, v7, vcc_lo
	s_delay_alu instid0(VALU_DEP_2) | instskip(SKIP_1) | instid1(VALU_DEP_2)
	v_add_co_u32 v6, vcc_lo, 0xffffff7c, v6
	s_wait_alu 0xfffd
	v_add_co_ci_u32_e64 v7, null, -1, v7, vcc_lo
	s_delay_alu instid0(VALU_DEP_2) | instskip(NEXT) | instid1(VALU_DEP_2)
	v_cndmask_b32_e64 v6, v6, v2, s1
	v_cndmask_b32_e64 v7, v7, v3, s1
	s_and_saveexec_b32 s18, s12
	s_cbranch_execz .LBB69_51
; %bb.50:                               ;   in Loop: Header=BB69_4 Depth=1
	global_load_b32 v8, v[6:7], off
.LBB69_51:                              ;   in Loop: Header=BB69_4 Depth=1
	s_wait_alu 0xfffe
	s_or_b32 exec_lo, exec_lo, s18
	s_wait_loadcnt 0x0
	ds_store_b32 v102, v8
	s_and_saveexec_b32 s18, s13
	s_cbranch_execz .LBB69_53
; %bb.52:                               ;   in Loop: Header=BB69_4 Depth=1
	v_add_co_u32 v8, vcc_lo, v6, s48
	s_wait_alu 0xfffd
	v_add_co_ci_u32_e64 v9, null, s49, v7, vcc_lo
	global_load_b32 v9, v[8:9], off
.LBB69_53:                              ;   in Loop: Header=BB69_4 Depth=1
	s_wait_alu 0xfffe
	s_or_b32 exec_lo, exec_lo, s18
	v_mov_b32_e32 v8, 0
	v_mov_b32_e32 v10, 0
	s_wait_loadcnt 0x0
	ds_store_b32 v102, v9 offset:1056
	s_and_saveexec_b32 s18, s14
	s_cbranch_execz .LBB69_55
; %bb.54:                               ;   in Loop: Header=BB69_4 Depth=1
	v_add_co_u32 v9, vcc_lo, v6, s50
	s_wait_alu 0xfffd
	v_add_co_ci_u32_e64 v10, null, s51, v7, vcc_lo
	global_load_b32 v10, v[9:10], off
.LBB69_55:                              ;   in Loop: Header=BB69_4 Depth=1
	s_wait_alu 0xfffe
	s_or_b32 exec_lo, exec_lo, s18
	s_wait_loadcnt 0x0
	ds_store_b32 v102, v10 offset:2112
	s_and_saveexec_b32 s18, s15
	s_cbranch_execz .LBB69_57
; %bb.56:                               ;   in Loop: Header=BB69_4 Depth=1
	v_add_co_u32 v8, vcc_lo, v6, s52
	s_wait_alu 0xfffd
	v_add_co_ci_u32_e64 v9, null, s53, v7, vcc_lo
	global_load_b32 v8, v[8:9], off
.LBB69_57:                              ;   in Loop: Header=BB69_4 Depth=1
	s_wait_alu 0xfffe
	s_or_b32 exec_lo, exec_lo, s18
	v_add_co_u32 v6, vcc_lo, v6, v103
	s_wait_alu 0xfffd
	v_add_co_ci_u32_e64 v7, null, 0, v7, vcc_lo
	s_lshl_b64 s[58:59], s[54:55], 2
	s_mov_b32 s18, 0
	s_wait_alu 0xfffe
	v_add_co_u32 v6, vcc_lo, v6, s58
	s_wait_alu 0xfffd
	v_add_co_ci_u32_e64 v7, null, s59, v7, vcc_lo
	s_wait_loadcnt 0x0
	ds_store_b32 v102, v8 offset:3168
	v_add_co_u32 v6, vcc_lo, v6, 4
	s_wait_alu 0xfffd
	v_add_co_ci_u32_e64 v7, null, 0, v7, vcc_lo
	s_delay_alu instid0(VALU_DEP_2) | instskip(NEXT) | instid1(VALU_DEP_2)
	v_cndmask_b32_e64 v6, v6, v2, s1
	v_cndmask_b32_e64 v7, v7, v3, s1
.LBB69_58:                              ;   in Loop: Header=BB69_4 Depth=1
	s_and_b32 vcc_lo, exec_lo, s18
	s_wait_alu 0xfffe
	s_cbranch_vccz .LBB69_60
; %bb.59:                               ;   in Loop: Header=BB69_4 Depth=1
	v_add_co_u32 v6, vcc_lo, v0, s48
	s_wait_alu 0xfffd
	v_add_co_ci_u32_e64 v7, null, s49, v1, vcc_lo
	s_delay_alu instid0(VALU_DEP_2) | instskip(SKIP_1) | instid1(VALU_DEP_2)
	v_add_co_u32 v8, vcc_lo, v6, s48
	s_wait_alu 0xfffd
	v_add_co_ci_u32_e64 v9, null, s49, v7, vcc_lo
	s_delay_alu instid0(VALU_DEP_2) | instskip(SKIP_1) | instid1(VALU_DEP_2)
	v_add_co_u32 v10, vcc_lo, v8, s48
	s_wait_alu 0xfffd
	v_add_co_ci_u32_e64 v11, null, s49, v9, vcc_lo
	s_clause 0x3
	global_load_b32 v0, v[0:1], off offset:-128
	global_load_b32 v1, v[6:7], off offset:-128
	;; [unrolled: 1-line block ×4, first 2 shown]
	v_dual_mov_b32 v7, v3 :: v_dual_mov_b32 v6, v2
	s_wait_loadcnt 0x3
	ds_store_b32 v102, v0
	s_wait_loadcnt 0x2
	ds_store_b32 v102, v1 offset:1056
	s_wait_loadcnt 0x1
	ds_store_b32 v102, v8 offset:2112
	;; [unrolled: 2-line block ×3, first 2 shown]
.LBB69_60:                              ;   in Loop: Header=BB69_4 Depth=1
	v_add_nc_u32_e32 v0, v41, v44
	v_add_nc_u32_e32 v1, v42, v44
	s_wait_loadcnt_dscnt 0x0
	s_barrier_signal -1
	s_barrier_wait -1
	global_inv scope:SCOPE_SE
	ds_load_b32 v0, v0
	ds_load_b32 v1, v1
	ds_load_2addr_b32 v[12:13], v68 offset0:8 offset1:16
	ds_load_2addr_b32 v[14:15], v69 offset0:8 offset1:16
	ds_load_b32 v21, v68 offset:96
	ds_load_b32 v22, v69 offset:96
	;; [unrolled: 1-line block ×3, first 2 shown]
	s_wait_dscnt 0x5
	v_fma_f32 v23, v0, v1, 0
	ds_load_b32 v11, v104
	ds_load_2addr_b32 v[8:9], v105 offset1:33
	ds_load_b128 v[0:3], v42 offset:128
	s_wait_loadcnt_dscnt 0x0
	s_barrier_signal -1
	s_barrier_wait -1
	v_fmac_f32_e32 v23, v12, v14
	global_inv scope:SCOPE_SE
	v_fmac_f32_e32 v23, v13, v15
	s_delay_alu instid0(VALU_DEP_1)
	v_fmac_f32_e32 v23, v21, v22
	ds_store_b32 v43, v23
	s_wait_loadcnt_dscnt 0x0
	s_barrier_signal -1
	s_barrier_wait -1
	global_inv scope:SCOPE_SE
	s_and_saveexec_b32 s18, s16
	s_cbranch_execz .LBB69_62
; %bb.61:                               ;   in Loop: Header=BB69_4 Depth=1
	ds_load_2addr_b32 v[12:13], v40 offset1:1
	ds_load_2addr_b32 v[14:15], v40 offset0:2 offset1:3
	ds_load_2addr_b32 v[21:22], v40 offset0:4 offset1:5
	;; [unrolled: 1-line block ×3, first 2 shown]
	s_wait_dscnt 0x3
	v_add_f32_e32 v12, v107, v12
	s_delay_alu instid0(VALU_DEP_1) | instskip(SKIP_1) | instid1(VALU_DEP_1)
	v_add_f32_e32 v12, v12, v13
	s_wait_dscnt 0x2
	v_add_f32_e32 v12, v12, v14
	s_delay_alu instid0(VALU_DEP_1) | instskip(SKIP_1) | instid1(VALU_DEP_1)
	v_add_f32_e32 v12, v12, v15
	;; [unrolled: 4-line block ×3, first 2 shown]
	s_wait_dscnt 0x0
	v_add_f32_e32 v12, v12, v23
	s_delay_alu instid0(VALU_DEP_1)
	v_add_f32_e32 v107, v12, v24
.LBB69_62:                              ;   in Loop: Header=BB69_4 Depth=1
	s_wait_alu 0xfffe
	s_or_b32 exec_lo, exec_lo, s18
	v_fma_f32 v0, v11, v0, 0
	s_wait_loadcnt 0x0
	s_barrier_signal -1
	s_barrier_wait -1
	global_inv scope:SCOPE_SE
	v_fmac_f32_e32 v0, v8, v1
	s_delay_alu instid0(VALU_DEP_1) | instskip(NEXT) | instid1(VALU_DEP_1)
	v_fmac_f32_e32 v0, v9, v2
	v_fmac_f32_e32 v0, v10, v3
	ds_store_b32 v43, v0
	s_wait_loadcnt_dscnt 0x0
	s_barrier_signal -1
	s_barrier_wait -1
	global_inv scope:SCOPE_SE
	s_and_saveexec_b32 s18, s10
	s_cbranch_execz .LBB69_64
; %bb.63:                               ;   in Loop: Header=BB69_4 Depth=1
	ds_load_2addr_b32 v[0:1], v40 offset1:1
	ds_load_2addr_b32 v[2:3], v40 offset0:2 offset1:3
	ds_load_2addr_b32 v[8:9], v40 offset0:4 offset1:5
	ds_load_2addr_b32 v[10:11], v40 offset0:6 offset1:7
	s_wait_dscnt 0x3
	v_add_f32_e32 v0, v107, v0
	s_delay_alu instid0(VALU_DEP_1) | instskip(SKIP_1) | instid1(VALU_DEP_1)
	v_add_f32_e32 v0, v0, v1
	s_wait_dscnt 0x2
	v_add_f32_e32 v0, v0, v2
	s_delay_alu instid0(VALU_DEP_1) | instskip(SKIP_1) | instid1(VALU_DEP_1)
	v_add_f32_e32 v0, v0, v3
	;; [unrolled: 4-line block ×3, first 2 shown]
	s_wait_dscnt 0x0
	v_add_f32_e32 v0, v0, v10
	s_delay_alu instid0(VALU_DEP_1)
	v_add_f32_e32 v107, v0, v11
.LBB69_64:                              ;   in Loop: Header=BB69_4 Depth=1
	s_wait_alu 0xfffe
	s_or_b32 exec_lo, exec_lo, s18
	s_mul_u64 s[58:59], s[40:41], s[28:29]
	s_and_not1_b32 vcc_lo, exec_lo, s19
	s_wait_alu 0xfffe
	s_lshl_b64 s[58:59], s[58:59], 2
	s_wait_loadcnt 0x0
	s_wait_alu 0xfffe
	s_add_nc_u64 s[58:59], s[42:43], s[58:59]
	s_barrier_signal -1
	s_barrier_wait -1
	global_inv scope:SCOPE_SE
	s_cbranch_vccnz .LBB69_121
; %bb.65:                               ;   in Loop: Header=BB69_4 Depth=1
	v_add_co_u32 v108, vcc_lo, v4, s56
	s_wait_alu 0xfffd
	v_add_co_ci_u32_e64 v109, null, s57, v5, vcc_lo
	v_add_co_u32 v110, vcc_lo, v6, v70
	s_wait_alu 0xfffd
	v_add_co_ci_u32_e64 v111, null, v7, v71, vcc_lo
	;; [unrolled: 3-line block ×17, first 2 shown]
	s_mov_b32 s67, ttmp9
	s_mov_b32 s60, s66
	s_cmp_eq_u32 s31, s67
	s_cselect_b32 s68, s62, 0
	s_and_saveexec_b32 s18, s0
	s_cbranch_execz .LBB69_69
.LBB69_66:                              ;   in Loop: Header=BB69_4 Depth=1
	s_wait_alu 0xfffe
	v_cmp_gt_i32_e32 vcc_lo, s68, v33
	s_cmp_eq_u32 s68, 0
	v_mov_b32_e32 v0, 0
	s_cselect_b32 s61, -1, 0
	s_wait_alu 0xfffe
	s_or_b32 s61, s61, vcc_lo
	s_wait_alu 0xfffe
	s_and_saveexec_b32 s69, s61
	s_cbranch_execz .LBB69_68
; %bb.67:                               ;   in Loop: Header=BB69_4 Depth=1
	s_ashr_i32 s61, s60, 31
	s_wait_alu 0xfffe
	s_mul_u64 s[70:71], s[20:21], s[60:61]
	s_wait_alu 0xfffe
	s_lshl_b64 s[70:71], s[70:71], 2
	s_wait_alu 0xfffe
	v_add_co_u32 v0, vcc_lo, v108, s70
	s_wait_alu 0xfffd
	v_add_co_ci_u32_e64 v1, null, s71, v109, vcc_lo
	global_load_b32 v0, v[0:1], off
.LBB69_68:                              ;   in Loop: Header=BB69_4 Depth=1
	s_wait_alu 0xfffe
	s_or_b32 exec_lo, exec_lo, s69
	s_wait_loadcnt 0x0
	ds_store_b32 v46, v0
.LBB69_69:                              ;   Parent Loop BB69_4 Depth=1
                                        ; =>  This Inner Loop Header: Depth=2
	s_wait_alu 0xfffe
	s_or_b32 exec_lo, exec_lo, s18
	s_cmp_eq_u32 s68, 0
	v_add_co_u32 v0, vcc_lo, v110, v36
	s_cselect_b32 s61, -1, 0
	s_cmp_lg_u32 s68, 0
	s_wait_alu 0xfffd
	v_add_co_ci_u32_e64 v1, null, 0, v111, vcc_lo
	s_cselect_b32 s18, -1, 0
	s_mov_b32 s69, -1
	s_wait_alu 0xfffe
	s_and_b32 vcc_lo, exec_lo, s18
	s_wait_loadcnt_dscnt 0x0
	s_barrier_signal -1
	s_barrier_wait -1
	global_inv scope:SCOPE_SE
                                        ; implicit-def: $vgpr145
                                        ; implicit-def: $vgpr144
                                        ; implicit-def: $vgpr142
                                        ; implicit-def: $vgpr143
	s_wait_alu 0xfffe
	s_cbranch_vccz .LBB69_79
; %bb.70:                               ;   in Loop: Header=BB69_69 Depth=2
	v_dual_mov_b32 v142, 0 :: v_dual_mov_b32 v143, 0
	s_mov_b32 s69, exec_lo
	v_cmpx_gt_i32_e64 s68, v45
	s_cbranch_execz .LBB69_72
; %bb.71:                               ;   in Loop: Header=BB69_69 Depth=2
	global_load_b32 v143, v[0:1], off
.LBB69_72:                              ;   in Loop: Header=BB69_69 Depth=2
	s_wait_alu 0xfffe
	s_or_b32 exec_lo, exec_lo, s69
	s_delay_alu instid0(SALU_CYCLE_1)
	s_mov_b32 s69, exec_lo
	v_cmpx_gt_i32_e64 s68, v52
	s_cbranch_execz .LBB69_74
; %bb.73:                               ;   in Loop: Header=BB69_69 Depth=2
	v_add_co_u32 v2, vcc_lo, v116, v36
	s_wait_alu 0xfffd
	v_add_co_ci_u32_e64 v3, null, 0, v117, vcc_lo
	global_load_b32 v142, v[2:3], off
.LBB69_74:                              ;   in Loop: Header=BB69_69 Depth=2
	s_wait_alu 0xfffe
	s_or_b32 exec_lo, exec_lo, s69
	v_dual_mov_b32 v145, 0 :: v_dual_mov_b32 v144, 0
	s_mov_b32 s69, exec_lo
	v_cmpx_gt_i32_e64 s68, v53
	s_cbranch_execz .LBB69_76
; %bb.75:                               ;   in Loop: Header=BB69_69 Depth=2
	v_add_co_u32 v2, vcc_lo, v112, v36
	s_wait_alu 0xfffd
	v_add_co_ci_u32_e64 v3, null, 0, v113, vcc_lo
	global_load_b32 v144, v[2:3], off
.LBB69_76:                              ;   in Loop: Header=BB69_69 Depth=2
	s_wait_alu 0xfffe
	s_or_b32 exec_lo, exec_lo, s69
	s_delay_alu instid0(SALU_CYCLE_1)
	s_mov_b32 s69, exec_lo
	v_cmpx_gt_i32_e64 s68, v54
	s_cbranch_execz .LBB69_78
; %bb.77:                               ;   in Loop: Header=BB69_69 Depth=2
	v_add_co_u32 v2, vcc_lo, v114, v36
	s_wait_alu 0xfffd
	v_add_co_ci_u32_e64 v3, null, 0, v115, vcc_lo
	global_load_b32 v145, v[2:3], off
.LBB69_78:                              ;   in Loop: Header=BB69_69 Depth=2
	s_wait_alu 0xfffe
	s_or_b32 exec_lo, exec_lo, s69
	s_mov_b32 s69, 0
.LBB69_79:                              ;   in Loop: Header=BB69_69 Depth=2
	s_wait_alu 0xfffe
	s_and_b32 vcc_lo, exec_lo, s69
	s_wait_alu 0xfffe
	s_cbranch_vccz .LBB69_81
; %bb.80:                               ;   in Loop: Header=BB69_69 Depth=2
	s_wait_loadcnt 0x0
	global_load_b32 v143, v[0:1], off
	v_add_co_u32 v0, vcc_lo, v116, v36
	s_wait_alu 0xfffd
	v_add_co_ci_u32_e64 v1, null, 0, v117, vcc_lo
	global_load_b32 v142, v[0:1], off
	v_add_co_u32 v0, vcc_lo, v112, v36
	s_wait_alu 0xfffd
	v_add_co_ci_u32_e64 v1, null, 0, v113, vcc_lo
	;; [unrolled: 4-line block ×3, first 2 shown]
	global_load_b32 v145, v[0:1], off
.LBB69_81:                              ;   in Loop: Header=BB69_69 Depth=2
	ds_load_b32 v4, v37
	ds_load_b128 v[0:3], v47
	v_cndmask_b32_e64 v12, 0, 1, s18
                                        ; implicit-def: $vgpr148
                                        ; implicit-def: $vgpr149
                                        ; implicit-def: $vgpr146
                                        ; implicit-def: $vgpr147
	s_wait_loadcnt_dscnt 0x1
	v_mul_f32_e32 v5, v143, v4
	v_mul_f32_e32 v6, v142, v4
	;; [unrolled: 1-line block ×4, first 2 shown]
	ds_store_2addr_b32 v48, v5, v6 offset1:67
	ds_store_2addr_b32 v48, v7, v4 offset0:134 offset1:201
	s_wait_dscnt 0x0
	s_barrier_signal -1
	s_barrier_wait -1
	global_inv scope:SCOPE_SE
	ds_load_2addr_b32 v[23:24], v106 offset1:1
	ds_load_2addr_b32 v[21:22], v106 offset0:2 offset1:3
	v_add_co_u32 v4, vcc_lo, v118, v36
	s_wait_alu 0xfffd
	v_add_co_ci_u32_e64 v5, null, 0, v119, vcc_lo
	s_and_not1_b32 vcc_lo, exec_lo, s18
	s_mov_b32 s18, -1
	s_wait_loadcnt_dscnt 0x0
	s_barrier_signal -1
	s_barrier_wait -1
	global_inv scope:SCOPE_SE
	s_wait_alu 0xfffe
	s_cbranch_vccnz .LBB69_91
; %bb.82:                               ;   in Loop: Header=BB69_69 Depth=2
	v_dual_mov_b32 v146, 0 :: v_dual_mov_b32 v147, 0
	s_mov_b32 s18, exec_lo
	v_cmpx_gt_i32_e64 s68, v55
	s_cbranch_execz .LBB69_84
; %bb.83:                               ;   in Loop: Header=BB69_69 Depth=2
	global_load_b32 v147, v[4:5], off
.LBB69_84:                              ;   in Loop: Header=BB69_69 Depth=2
	s_wait_alu 0xfffe
	s_or_b32 exec_lo, exec_lo, s18
	s_delay_alu instid0(SALU_CYCLE_1)
	s_mov_b32 s18, exec_lo
	v_cmpx_gt_i32_e64 s68, v56
	s_cbranch_execz .LBB69_86
; %bb.85:                               ;   in Loop: Header=BB69_69 Depth=2
	v_add_co_u32 v6, vcc_lo, v120, v36
	s_wait_alu 0xfffd
	v_add_co_ci_u32_e64 v7, null, 0, v121, vcc_lo
	global_load_b32 v146, v[6:7], off
.LBB69_86:                              ;   in Loop: Header=BB69_69 Depth=2
	s_wait_alu 0xfffe
	s_or_b32 exec_lo, exec_lo, s18
	v_dual_mov_b32 v148, 0 :: v_dual_mov_b32 v149, 0
	s_mov_b32 s18, exec_lo
	v_cmpx_gt_i32_e64 s68, v57
	s_cbranch_execz .LBB69_88
; %bb.87:                               ;   in Loop: Header=BB69_69 Depth=2
	v_add_co_u32 v6, vcc_lo, v122, v36
	s_wait_alu 0xfffd
	v_add_co_ci_u32_e64 v7, null, 0, v123, vcc_lo
	global_load_b32 v149, v[6:7], off
.LBB69_88:                              ;   in Loop: Header=BB69_69 Depth=2
	s_wait_alu 0xfffe
	s_or_b32 exec_lo, exec_lo, s18
	s_delay_alu instid0(SALU_CYCLE_1)
	s_mov_b32 s18, exec_lo
	v_cmpx_gt_i32_e64 s68, v58
	s_cbranch_execz .LBB69_90
; %bb.89:                               ;   in Loop: Header=BB69_69 Depth=2
	v_add_co_u32 v6, vcc_lo, v124, v36
	s_wait_alu 0xfffd
	v_add_co_ci_u32_e64 v7, null, 0, v125, vcc_lo
	global_load_b32 v148, v[6:7], off
.LBB69_90:                              ;   in Loop: Header=BB69_69 Depth=2
	s_wait_alu 0xfffe
	s_or_b32 exec_lo, exec_lo, s18
	s_mov_b32 s18, 0
.LBB69_91:                              ;   in Loop: Header=BB69_69 Depth=2
	s_wait_alu 0xfffe
	s_and_b32 vcc_lo, exec_lo, s18
	s_wait_alu 0xfffe
	s_cbranch_vccz .LBB69_93
; %bb.92:                               ;   in Loop: Header=BB69_69 Depth=2
	v_add_co_u32 v6, vcc_lo, v120, v36
	s_wait_alu 0xfffd
	v_add_co_ci_u32_e64 v7, null, 0, v121, vcc_lo
	v_add_co_u32 v8, vcc_lo, v122, v36
	s_wait_alu 0xfffd
	v_add_co_ci_u32_e64 v9, null, 0, v123, vcc_lo
	;; [unrolled: 3-line block ×3, first 2 shown]
	s_wait_loadcnt 0x0
	global_load_b32 v147, v[4:5], off
	global_load_b32 v146, v[6:7], off
	;; [unrolled: 1-line block ×4, first 2 shown]
.LBB69_93:                              ;   in Loop: Header=BB69_69 Depth=2
	ds_load_b32 v8, v37
	ds_load_b128 v[4:7], v47 offset:64
	v_cmp_ne_u32_e32 vcc_lo, 1, v12
                                        ; implicit-def: $vgpr152
                                        ; implicit-def: $vgpr153
                                        ; implicit-def: $vgpr150
                                        ; implicit-def: $vgpr151
	s_and_b32 vcc_lo, exec_lo, vcc_lo
	s_wait_loadcnt_dscnt 0x1
	v_mul_f32_e32 v9, v147, v8
	v_mul_f32_e32 v10, v146, v8
	;; [unrolled: 1-line block ×4, first 2 shown]
	ds_store_2addr_b32 v48, v9, v10 offset1:67
	ds_store_2addr_b32 v48, v11, v8 offset0:134 offset1:201
	s_wait_dscnt 0x0
	s_barrier_signal -1
	s_barrier_wait -1
	global_inv scope:SCOPE_SE
	ds_load_2addr_b32 v[27:28], v106 offset1:1
	ds_load_2addr_b32 v[25:26], v106 offset0:2 offset1:3
	v_add_co_u32 v8, s18, v126, v36
	s_wait_alu 0xf1ff
	v_add_co_ci_u32_e64 v9, null, 0, v127, s18
	s_mov_b32 s18, -1
	s_wait_loadcnt_dscnt 0x0
	s_barrier_signal -1
	s_barrier_wait -1
	global_inv scope:SCOPE_SE
	s_wait_alu 0xfffe
	s_cbranch_vccnz .LBB69_103
; %bb.94:                               ;   in Loop: Header=BB69_69 Depth=2
	v_dual_mov_b32 v150, 0 :: v_dual_mov_b32 v151, 0
	s_mov_b32 s18, exec_lo
	v_cmpx_gt_i32_e64 s68, v59
	s_cbranch_execz .LBB69_96
; %bb.95:                               ;   in Loop: Header=BB69_69 Depth=2
	global_load_b32 v151, v[8:9], off
.LBB69_96:                              ;   in Loop: Header=BB69_69 Depth=2
	s_wait_alu 0xfffe
	s_or_b32 exec_lo, exec_lo, s18
	s_delay_alu instid0(SALU_CYCLE_1)
	s_mov_b32 s18, exec_lo
	v_cmpx_gt_i32_e64 s68, v60
	s_cbranch_execz .LBB69_98
; %bb.97:                               ;   in Loop: Header=BB69_69 Depth=2
	v_add_co_u32 v10, vcc_lo, v128, v36
	s_wait_alu 0xfffd
	v_add_co_ci_u32_e64 v11, null, 0, v129, vcc_lo
	global_load_b32 v150, v[10:11], off
.LBB69_98:                              ;   in Loop: Header=BB69_69 Depth=2
	s_wait_alu 0xfffe
	s_or_b32 exec_lo, exec_lo, s18
	v_dual_mov_b32 v152, 0 :: v_dual_mov_b32 v153, 0
	s_mov_b32 s18, exec_lo
	v_cmpx_gt_i32_e64 s68, v61
	s_cbranch_execz .LBB69_100
; %bb.99:                               ;   in Loop: Header=BB69_69 Depth=2
	v_add_co_u32 v10, vcc_lo, v130, v36
	s_wait_alu 0xfffd
	v_add_co_ci_u32_e64 v11, null, 0, v131, vcc_lo
	global_load_b32 v153, v[10:11], off
.LBB69_100:                             ;   in Loop: Header=BB69_69 Depth=2
	s_wait_alu 0xfffe
	s_or_b32 exec_lo, exec_lo, s18
	s_delay_alu instid0(SALU_CYCLE_1)
	s_mov_b32 s18, exec_lo
	v_cmpx_gt_i32_e64 s68, v62
	s_cbranch_execz .LBB69_102
; %bb.101:                              ;   in Loop: Header=BB69_69 Depth=2
	v_add_co_u32 v10, vcc_lo, v132, v36
	s_wait_alu 0xfffd
	v_add_co_ci_u32_e64 v11, null, 0, v133, vcc_lo
	global_load_b32 v152, v[10:11], off
.LBB69_102:                             ;   in Loop: Header=BB69_69 Depth=2
	s_wait_alu 0xfffe
	s_or_b32 exec_lo, exec_lo, s18
	s_mov_b32 s18, 0
.LBB69_103:                             ;   in Loop: Header=BB69_69 Depth=2
	s_wait_alu 0xfffe
	s_and_b32 vcc_lo, exec_lo, s18
	s_wait_alu 0xfffe
	s_cbranch_vccz .LBB69_105
; %bb.104:                              ;   in Loop: Header=BB69_69 Depth=2
	v_add_co_u32 v10, vcc_lo, v128, v36
	s_wait_alu 0xfffd
	v_add_co_ci_u32_e64 v11, null, 0, v129, vcc_lo
	v_add_co_u32 v13, vcc_lo, v130, v36
	s_wait_alu 0xfffd
	v_add_co_ci_u32_e64 v14, null, 0, v131, vcc_lo
	;; [unrolled: 3-line block ×3, first 2 shown]
	s_wait_loadcnt 0x0
	global_load_b32 v151, v[8:9], off
	global_load_b32 v150, v[10:11], off
	;; [unrolled: 1-line block ×4, first 2 shown]
.LBB69_105:                             ;   in Loop: Header=BB69_69 Depth=2
	ds_load_b32 v13, v37
	ds_load_b128 v[8:11], v47 offset:128
	v_cmp_ne_u32_e32 vcc_lo, 1, v12
	v_add_co_u32 v12, s18, v134, v36
                                        ; implicit-def: $vgpr156
                                        ; implicit-def: $vgpr157
                                        ; implicit-def: $vgpr154
                                        ; implicit-def: $vgpr155
	s_and_b32 vcc_lo, exec_lo, vcc_lo
	s_wait_loadcnt_dscnt 0x1
	v_mul_f32_e32 v14, v151, v13
	v_mul_f32_e32 v15, v150, v13
	v_mul_f32_e32 v29, v153, v13
	v_mul_f32_e32 v13, v152, v13
	ds_store_2addr_b32 v48, v14, v15 offset1:67
	ds_store_2addr_b32 v48, v29, v13 offset0:134 offset1:201
	s_wait_dscnt 0x0
	s_barrier_signal -1
	s_barrier_wait -1
	global_inv scope:SCOPE_SE
	ds_load_2addr_b32 v[31:32], v106 offset1:1
	ds_load_2addr_b32 v[29:30], v106 offset0:2 offset1:3
	s_wait_alu 0xf1ff
	v_add_co_ci_u32_e64 v13, null, 0, v135, s18
	s_mov_b32 s18, -1
	s_wait_loadcnt_dscnt 0x0
	s_barrier_signal -1
	s_barrier_wait -1
	global_inv scope:SCOPE_SE
	s_wait_alu 0xfffe
	s_cbranch_vccnz .LBB69_115
; %bb.106:                              ;   in Loop: Header=BB69_69 Depth=2
	v_dual_mov_b32 v154, 0 :: v_dual_mov_b32 v155, 0
	s_mov_b32 s18, exec_lo
	v_cmpx_gt_i32_e64 s68, v63
	s_cbranch_execz .LBB69_108
; %bb.107:                              ;   in Loop: Header=BB69_69 Depth=2
	global_load_b32 v155, v[12:13], off
.LBB69_108:                             ;   in Loop: Header=BB69_69 Depth=2
	s_wait_alu 0xfffe
	s_or_b32 exec_lo, exec_lo, s18
	s_delay_alu instid0(SALU_CYCLE_1)
	s_mov_b32 s18, exec_lo
	v_cmpx_gt_i32_e64 s68, v64
	s_cbranch_execz .LBB69_110
; %bb.109:                              ;   in Loop: Header=BB69_69 Depth=2
	v_add_co_u32 v14, vcc_lo, v136, v36
	s_wait_alu 0xfffd
	v_add_co_ci_u32_e64 v15, null, 0, v137, vcc_lo
	global_load_b32 v154, v[14:15], off
.LBB69_110:                             ;   in Loop: Header=BB69_69 Depth=2
	s_wait_alu 0xfffe
	s_or_b32 exec_lo, exec_lo, s18
	v_dual_mov_b32 v156, 0 :: v_dual_mov_b32 v157, 0
	s_mov_b32 s18, exec_lo
	v_cmpx_gt_i32_e64 s68, v65
	s_cbranch_execz .LBB69_112
; %bb.111:                              ;   in Loop: Header=BB69_69 Depth=2
	v_add_co_u32 v14, vcc_lo, v138, v36
	s_wait_alu 0xfffd
	v_add_co_ci_u32_e64 v15, null, 0, v139, vcc_lo
	global_load_b32 v157, v[14:15], off
.LBB69_112:                             ;   in Loop: Header=BB69_69 Depth=2
	s_wait_alu 0xfffe
	s_or_b32 exec_lo, exec_lo, s18
	s_delay_alu instid0(SALU_CYCLE_1)
	s_mov_b32 s18, exec_lo
	v_cmpx_gt_i32_e64 s68, v66
	s_cbranch_execz .LBB69_114
; %bb.113:                              ;   in Loop: Header=BB69_69 Depth=2
	v_add_co_u32 v14, vcc_lo, v140, v36
	s_wait_alu 0xfffd
	v_add_co_ci_u32_e64 v15, null, 0, v141, vcc_lo
	global_load_b32 v156, v[14:15], off
.LBB69_114:                             ;   in Loop: Header=BB69_69 Depth=2
	s_wait_alu 0xfffe
	s_or_b32 exec_lo, exec_lo, s18
	s_mov_b32 s18, 0
.LBB69_115:                             ;   in Loop: Header=BB69_69 Depth=2
	s_wait_alu 0xfffe
	s_and_b32 vcc_lo, exec_lo, s18
	s_wait_alu 0xfffe
	s_cbranch_vccz .LBB69_117
; %bb.116:                              ;   in Loop: Header=BB69_69 Depth=2
	v_add_co_u32 v14, vcc_lo, v136, v36
	s_wait_alu 0xfffd
	v_add_co_ci_u32_e64 v15, null, 0, v137, vcc_lo
	s_wait_loadcnt 0x0
	v_add_co_u32 v156, vcc_lo, v138, v36
	s_wait_alu 0xfffd
	v_add_co_ci_u32_e64 v157, null, 0, v139, vcc_lo
	v_add_co_u32 v158, vcc_lo, v140, v36
	s_wait_alu 0xfffd
	v_add_co_ci_u32_e64 v159, null, 0, v141, vcc_lo
	global_load_b32 v155, v[12:13], off
	global_load_b32 v154, v[14:15], off
	;; [unrolled: 1-line block ×4, first 2 shown]
.LBB69_117:                             ;   in Loop: Header=BB69_69 Depth=2
	ds_load_b32 v158, v37
	ds_load_b128 v[12:15], v47 offset:192
	v_cmp_gt_i32_e32 vcc_lo, s68, v33
	v_add_f32_e32 v31, 0, v31
	v_add_f32_e32 v27, 0, v27
	s_or_b32 s18, s61, vcc_lo
	s_delay_alu instid0(VALU_DEP_2) | instskip(NEXT) | instid1(VALU_DEP_2)
	v_add_f32_e32 v31, v31, v32
	v_add_f32_e32 v27, v27, v28
	s_wait_alu 0xfffe
	s_and_b32 s61, s17, s18
	s_delay_alu instid0(VALU_DEP_1)
	v_add_f32_e32 v25, v27, v25
	s_wait_loadcnt_dscnt 0x1
	v_mul_f32_e32 v159, v155, v158
	v_mul_f32_e32 v160, v154, v158
	;; [unrolled: 1-line block ×4, first 2 shown]
	ds_store_2addr_b32 v48, v159, v160 offset1:67
	ds_store_2addr_b32 v48, v161, v158 offset0:134 offset1:201
	s_wait_dscnt 0x0
	s_barrier_signal -1
	s_barrier_wait -1
	global_inv scope:SCOPE_SE
	ds_load_2addr_b32 v[158:159], v106 offset1:1
	ds_load_2addr_b32 v[160:161], v106 offset0:2 offset1:3
	v_add_f32_e32 v23, 0, v23
	s_wait_loadcnt_dscnt 0x0
	s_barrier_signal -1
	s_barrier_wait -1
	global_inv scope:SCOPE_SE
	v_dual_add_f32 v158, 0, v158 :: v_dual_add_f32 v23, v23, v24
	s_delay_alu instid0(VALU_DEP_1) | instskip(NEXT) | instid1(VALU_DEP_1)
	v_dual_add_f32 v24, v158, v159 :: v_dual_add_f32 v21, v23, v21
	v_dual_add_f32 v28, v31, v29 :: v_dual_add_f32 v23, v24, v160
	v_add_f32_e32 v25, v25, v26
	s_delay_alu instid0(VALU_DEP_3) | instskip(NEXT) | instid1(VALU_DEP_3)
	v_add_f32_e32 v21, v21, v22
	v_add_f32_e32 v24, v28, v30
	s_delay_alu instid0(VALU_DEP_4)
	v_add_f32_e32 v22, v23, v161
	ds_store_2addr_b32 v49, v21, v25 offset1:16
	ds_store_2addr_b32 v49, v24, v22 offset0:32 offset1:48
	s_wait_loadcnt_dscnt 0x0
	s_barrier_signal -1
	s_barrier_wait -1
	global_inv scope:SCOPE_SE
	s_wait_alu 0xfffe
	s_and_saveexec_b32 s18, s61
	s_cbranch_execz .LBB69_119
; %bb.118:                              ;   in Loop: Header=BB69_69 Depth=2
	ds_load_2addr_b32 v[21:22], v50 offset1:1
	ds_load_2addr_b32 v[23:24], v50 offset0:2 offset1:3
	ds_load_2addr_b32 v[25:26], v50 offset0:4 offset1:5
	;; [unrolled: 1-line block ×3, first 2 shown]
	s_wait_dscnt 0x3
	v_add_f32_e32 v21, v21, v22
	s_wait_dscnt 0x2
	s_delay_alu instid0(VALU_DEP_1) | instskip(NEXT) | instid1(VALU_DEP_1)
	v_add_f32_e32 v21, v21, v23
	v_add_f32_e32 v23, v21, v24
	ds_load_2addr_b32 v[21:22], v50 offset0:8 offset1:9
	s_wait_dscnt 0x2
	v_add_f32_e32 v23, v23, v25
	s_delay_alu instid0(VALU_DEP_1) | instskip(SKIP_3) | instid1(VALU_DEP_1)
	v_add_f32_e32 v25, v23, v26
	ds_load_2addr_b32 v[23:24], v50 offset0:10 offset1:11
	s_wait_dscnt 0x2
	v_add_f32_e32 v25, v25, v27
	v_add_f32_e32 v27, v25, v28
	ds_load_2addr_b32 v[25:26], v50 offset0:12 offset1:13
	ds_load_b32 v28, v50 offset:56
	s_wait_dscnt 0x3
	v_add_f32_e32 v21, v27, v21
	s_delay_alu instid0(VALU_DEP_1) | instskip(SKIP_1) | instid1(VALU_DEP_1)
	v_add_f32_e32 v21, v21, v22
	s_wait_dscnt 0x2
	v_add_f32_e32 v21, v21, v23
	ds_load_b32 v23, v51
	v_add_f32_e32 v21, v21, v24
	s_wait_dscnt 0x2
	s_delay_alu instid0(VALU_DEP_1) | instskip(NEXT) | instid1(VALU_DEP_1)
	v_add_f32_e32 v22, v21, v25
	v_dual_add_f32 v24, v22, v26 :: v_dual_add_nc_u32 v21, s60, v33
	s_delay_alu instid0(VALU_DEP_1) | instskip(SKIP_1) | instid1(VALU_DEP_2)
	v_ashrrev_i32_e32 v22, 31, v21
	s_wait_dscnt 0x1
	v_add_f32_e32 v24, v24, v28
	s_delay_alu instid0(VALU_DEP_2) | instskip(SKIP_1) | instid1(VALU_DEP_2)
	v_lshlrev_b64_e32 v[21:22], 2, v[21:22]
	s_wait_dscnt 0x0
	v_add_f32_e32 v23, v24, v23
	s_delay_alu instid0(VALU_DEP_2) | instskip(SKIP_1) | instid1(VALU_DEP_3)
	v_add_co_u32 v21, vcc_lo, s58, v21
	s_wait_alu 0xfffd
	v_add_co_ci_u32_e64 v22, null, s59, v22, vcc_lo
	global_store_b32 v[21:22], v23, off
.LBB69_119:                             ;   in Loop: Header=BB69_69 Depth=2
	s_wait_alu 0xfffe
	s_or_b32 exec_lo, exec_lo, s18
	v_fmac_f32_e32 v107, v143, v0
	v_add_co_u32 v110, vcc_lo, v110, s44
	s_wait_alu 0xfffd
	v_add_co_ci_u32_e64 v111, null, s45, v111, vcc_lo
	s_delay_alu instid0(VALU_DEP_3) | instskip(SKIP_3) | instid1(VALU_DEP_3)
	v_fmac_f32_e32 v107, v142, v1
	v_add_co_u32 v112, vcc_lo, v112, s44
	s_wait_alu 0xfffd
	v_add_co_ci_u32_e64 v113, null, s45, v113, vcc_lo
	v_fmac_f32_e32 v107, v144, v2
	v_add_co_u32 v114, vcc_lo, v114, s44
	s_wait_alu 0xfffd
	v_add_co_ci_u32_e64 v115, null, s45, v115, vcc_lo
	s_delay_alu instid0(VALU_DEP_3) | instskip(SKIP_3) | instid1(VALU_DEP_3)
	v_fmac_f32_e32 v107, v145, v3
	v_add_co_u32 v116, vcc_lo, v116, s44
	s_wait_alu 0xfffd
	v_add_co_ci_u32_e64 v117, null, s45, v117, vcc_lo
	v_fmac_f32_e32 v107, v147, v4
	v_add_co_u32 v118, vcc_lo, v118, s44
	s_wait_alu 0xfffd
	v_add_co_ci_u32_e64 v119, null, s45, v119, vcc_lo
	s_delay_alu instid0(VALU_DEP_3) | instskip(SKIP_3) | instid1(VALU_DEP_3)
	v_fmac_f32_e32 v107, v146, v5
	v_add_co_u32 v120, vcc_lo, v120, s44
	s_wait_alu 0xfffd
	v_add_co_ci_u32_e64 v121, null, s45, v121, vcc_lo
	v_fmac_f32_e32 v107, v149, v6
	v_add_co_u32 v122, vcc_lo, v122, s44
	s_wait_alu 0xfffd
	v_add_co_ci_u32_e64 v123, null, s45, v123, vcc_lo
	s_delay_alu instid0(VALU_DEP_3) | instskip(SKIP_3) | instid1(VALU_DEP_3)
	v_fmac_f32_e32 v107, v148, v7
	v_add_co_u32 v124, vcc_lo, v124, s44
	s_wait_alu 0xfffd
	v_add_co_ci_u32_e64 v125, null, s45, v125, vcc_lo
	v_fmac_f32_e32 v107, v151, v8
	v_add_co_u32 v126, vcc_lo, v126, s44
	s_wait_alu 0xfffd
	v_add_co_ci_u32_e64 v127, null, s45, v127, vcc_lo
	s_delay_alu instid0(VALU_DEP_3) | instskip(SKIP_3) | instid1(VALU_DEP_3)
	v_fmac_f32_e32 v107, v150, v9
	v_add_co_u32 v128, vcc_lo, v128, s44
	s_wait_alu 0xfffd
	v_add_co_ci_u32_e64 v129, null, s45, v129, vcc_lo
	v_fmac_f32_e32 v107, v153, v10
	v_add_co_u32 v130, vcc_lo, v130, s44
	s_wait_alu 0xfffd
	v_add_co_ci_u32_e64 v131, null, s45, v131, vcc_lo
	s_delay_alu instid0(VALU_DEP_3) | instskip(SKIP_3) | instid1(VALU_DEP_3)
	v_fmac_f32_e32 v107, v152, v11
	v_add_co_u32 v132, vcc_lo, v132, s44
	s_wait_alu 0xfffd
	v_add_co_ci_u32_e64 v133, null, s45, v133, vcc_lo
	v_fmac_f32_e32 v107, v155, v12
	v_add_co_u32 v134, vcc_lo, v134, s44
	s_wait_alu 0xfffd
	v_add_co_ci_u32_e64 v135, null, s45, v135, vcc_lo
	s_delay_alu instid0(VALU_DEP_3) | instskip(SKIP_3) | instid1(VALU_DEP_3)
	v_fmac_f32_e32 v107, v154, v13
	v_add_co_u32 v136, vcc_lo, v136, s44
	s_wait_alu 0xfffd
	v_add_co_ci_u32_e64 v137, null, s45, v137, vcc_lo
	v_fmac_f32_e32 v107, v157, v14
	v_add_co_u32 v138, vcc_lo, v138, s44
	s_wait_alu 0xfffd
	v_add_co_ci_u32_e64 v139, null, s45, v139, vcc_lo
	v_add_co_u32 v140, vcc_lo, v140, s44
	v_fmac_f32_e32 v107, v156, v15
	s_wait_alu 0xfffd
	v_add_co_ci_u32_e64 v141, null, s45, v141, vcc_lo
	s_add_co_i32 s61, s67, 2
	s_add_co_i32 s18, s67, 1
	;; [unrolled: 1-line block ×3, first 2 shown]
	s_wait_alu 0xfffe
	s_cmp_ge_u32 s61, s30
	s_wait_loadcnt 0x0
	s_wait_storecnt 0x0
	s_barrier_signal -1
	s_barrier_wait -1
	global_inv scope:SCOPE_SE
	s_cbranch_scc1 .LBB69_121
; %bb.120:                              ;   in Loop: Header=BB69_69 Depth=2
	s_mov_b32 s67, s18
	s_delay_alu instid0(SALU_CYCLE_1)
	s_cmp_eq_u32 s31, s67
	s_cselect_b32 s68, s62, 0
	s_and_saveexec_b32 s18, s0
	s_cbranch_execnz .LBB69_66
	s_branch .LBB69_69
.LBB69_121:                             ;   in Loop: Header=BB69_4 Depth=1
	ds_store_b32 v67, v107
	s_wait_loadcnt_dscnt 0x0
	s_barrier_signal -1
	s_barrier_wait -1
	global_inv scope:SCOPE_SE
	s_and_saveexec_b32 s18, s65
	s_cbranch_execz .LBB69_2
; %bb.122:                              ;   in Loop: Header=BB69_4 Depth=1
	ds_load_2addr_b32 v[0:1], v36 offset1:67
	ds_load_2addr_b32 v[2:3], v36 offset0:134 offset1:201
	s_wait_dscnt 0x1
	v_add_f32_e32 v0, v0, v1
	s_wait_dscnt 0x0
	s_delay_alu instid0(VALU_DEP_1) | instskip(NEXT) | instid1(VALU_DEP_1)
	v_add_f32_e32 v0, v0, v2
	v_add_f32_e32 v2, v0, v3
	s_wait_alu 0xfffe
	v_add_co_u32 v0, vcc_lo, s58, v17
	s_wait_alu 0xfffd
	v_add_co_ci_u32_e64 v1, null, s59, v18, vcc_lo
	global_store_b32 v[0:1], v2, off
	s_branch .LBB69_2
.LBB69_123:                             ;   in Loop: Header=BB69_4 Depth=1
	ds_load_b32 v0, v104
	s_wait_dscnt 0x0
	ds_store_b32 v41, v0
	s_wait_alu 0xfffe
	s_or_b32 exec_lo, exec_lo, s18
	s_and_saveexec_b32 s18, s7
	s_cbranch_execz .LBB69_24
.LBB69_124:                             ;   in Loop: Header=BB69_4 Depth=1
	ds_load_b32 v0, v105
	s_wait_dscnt 0x0
	ds_store_b32 v41, v0 offset:4
	s_wait_alu 0xfffe
	s_or_b32 exec_lo, exec_lo, s18
	s_and_saveexec_b32 s18, s8
	s_cbranch_execz .LBB69_25
.LBB69_125:                             ;   in Loop: Header=BB69_4 Depth=1
	ds_load_b32 v0, v105 offset:132
	s_wait_dscnt 0x0
	ds_store_b32 v41, v0 offset:8
	s_wait_alu 0xfffe
	s_or_b32 exec_lo, exec_lo, s18
	s_and_saveexec_b32 s18, s9
	s_cbranch_execnz .LBB69_26
	s_branch .LBB69_27
.LBB69_126:                             ;   in Loop: Header=BB69_4 Depth=1
	ds_load_b32 v2, v104
	s_wait_dscnt 0x0
	ds_store_b32 v41, v2
	s_wait_alu 0xfffe
	s_or_b32 exec_lo, exec_lo, s18
	s_and_saveexec_b32 s18, s7
	s_cbranch_execz .LBB69_43
.LBB69_127:                             ;   in Loop: Header=BB69_4 Depth=1
	ds_load_b32 v2, v105
	s_wait_dscnt 0x0
	ds_store_b32 v41, v2 offset:4
	s_wait_alu 0xfffe
	s_or_b32 exec_lo, exec_lo, s18
	s_and_saveexec_b32 s18, s8
	s_cbranch_execz .LBB69_44
.LBB69_128:                             ;   in Loop: Header=BB69_4 Depth=1
	ds_load_b32 v2, v105 offset:132
	s_wait_dscnt 0x0
	ds_store_b32 v41, v2 offset:8
	s_wait_alu 0xfffe
	s_or_b32 exec_lo, exec_lo, s18
	s_and_saveexec_b32 s18, s9
	s_cbranch_execnz .LBB69_45
	s_branch .LBB69_46
.LBB69_129:
	s_nop 0
	s_sendmsg sendmsg(MSG_DEALLOC_VGPRS)
	s_endpgm
	.section	.rodata,"a",@progbits
	.p2align	6, 0x0
	.amdhsa_kernel _ZL26rocblas_hemvn_kernel_upperILb0ELi64ELi4ELi33ELi32ELi16ElPKfS1_PfEviT6_lT7_lT5_lS4_lS5_lS3_lT8_i
		.amdhsa_group_segment_fixed_size 4800
		.amdhsa_private_segment_fixed_size 0
		.amdhsa_kernarg_size 376
		.amdhsa_user_sgpr_count 2
		.amdhsa_user_sgpr_dispatch_ptr 0
		.amdhsa_user_sgpr_queue_ptr 0
		.amdhsa_user_sgpr_kernarg_segment_ptr 1
		.amdhsa_user_sgpr_dispatch_id 0
		.amdhsa_user_sgpr_private_segment_size 0
		.amdhsa_wavefront_size32 1
		.amdhsa_uses_dynamic_stack 0
		.amdhsa_enable_private_segment 0
		.amdhsa_system_sgpr_workgroup_id_x 1
		.amdhsa_system_sgpr_workgroup_id_y 0
		.amdhsa_system_sgpr_workgroup_id_z 1
		.amdhsa_system_sgpr_workgroup_info 0
		.amdhsa_system_vgpr_workitem_id 1
		.amdhsa_next_free_vgpr 162
		.amdhsa_next_free_sgpr 72
		.amdhsa_reserve_vcc 1
		.amdhsa_float_round_mode_32 0
		.amdhsa_float_round_mode_16_64 0
		.amdhsa_float_denorm_mode_32 3
		.amdhsa_float_denorm_mode_16_64 3
		.amdhsa_fp16_overflow 0
		.amdhsa_workgroup_processor_mode 1
		.amdhsa_memory_ordered 1
		.amdhsa_forward_progress 1
		.amdhsa_inst_pref_size 73
		.amdhsa_round_robin_scheduling 0
		.amdhsa_exception_fp_ieee_invalid_op 0
		.amdhsa_exception_fp_denorm_src 0
		.amdhsa_exception_fp_ieee_div_zero 0
		.amdhsa_exception_fp_ieee_overflow 0
		.amdhsa_exception_fp_ieee_underflow 0
		.amdhsa_exception_fp_ieee_inexact 0
		.amdhsa_exception_int_div_zero 0
	.end_amdhsa_kernel
	.section	.text._ZL26rocblas_hemvn_kernel_upperILb0ELi64ELi4ELi33ELi32ELi16ElPKfS1_PfEviT6_lT7_lT5_lS4_lS5_lS3_lT8_i,"axG",@progbits,_ZL26rocblas_hemvn_kernel_upperILb0ELi64ELi4ELi33ELi32ELi16ElPKfS1_PfEviT6_lT7_lT5_lS4_lS5_lS3_lT8_i,comdat
.Lfunc_end69:
	.size	_ZL26rocblas_hemvn_kernel_upperILb0ELi64ELi4ELi33ELi32ELi16ElPKfS1_PfEviT6_lT7_lT5_lS4_lS5_lS3_lT8_i, .Lfunc_end69-_ZL26rocblas_hemvn_kernel_upperILb0ELi64ELi4ELi33ELi32ELi16ElPKfS1_PfEviT6_lT7_lT5_lS4_lS5_lS3_lT8_i
                                        ; -- End function
	.set _ZL26rocblas_hemvn_kernel_upperILb0ELi64ELi4ELi33ELi32ELi16ElPKfS1_PfEviT6_lT7_lT5_lS4_lS5_lS3_lT8_i.num_vgpr, 162
	.set _ZL26rocblas_hemvn_kernel_upperILb0ELi64ELi4ELi33ELi32ELi16ElPKfS1_PfEviT6_lT7_lT5_lS4_lS5_lS3_lT8_i.num_agpr, 0
	.set _ZL26rocblas_hemvn_kernel_upperILb0ELi64ELi4ELi33ELi32ELi16ElPKfS1_PfEviT6_lT7_lT5_lS4_lS5_lS3_lT8_i.numbered_sgpr, 72
	.set _ZL26rocblas_hemvn_kernel_upperILb0ELi64ELi4ELi33ELi32ELi16ElPKfS1_PfEviT6_lT7_lT5_lS4_lS5_lS3_lT8_i.num_named_barrier, 0
	.set _ZL26rocblas_hemvn_kernel_upperILb0ELi64ELi4ELi33ELi32ELi16ElPKfS1_PfEviT6_lT7_lT5_lS4_lS5_lS3_lT8_i.private_seg_size, 0
	.set _ZL26rocblas_hemvn_kernel_upperILb0ELi64ELi4ELi33ELi32ELi16ElPKfS1_PfEviT6_lT7_lT5_lS4_lS5_lS3_lT8_i.uses_vcc, 1
	.set _ZL26rocblas_hemvn_kernel_upperILb0ELi64ELi4ELi33ELi32ELi16ElPKfS1_PfEviT6_lT7_lT5_lS4_lS5_lS3_lT8_i.uses_flat_scratch, 0
	.set _ZL26rocblas_hemvn_kernel_upperILb0ELi64ELi4ELi33ELi32ELi16ElPKfS1_PfEviT6_lT7_lT5_lS4_lS5_lS3_lT8_i.has_dyn_sized_stack, 0
	.set _ZL26rocblas_hemvn_kernel_upperILb0ELi64ELi4ELi33ELi32ELi16ElPKfS1_PfEviT6_lT7_lT5_lS4_lS5_lS3_lT8_i.has_recursion, 0
	.set _ZL26rocblas_hemvn_kernel_upperILb0ELi64ELi4ELi33ELi32ELi16ElPKfS1_PfEviT6_lT7_lT5_lS4_lS5_lS3_lT8_i.has_indirect_call, 0
	.section	.AMDGPU.csdata,"",@progbits
; Kernel info:
; codeLenInByte = 9228
; TotalNumSgprs: 74
; NumVgprs: 162
; ScratchSize: 0
; MemoryBound: 0
; FloatMode: 240
; IeeeMode: 1
; LDSByteSize: 4800 bytes/workgroup (compile time only)
; SGPRBlocks: 0
; VGPRBlocks: 20
; NumSGPRsForWavesPerEU: 74
; NumVGPRsForWavesPerEU: 162
; Occupancy: 9
; WaveLimiterHint : 0
; COMPUTE_PGM_RSRC2:SCRATCH_EN: 0
; COMPUTE_PGM_RSRC2:USER_SGPR: 2
; COMPUTE_PGM_RSRC2:TRAP_HANDLER: 0
; COMPUTE_PGM_RSRC2:TGID_X_EN: 1
; COMPUTE_PGM_RSRC2:TGID_Y_EN: 0
; COMPUTE_PGM_RSRC2:TGID_Z_EN: 1
; COMPUTE_PGM_RSRC2:TIDIG_COMP_CNT: 1
	.section	.text._ZL36rocblas_hemvn_kernel_upper_block_sumILi64ElPKfPffEviT1_lS3_lT2_lT0_lPT3_i,"axG",@progbits,_ZL36rocblas_hemvn_kernel_upper_block_sumILi64ElPKfPffEviT1_lS3_lT2_lT0_lPT3_i,comdat
	.globl	_ZL36rocblas_hemvn_kernel_upper_block_sumILi64ElPKfPffEviT1_lS3_lT2_lT0_lPT3_i ; -- Begin function _ZL36rocblas_hemvn_kernel_upper_block_sumILi64ElPKfPffEviT1_lS3_lT2_lT0_lPT3_i
	.p2align	8
	.type	_ZL36rocblas_hemvn_kernel_upper_block_sumILi64ElPKfPffEviT1_lS3_lT2_lT0_lPT3_i,@function
_ZL36rocblas_hemvn_kernel_upper_block_sumILi64ElPKfPffEviT1_lS3_lT2_lT0_lPT3_i: ; @_ZL36rocblas_hemvn_kernel_upper_block_sumILi64ElPKfPffEviT1_lS3_lT2_lT0_lPT3_i
; %bb.0:
	s_load_b32 s22, s[0:1], 0x50
	s_lshr_b32 s2, ttmp7, 16
	s_wait_kmcnt 0x0
	s_cmp_ge_u32 s2, s22
	s_cbranch_scc1 .LBB70_25
; %bb.1:
	s_clause 0x1
	s_load_b256 s[4:11], s[0:1], 0x30
	s_load_b32 s20, s[0:1], 0x0
	v_lshl_or_b32 v0, ttmp9, 6, v0
	s_clause 0x1
	s_load_b64 s[24:25], s[0:1], 0x28
	s_load_b256 s[12:19], s[0:1], 0x8
	s_mov_b32 s3, 0
	v_ashrrev_i32_e32 v1, 31, v0
	s_delay_alu instid0(VALU_DEP_1)
	v_lshlrev_b64_e32 v[4:5], 2, v[0:1]
	s_wait_kmcnt 0x0
	v_mul_lo_u32 v6, s6, v1
	v_mul_lo_u32 v7, s7, v0
	v_mad_co_u64_u32 v[2:3], null, s6, v0, 0
	s_add_nc_u64 s[6:7], s[0:1], 0x58
	v_cmp_gt_i32_e64 s0, s20, v0
	v_add_co_u32 v0, vcc_lo, s10, v4
	s_lshl_b64 s[4:5], s[4:5], 2
	s_ashr_i32 s21, s20, 31
	v_add3_u32 v3, v3, v6, v7
	v_add_co_ci_u32_e64 v1, null, s11, v5, vcc_lo
	s_cmp_gt_i32 ttmp9, -1
	s_add_nc_u64 s[4:5], s[24:25], s[4:5]
	v_lshlrev_b64_e32 v[2:3], 2, v[2:3]
	s_cselect_b32 s1, -1, 0
	s_add_co_i32 s23, ttmp9, 1
	s_wait_alu 0xfffe
	s_lshl_b64 s[10:11], s[20:21], 2
	s_branch .LBB70_4
.LBB70_2:                               ;   in Loop: Header=BB70_4 Depth=1
	s_wait_alu 0xfffe
	s_or_b32 exec_lo, exec_lo, s24
.LBB70_3:                               ;   in Loop: Header=BB70_4 Depth=1
	s_add_co_i32 s2, s2, 0x10000
	s_wait_alu 0xfffe
	s_cmp_lt_u32 s2, s22
	s_cbranch_scc0 .LBB70_25
.LBB70_4:                               ; =>This Loop Header: Depth=1
                                        ;     Child Loop BB70_16 Depth 2
	s_mul_u64 s[20:21], s[14:15], s[2:3]
	s_mul_u64 s[26:27], s[18:19], s[2:3]
	s_wait_alu 0xfffe
	s_lshl_b64 s[20:21], s[20:21], 2
	s_wait_alu 0xfffe
	s_add_nc_u64 s[20:21], s[12:13], s[20:21]
	s_load_b32 s24, s[20:21], 0x0
	s_lshl_b64 s[20:21], s[26:27], 2
	s_wait_alu 0xfffe
	s_add_nc_u64 s[20:21], s[16:17], s[20:21]
	s_load_b32 s25, s[20:21], 0x0
	s_wait_kmcnt 0x0
	s_cmp_eq_f32 s24, 0
	s_cselect_b32 s20, -1, 0
	s_cmp_eq_f32 s25, 1.0
	s_cselect_b32 s21, -1, 0
	s_wait_alu 0xfffe
	s_and_b32 s20, s20, s21
	s_wait_alu 0xfffe
	s_and_b32 vcc_lo, exec_lo, s20
	s_wait_alu 0xfffe
	s_cbranch_vccnz .LBB70_3
; %bb.5:                                ;   in Loop: Header=BB70_4 Depth=1
	s_mul_u64 s[20:21], s[8:9], s[2:3]
	s_wait_alu 0xfffe
	s_lshl_b64 s[20:21], s[20:21], 2
	s_cmp_neq_f32 s24, 0
	s_wait_alu 0xfffe
	s_add_nc_u64 s[20:21], s[4:5], s[20:21]
	s_cbranch_scc1 .LBB70_9
; %bb.6:                                ;   in Loop: Header=BB70_4 Depth=1
	s_mov_b32 s27, 0
	s_mov_b32 s26, 0
                                        ; implicit-def: $vgpr4
	s_and_saveexec_b32 s28, s0
	s_cbranch_execz .LBB70_10
; %bb.7:                                ;   in Loop: Header=BB70_4 Depth=1
	s_cmp_eq_f32 s25, 0
	s_cbranch_scc1 .LBB70_11
; %bb.8:                                ;   in Loop: Header=BB70_4 Depth=1
	s_wait_alu 0xfffe
	v_add_co_u32 v4, vcc_lo, s20, v2
	s_wait_alu 0xfffd
	v_add_co_ci_u32_e64 v5, null, s21, v3, vcc_lo
	global_load_b32 v4, v[4:5], off
	s_wait_loadcnt 0x0
	v_mul_f32_e32 v4, s25, v4
	s_branch .LBB70_12
.LBB70_9:                               ;   in Loop: Header=BB70_4 Depth=1
	s_mov_b32 s26, 0
                                        ; implicit-def: $vgpr4
	s_cbranch_execnz .LBB70_13
	s_branch .LBB70_22
.LBB70_10:                              ;   in Loop: Header=BB70_4 Depth=1
	s_wait_alu 0xfffe
	s_or_b32 exec_lo, exec_lo, s28
	s_delay_alu instid0(SALU_CYCLE_1)
	s_and_b32 vcc_lo, exec_lo, s27
	s_wait_alu 0xfffe
	s_cbranch_vccnz .LBB70_13
	s_branch .LBB70_22
.LBB70_11:                              ;   in Loop: Header=BB70_4 Depth=1
	v_mov_b32_e32 v4, 0
.LBB70_12:                              ;   in Loop: Header=BB70_4 Depth=1
	s_mov_b32 s26, exec_lo
	s_wait_alu 0xfffe
	s_or_b32 exec_lo, exec_lo, s28
	s_delay_alu instid0(SALU_CYCLE_1)
	s_and_b32 vcc_lo, exec_lo, s27
	s_wait_alu 0xfffe
	s_cbranch_vccz .LBB70_22
.LBB70_13:                              ;   in Loop: Header=BB70_4 Depth=1
                                        ; implicit-def: $vgpr4
	s_and_saveexec_b32 s27, s0
	s_cbranch_execz .LBB70_21
; %bb.14:                               ;   in Loop: Header=BB70_4 Depth=1
	v_mov_b32_e32 v6, 0
	s_and_not1_b32 vcc_lo, exec_lo, s1
	s_wait_alu 0xfffe
	s_cbranch_vccnz .LBB70_17
; %bb.15:                               ;   in Loop: Header=BB70_4 Depth=1
	s_load_b32 s28, s[6:7], 0x0
	s_mov_b32 s29, s3
	s_wait_kmcnt 0x0
	s_wait_alu 0xfffe
	s_mul_u64 s[28:29], s[10:11], s[28:29]
	s_wait_alu 0xfffe
	v_mad_co_u64_u32 v[4:5], null, s28, s2, v[0:1]
	s_mov_b32 s28, s23
	v_mad_co_u64_u32 v[5:6], null, s29, s2, v[5:6]
	v_mov_b32_e32 v6, 0
.LBB70_16:                              ;   Parent Loop BB70_4 Depth=1
                                        ; =>  This Inner Loop Header: Depth=2
	global_load_b32 v7, v[4:5], off
	v_add_co_u32 v4, vcc_lo, v4, s10
	s_wait_alu 0xfffd
	v_add_co_ci_u32_e64 v5, null, s11, v5, vcc_lo
	s_wait_alu 0xfffe
	s_add_co_i32 s28, s28, -1
	s_wait_alu 0xfffe
	s_cmp_eq_u32 s28, 0
	s_wait_loadcnt 0x0
	v_add_f32_e32 v6, v6, v7
	s_cbranch_scc0 .LBB70_16
.LBB70_17:                              ;   in Loop: Header=BB70_4 Depth=1
	s_cmp_eq_f32 s25, 0
	s_cbranch_scc0 .LBB70_24
; %bb.18:                               ;   in Loop: Header=BB70_4 Depth=1
	s_delay_alu instid0(VALU_DEP_1)
	v_mul_f32_e32 v4, s24, v6
	s_cbranch_execnz .LBB70_20
.LBB70_19:                              ;   in Loop: Header=BB70_4 Depth=1
	v_add_co_u32 v4, vcc_lo, s20, v2
	s_wait_alu 0xfffd
	v_add_co_ci_u32_e64 v5, null, s21, v3, vcc_lo
	global_load_b32 v4, v[4:5], off
	s_wait_loadcnt 0x0
	v_mul_f32_e32 v4, s25, v4
	s_delay_alu instid0(VALU_DEP_1)
	v_fmac_f32_e32 v4, s24, v6
.LBB70_20:                              ;   in Loop: Header=BB70_4 Depth=1
	s_or_b32 s26, s26, exec_lo
.LBB70_21:                              ;   in Loop: Header=BB70_4 Depth=1
	s_or_b32 exec_lo, exec_lo, s27
.LBB70_22:                              ;   in Loop: Header=BB70_4 Depth=1
	s_and_saveexec_b32 s24, s26
	s_cbranch_execz .LBB70_2
; %bb.23:                               ;   in Loop: Header=BB70_4 Depth=1
	s_wait_alu 0xfffe
	v_add_co_u32 v5, vcc_lo, s20, v2
	s_wait_alu 0xfffd
	v_add_co_ci_u32_e64 v6, null, s21, v3, vcc_lo
	global_store_b32 v[5:6], v4, off
	s_branch .LBB70_2
.LBB70_24:                              ;   in Loop: Header=BB70_4 Depth=1
                                        ; implicit-def: $vgpr4
	s_branch .LBB70_19
.LBB70_25:
	s_endpgm
	.section	.rodata,"a",@progbits
	.p2align	6, 0x0
	.amdhsa_kernel _ZL36rocblas_hemvn_kernel_upper_block_sumILi64ElPKfPffEviT1_lS3_lT2_lT0_lPT3_i
		.amdhsa_group_segment_fixed_size 0
		.amdhsa_private_segment_fixed_size 0
		.amdhsa_kernarg_size 344
		.amdhsa_user_sgpr_count 2
		.amdhsa_user_sgpr_dispatch_ptr 0
		.amdhsa_user_sgpr_queue_ptr 0
		.amdhsa_user_sgpr_kernarg_segment_ptr 1
		.amdhsa_user_sgpr_dispatch_id 0
		.amdhsa_user_sgpr_private_segment_size 0
		.amdhsa_wavefront_size32 1
		.amdhsa_uses_dynamic_stack 0
		.amdhsa_enable_private_segment 0
		.amdhsa_system_sgpr_workgroup_id_x 1
		.amdhsa_system_sgpr_workgroup_id_y 0
		.amdhsa_system_sgpr_workgroup_id_z 1
		.amdhsa_system_sgpr_workgroup_info 0
		.amdhsa_system_vgpr_workitem_id 0
		.amdhsa_next_free_vgpr 8
		.amdhsa_next_free_sgpr 30
		.amdhsa_reserve_vcc 1
		.amdhsa_float_round_mode_32 0
		.amdhsa_float_round_mode_16_64 0
		.amdhsa_float_denorm_mode_32 3
		.amdhsa_float_denorm_mode_16_64 3
		.amdhsa_fp16_overflow 0
		.amdhsa_workgroup_processor_mode 1
		.amdhsa_memory_ordered 1
		.amdhsa_forward_progress 1
		.amdhsa_inst_pref_size 6
		.amdhsa_round_robin_scheduling 0
		.amdhsa_exception_fp_ieee_invalid_op 0
		.amdhsa_exception_fp_denorm_src 0
		.amdhsa_exception_fp_ieee_div_zero 0
		.amdhsa_exception_fp_ieee_overflow 0
		.amdhsa_exception_fp_ieee_underflow 0
		.amdhsa_exception_fp_ieee_inexact 0
		.amdhsa_exception_int_div_zero 0
	.end_amdhsa_kernel
	.section	.text._ZL36rocblas_hemvn_kernel_upper_block_sumILi64ElPKfPffEviT1_lS3_lT2_lT0_lPT3_i,"axG",@progbits,_ZL36rocblas_hemvn_kernel_upper_block_sumILi64ElPKfPffEviT1_lS3_lT2_lT0_lPT3_i,comdat
.Lfunc_end70:
	.size	_ZL36rocblas_hemvn_kernel_upper_block_sumILi64ElPKfPffEviT1_lS3_lT2_lT0_lPT3_i, .Lfunc_end70-_ZL36rocblas_hemvn_kernel_upper_block_sumILi64ElPKfPffEviT1_lS3_lT2_lT0_lPT3_i
                                        ; -- End function
	.set _ZL36rocblas_hemvn_kernel_upper_block_sumILi64ElPKfPffEviT1_lS3_lT2_lT0_lPT3_i.num_vgpr, 8
	.set _ZL36rocblas_hemvn_kernel_upper_block_sumILi64ElPKfPffEviT1_lS3_lT2_lT0_lPT3_i.num_agpr, 0
	.set _ZL36rocblas_hemvn_kernel_upper_block_sumILi64ElPKfPffEviT1_lS3_lT2_lT0_lPT3_i.numbered_sgpr, 30
	.set _ZL36rocblas_hemvn_kernel_upper_block_sumILi64ElPKfPffEviT1_lS3_lT2_lT0_lPT3_i.num_named_barrier, 0
	.set _ZL36rocblas_hemvn_kernel_upper_block_sumILi64ElPKfPffEviT1_lS3_lT2_lT0_lPT3_i.private_seg_size, 0
	.set _ZL36rocblas_hemvn_kernel_upper_block_sumILi64ElPKfPffEviT1_lS3_lT2_lT0_lPT3_i.uses_vcc, 1
	.set _ZL36rocblas_hemvn_kernel_upper_block_sumILi64ElPKfPffEviT1_lS3_lT2_lT0_lPT3_i.uses_flat_scratch, 0
	.set _ZL36rocblas_hemvn_kernel_upper_block_sumILi64ElPKfPffEviT1_lS3_lT2_lT0_lPT3_i.has_dyn_sized_stack, 0
	.set _ZL36rocblas_hemvn_kernel_upper_block_sumILi64ElPKfPffEviT1_lS3_lT2_lT0_lPT3_i.has_recursion, 0
	.set _ZL36rocblas_hemvn_kernel_upper_block_sumILi64ElPKfPffEviT1_lS3_lT2_lT0_lPT3_i.has_indirect_call, 0
	.section	.AMDGPU.csdata,"",@progbits
; Kernel info:
; codeLenInByte = 760
; TotalNumSgprs: 32
; NumVgprs: 8
; ScratchSize: 0
; MemoryBound: 0
; FloatMode: 240
; IeeeMode: 1
; LDSByteSize: 0 bytes/workgroup (compile time only)
; SGPRBlocks: 0
; VGPRBlocks: 0
; NumSGPRsForWavesPerEU: 32
; NumVGPRsForWavesPerEU: 8
; Occupancy: 16
; WaveLimiterHint : 0
; COMPUTE_PGM_RSRC2:SCRATCH_EN: 0
; COMPUTE_PGM_RSRC2:USER_SGPR: 2
; COMPUTE_PGM_RSRC2:TRAP_HANDLER: 0
; COMPUTE_PGM_RSRC2:TGID_X_EN: 1
; COMPUTE_PGM_RSRC2:TGID_Y_EN: 0
; COMPUTE_PGM_RSRC2:TGID_Z_EN: 1
; COMPUTE_PGM_RSRC2:TIDIG_COMP_CNT: 0
	.section	.text._ZL26rocblas_hemvn_kernel_upperILb0ELi64ELi4ELi33ELi32ELi16EiPKfS1_PfEviT6_lT7_lT5_lS4_lS5_lS3_lT8_i,"axG",@progbits,_ZL26rocblas_hemvn_kernel_upperILb0ELi64ELi4ELi33ELi32ELi16EiPKfS1_PfEviT6_lT7_lT5_lS4_lS5_lS3_lT8_i,comdat
	.globl	_ZL26rocblas_hemvn_kernel_upperILb0ELi64ELi4ELi33ELi32ELi16EiPKfS1_PfEviT6_lT7_lT5_lS4_lS5_lS3_lT8_i ; -- Begin function _ZL26rocblas_hemvn_kernel_upperILb0ELi64ELi4ELi33ELi32ELi16EiPKfS1_PfEviT6_lT7_lT5_lS4_lS5_lS3_lT8_i
	.p2align	8
	.type	_ZL26rocblas_hemvn_kernel_upperILb0ELi64ELi4ELi33ELi32ELi16EiPKfS1_PfEviT6_lT7_lT5_lS4_lS5_lS3_lT8_i,@function
_ZL26rocblas_hemvn_kernel_upperILb0ELi64ELi4ELi33ELi32ELi16EiPKfS1_PfEviT6_lT7_lT5_lS4_lS5_lS3_lT8_i: ; @_ZL26rocblas_hemvn_kernel_upperILb0ELi64ELi4ELi33ELi32ELi16EiPKfS1_PfEviT6_lT7_lT5_lS4_lS5_lS3_lT8_i
; %bb.0:
	s_clause 0x1
	s_load_b64 s[2:3], s[0:1], 0x84
	s_load_b32 s19, s[0:1], 0x70
	s_lshr_b32 s34, ttmp7, 16
	s_wait_kmcnt 0x0
	s_lshr_b32 s4, s2, 16
	s_and_b32 s2, s2, 0xffff
	s_and_b32 s3, s3, 0xffff
	s_mul_i32 s2, s4, s2
	s_delay_alu instid0(SALU_CYCLE_1) | instskip(NEXT) | instid1(SALU_CYCLE_1)
	s_mul_i32 s2, s2, s3
	s_cmp_lg_u32 s2, 0x100
	s_cselect_b32 s2, -1, 0
	s_cmp_ge_u32 s34, s19
	s_cselect_b32 s3, -1, 0
	s_delay_alu instid0(SALU_CYCLE_1) | instskip(NEXT) | instid1(SALU_CYCLE_1)
	s_or_b32 s2, s2, s3
	s_and_b32 vcc_lo, exec_lo, s2
	s_cbranch_vccnz .LBB71_129
; %bb.1:
	s_clause 0x2
	s_load_b32 s2, s[0:1], 0x0
	s_load_b96 s[16:18], s[0:1], 0x40
	s_load_b32 s72, s[0:1], 0x28
	v_dual_mov_b32 v41, 0 :: v_dual_and_b32 v16, 0x3ff, v0
	s_lshl_b32 s48, ttmp9, 6
	s_load_b128 s[28:31], s[0:1], 0x30
	s_add_nc_u64 s[6:7], s[0:1], 0x78
	s_delay_alu instid0(VALU_DEP_1)
	v_add_nc_u32_e32 v1, s48, v16
	s_load_b256 s[20:27], s[0:1], 0x8
	s_load_b32 s44, s[6:7], 0x0
	v_bfe_u32 v2, v0, 10, 10
	s_load_b256 s[36:43], s[0:1], 0x50
	v_and_b32_e32 v3, 31, v0
	s_mov_b32 s35, 0
	s_mov_b32 s4, ttmp9
	v_lshl_add_u32 v10, v2, 6, v16
	s_mov_b32 s45, s35
	v_lshlrev_b32_e32 v14, 2, v3
	v_lshlrev_b32_e32 v46, 2, v2
	;; [unrolled: 1-line block ×3, first 2 shown]
	v_lshrrev_b32_e32 v8, 5, v10
	s_wait_kmcnt 0x0
	v_mul_lo_u32 v4, s18, v1
	s_lshl_b64 s[0:1], s[16:17], 2
	s_ashr_i32 s3, s2, 31
	s_ashr_i32 s73, s72, 31
	s_lshr_b32 s5, s3, 26
	s_add_nc_u64 s[0:1], s[30:31], s[0:1]
	s_add_co_i32 s5, s2, s5
	s_lshl_b64 s[6:7], s[26:27], 2
	v_ashrrev_i32_e32 v5, 31, v4
	s_and_not1_b32 s5, s5, 63
	s_add_co_i32 s8, s44, -1
	s_sub_co_i32 s33, s2, s5
	s_cmp_eq_u32 ttmp9, s8
	v_lshlrev_b64_e32 v[4:5], 2, v[4:5]
	s_cselect_b32 s26, s33, 0
	s_add_nc_u64 s[6:7], s[24:25], s[6:7]
	s_cmp_lg_u32 s26, 0
	s_mul_u64 s[24:25], s[44:45], s[2:3]
	s_cselect_b32 s92, -1, 0
	v_add_co_u32 v35, vcc_lo, s0, v4
	s_delay_alu instid0(VALU_DEP_1)
	v_add_co_ci_u32_e64 v36, null, s1, v5, vcc_lo
	v_mad_co_u64_u32 v[4:5], null, s72, v8, v[3:4]
	s_cmp_eq_u32 s26, 0
	v_cmp_gt_i32_e32 vcc_lo, s26, v16
	s_cselect_b32 s1, -1, 0
	s_ashr_i32 s5, ttmp9, 31
	s_ashr_i32 s49, s48, 31
	s_mul_u64 s[4:5], s[2:3], s[4:5]
	v_ashrrev_i32_e32 v5, 31, v4
	s_wait_alu 0xfffe
	s_lshl_b64 s[2:3], s[48:49], 2
	s_lshl_b64 s[4:5], s[4:5], 2
	v_lshl_or_b32 v42, v3, 7, v14
	v_lshlrev_b32_e32 v17, 4, v8
	v_lshlrev_b64_e32 v[4:5], 2, v[4:5]
	s_add_nc_u64 s[2:3], s[6:7], s[2:3]
	s_add_nc_u64 s[30:31], s[42:43], s[4:5]
	s_mul_i32 s4, s72, s48
	s_or_b32 s93, s1, vcc_lo
	s_ashr_i32 s5, s4, 31
	v_add_co_u32 v6, vcc_lo, s2, v4
	s_wait_alu 0xfffd
	v_add_co_ci_u32_e64 v7, null, s3, v5, vcc_lo
	v_add_nc_u32_e32 v9, 8, v8
	v_add_nc_u32_e32 v43, v42, v17
	;; [unrolled: 1-line block ×3, first 2 shown]
	v_or_b32_e32 v17, 32, v3
	s_lshl_b64 s[2:3], s[4:5], 2
	v_add_nc_u32_e32 v11, 16, v8
	s_wait_alu 0xfffe
	v_add_co_u32 v39, vcc_lo, v6, s2
	v_sub_co_u32 v6, s2, 0, v3
	v_add_nc_u32_e32 v12, 24, v8
	s_sub_co_i32 s15, s26, 32
	s_wait_alu 0xfffd
	v_add_co_ci_u32_e64 v40, null, s3, v7, vcc_lo
	v_sub_co_ci_u32_e64 v7, null, 0, 0, s2
	v_cmp_gt_i32_e64 s2, s26, v8
	v_mul_u32_u24_e32 v15, 0x84, v8
	v_cmp_gt_i32_e64 s3, s26, v9
	v_lshlrev_b32_e32 v13, 2, v8
	v_mul_u32_u24_e32 v22, 0x210, v8
	v_cmp_gt_i32_e64 s12, s15, v8
	v_cmp_gt_i32_e64 s13, s15, v9
	v_cmp_eq_u32_e64 s16, 1, v8
	v_mul_i32_i24_e32 v24, -12, v8
	v_mad_co_u64_u32 v[8:9], null, s72, v46, v[16:17]
	v_cmp_gt_i32_e64 s4, s26, v11
	v_cmp_gt_i32_e64 s5, s26, v12
	;; [unrolled: 1-line block ×4, first 2 shown]
	v_and_b32_e32 v11, 15, v0
	v_lshrrev_b32_e32 v12, 2, v10
	v_and_b32_e32 v0, 48, v0
	v_cmp_gt_i32_e64 s11, s26, v17
	v_ashrrev_i32_e32 v9, 31, v8
	v_or_b32_e32 v17, 60, v37
	v_and_b32_e32 v12, 0x1ffc, v12
	v_lshlrev_b32_e32 v0, 2, v0
	v_mul_u32_u24_e32 v21, 33, v3
	v_cmp_gt_u32_e64 s10, 32, v10
	v_mul_u32_u24_e32 v25, 0x10c, v11
	v_and_b32_e32 v26, 0x7ff0, v10
	v_mad_u32_u24 v50, 0x10c, v11, v12
	v_cmp_gt_u32_e64 s17, 64, v10
	v_mad_u32_u24 v51, 0x10c, v11, v0
	v_mad_u32_u24 v52, 0x10c, v11, v17
	v_lshlrev_b64_e32 v[10:11], 2, v[8:9]
	s_lshl_b32 s42, s72, 3
	s_lshl_b32 s74, s72, 4
	s_mul_i32 s46, s72, 24
	s_lshl_b32 s58, s72, 5
	s_mul_i32 s48, s18, s48
	v_sub_co_u32 v72, vcc_lo, 0, v4
	s_add_co_i32 s52, ttmp9, 1
	s_ashr_i32 s27, s26, 31
	s_ashr_i32 s43, s42, 31
	;; [unrolled: 1-line block ×5, first 2 shown]
	s_wait_alu 0xfffe
	s_ashr_i32 s49, s48, 31
	s_wait_alu 0xfffd
	v_sub_co_ci_u32_e64 v73, null, 0, v5, vcc_lo
	v_add_co_u32 v12, vcc_lo, s58, v8
	s_cmp_lt_u32 s52, s44
	v_cmp_gt_u32_e64 s6, v13, v3
	v_or_b32_e32 v18, 1, v13
	v_or_b32_e32 v19, 2, v13
	;; [unrolled: 1-line block ×3, first 2 shown]
	v_cmp_ge_u32_e64 s7, v13, v3
	v_lshl_add_u32 v45, v21, 2, v13
	v_add_nc_u32_e32 v69, v42, v13
	v_add_nc_u32_e32 v70, 0x11c0, v13
	s_wait_alu 0xfffd
	v_add_co_ci_u32_e64 v13, null, s59, v9, vcc_lo
	s_cselect_b32 s45, -1, 0
	s_lshl_b64 s[54:55], s[58:59], 2
	v_sub_co_u32 v74, vcc_lo, v10, v4
	s_add_nc_u64 s[58:59], s[58:59], s[74:75]
	s_wait_alu 0xfffd
	v_sub_co_ci_u32_e64 v75, null, v11, v5, vcc_lo
	s_wait_alu 0xfffe
	v_add_co_u32 v8, vcc_lo, s58, v8
	v_lshlrev_b64_e32 v[4:5], 2, v[12:13]
	s_wait_alu 0xfffd
	v_add_co_ci_u32_e64 v9, null, s59, v9, vcc_lo
	s_add_nc_u64 s[88:89], s[72:73], s[74:75]
	v_cmp_gt_u32_e64 s8, v19, v3
	v_cmp_gt_u32_e64 s9, v20, v3
	v_lshlrev_b64_e32 v[8:9], 2, v[8:9]
	v_mad_co_u64_u32 v[19:20], null, s88, 12, v[4:5]
	s_mul_u64 s[66:67], s[72:73], 12
	s_lshl_b64 s[84:85], s[74:75], 3
	v_add_co_u32 v76, vcc_lo, s66, v4
	s_wait_alu 0xfffd
	v_add_co_ci_u32_e64 v77, null, s67, v5, vcc_lo
	v_add_co_u32 v78, vcc_lo, s66, v8
	v_mul_u32_u24_e32 v23, 0x84, v18
	s_lshl_b64 s[70:71], s[72:73], 3
	s_wait_alu 0xfffd
	v_add_co_ci_u32_e64 v79, null, s67, v9, vcc_lo
	s_add_nc_u64 s[66:67], s[66:67], s[84:85]
	s_mul_u64 s[76:77], s[74:75], 12
	v_mad_co_i64_i32 v[17:18], null, s74, 12, v[4:5]
	v_mov_b32_e32 v0, v20
	s_wait_alu 0xfffe
	v_add_co_u32 v80, vcc_lo, s66, v4
	s_add_nc_u64 s[76:77], s[76:77], s[70:71]
	s_lshl_b32 s60, s72, 1
	s_wait_alu 0xfffd
	v_add_co_ci_u32_e64 v81, null, s67, v5, vcc_lo
	v_add_co_u32 v82, vcc_lo, s76, v4
	s_ashr_i32 s61, s60, 31
	s_mul_i32 s62, s72, 3
	s_lshl_b64 s[78:79], s[72:73], 2
	s_wait_alu 0xfffd
	v_add_co_ci_u32_e64 v83, null, s77, v5, vcc_lo
	v_mad_co_u64_u32 v[4:5], null, s89, 12, v[0:1]
	v_cmp_eq_u32_e64 s0, 0, v2
	v_lshl_add_u32 v48, v2, 4, 0x10c0
	v_mad_u32_u24 v49, 0x430, v2, v37
	s_ashr_i32 s63, s62, 31
	v_mad_u32_u24 v68, 0x10c, v2, v37
	v_ashrrev_i32_e32 v2, 31, v1
	s_lshl_b64 s[80:81], s[60:61], 2
	v_add_co_u32 v84, vcc_lo, v17, s78
	s_lshl_b64 s[82:83], s[62:63], 2
	s_wait_alu 0xfffd
	v_add_co_ci_u32_e64 v85, null, s79, v18, vcc_lo
	v_add_co_u32 v86, vcc_lo, v17, s80
	s_wait_alu 0xfffd
	v_add_co_ci_u32_e64 v87, null, s81, v18, vcc_lo
	v_add_co_u32 v88, vcc_lo, v17, s82
	s_lshl_b64 s[64:65], s[74:75], 2
	v_lshlrev_b64_e32 v[20:21], 2, v[6:7]
	v_add_nc_u32_e32 v92, v14, v22
	v_add_nc_u32_e32 v93, v14, v23
	v_lshlrev_b64_e32 v[22:23], 2, v[1:2]
	v_add_nc_u32_e32 v38, 0x11c0, v37
	v_add_nc_u32_e32 v47, 0x10c0, v37
	v_or_b32_e32 v53, 1, v46
	v_or_b32_e32 v54, 2, v46
	;; [unrolled: 1-line block ×3, first 2 shown]
	v_add_nc_u32_e32 v56, 16, v46
	v_add_nc_u32_e32 v57, 17, v46
	;; [unrolled: 1-line block ×13, first 2 shown]
	s_wait_alu 0xfffd
	v_add_co_ci_u32_e64 v89, null, s83, v18, vcc_lo
	v_mov_b32_e32 v90, v4
	v_cmp_gt_i32_e64 s1, s26, v3
	v_add_nc_u32_e32 v91, v14, v15
	v_lshlrev_b32_e32 v94, 2, v3
	v_add_nc_u32_e32 v95, v43, v24
	v_add_nc_u32_e32 v96, v44, v24
	;; [unrolled: 1-line block ×3, first 2 shown]
	s_sub_nc_u64 s[86:87], 0, s[48:49]
	s_lshl_b32 s95, s18, 6
	s_mul_i32 s18, s18, s52
	s_lshl_b64 s[52:53], s[74:75], 4
	s_add_nc_u64 s[56:57], s[70:71], s[54:55]
	s_add_nc_u64 s[58:59], s[78:79], s[54:55]
	;; [unrolled: 1-line block ×4, first 2 shown]
	s_add_co_i32 s94, s44, -2
	s_and_b32 s96, s0, s93
	s_sub_nc_u64 s[48:49], 0, s[26:27]
	s_lshl_b64 s[50:51], s[72:73], 5
	s_wait_alu 0xfffe
	s_lshl_b32 s97, s18, 6
	s_add_nc_u64 s[60:61], s[54:55], s[80:81]
	s_add_nc_u64 s[62:63], s[54:55], s[82:83]
	;; [unrolled: 1-line block ×10, first 2 shown]
	s_lshl_b64 s[86:87], s[86:87], 2
	s_branch .LBB71_4
.LBB71_2:                               ;   in Loop: Header=BB71_4 Depth=1
	s_wait_alu 0xfffe
	s_or_b32 exec_lo, exec_lo, s18
.LBB71_3:                               ;   in Loop: Header=BB71_4 Depth=1
	s_add_co_i32 s34, s34, 0x10000
	s_delay_alu instid0(SALU_CYCLE_1)
	s_cmp_lt_u32 s34, s19
	s_cbranch_scc0 .LBB71_129
.LBB71_4:                               ; =>This Loop Header: Depth=1
                                        ;     Child Loop BB71_69 Depth 2
	s_mul_u64 s[88:89], s[22:23], s[34:35]
	s_mul_u64 s[90:91], s[40:41], s[34:35]
	s_wait_alu 0xfffe
	s_lshl_b64 s[88:89], s[88:89], 2
	s_lshl_b64 s[90:91], s[90:91], 2
	s_wait_alu 0xfffe
	s_add_nc_u64 s[88:89], s[20:21], s[88:89]
	s_add_nc_u64 s[90:91], s[38:39], s[90:91]
	s_clause 0x1
	global_load_b32 v0, v41, s[88:89]
	global_load_b32 v1, v41, s[90:91]
	s_wait_loadcnt 0x1
	v_cmp_eq_f32_e64 s18, 0, v0
	s_wait_loadcnt 0x0
	v_cmp_eq_f32_e32 vcc_lo, 1.0, v1
	s_and_b32 s88, s18, vcc_lo
	s_wait_alu 0xfffe
	s_and_b32 vcc_lo, exec_lo, s88
	s_wait_alu 0xfffe
	s_cbranch_vccnz .LBB71_3
; %bb.5:                                ;   in Loop: Header=BB71_4 Depth=1
	s_and_b32 vcc_lo, exec_lo, s18
	s_wait_alu 0xfffe
	s_cbranch_vccnz .LBB71_3
; %bb.6:                                ;   in Loop: Header=BB71_4 Depth=1
	s_mul_u64 s[88:89], s[36:37], s[34:35]
	s_wait_alu 0xfffe
	s_lshl_b64 s[88:89], s[88:89], 2
	s_wait_alu 0xfffe
	v_add_co_u32 v4, vcc_lo, v35, s88
	s_wait_alu 0xfffd
	v_add_co_ci_u32_e64 v5, null, s89, v36, vcc_lo
	s_and_saveexec_b32 s18, s0
	s_cbranch_execz .LBB71_10
; %bb.7:                                ;   in Loop: Header=BB71_4 Depth=1
	v_mov_b32_e32 v0, 0
	s_and_saveexec_b32 s88, s93
	s_cbranch_execz .LBB71_9
; %bb.8:                                ;   in Loop: Header=BB71_4 Depth=1
	global_load_b32 v0, v[4:5], off
.LBB71_9:                               ;   in Loop: Header=BB71_4 Depth=1
	s_wait_alu 0xfffe
	s_or_b32 exec_lo, exec_lo, s88
	s_wait_loadcnt 0x0
	ds_store_b32 v38, v0
.LBB71_10:                              ;   in Loop: Header=BB71_4 Depth=1
	s_wait_alu 0xfffe
	s_or_b32 exec_lo, exec_lo, s18
	s_mul_u64 s[88:89], s[28:29], s[34:35]
	s_mov_b32 s18, -1
	s_wait_alu 0xfffe
	s_lshl_b64 s[88:89], s[88:89], 2
                                        ; implicit-def: $vgpr2_vgpr3
	s_wait_alu 0xfffe
	v_add_co_u32 v0, vcc_lo, v39, s88
	s_wait_alu 0xfffd
	v_add_co_ci_u32_e64 v1, null, s89, v40, vcc_lo
	s_and_b32 vcc_lo, exec_lo, s92
	s_wait_alu 0xfffe
	s_cbranch_vccz .LBB71_20
; %bb.11:                               ;   in Loop: Header=BB71_4 Depth=1
	v_add_co_u32 v2, vcc_lo, v0, v20
	s_wait_alu 0xfffd
	v_add_co_ci_u32_e64 v3, null, v1, v21, vcc_lo
	s_lshl_b64 s[88:89], s[26:27], 2
	v_dual_mov_b32 v7, 0 :: v_dual_mov_b32 v6, 0
	s_wait_alu 0xfffe
	v_add_co_u32 v2, vcc_lo, v2, s88
	s_wait_alu 0xfffd
	v_add_co_ci_u32_e64 v3, null, s89, v3, vcc_lo
	s_delay_alu instid0(VALU_DEP_2) | instskip(SKIP_1) | instid1(VALU_DEP_2)
	v_add_co_u32 v2, vcc_lo, v2, -4
	s_wait_alu 0xfffd
	v_add_co_ci_u32_e64 v3, null, -1, v3, vcc_lo
	s_delay_alu instid0(VALU_DEP_2) | instskip(NEXT) | instid1(VALU_DEP_2)
	v_cndmask_b32_e64 v2, v2, v0, s1
	v_cndmask_b32_e64 v3, v3, v1, s1
	s_and_saveexec_b32 s18, s2
	s_cbranch_execz .LBB71_13
; %bb.12:                               ;   in Loop: Header=BB71_4 Depth=1
	global_load_b32 v6, v[2:3], off
.LBB71_13:                              ;   in Loop: Header=BB71_4 Depth=1
	s_wait_alu 0xfffe
	s_or_b32 exec_lo, exec_lo, s18
	s_wait_loadcnt 0x0
	ds_store_b32 v91, v6
	s_and_saveexec_b32 s18, s3
	s_cbranch_execz .LBB71_15
; %bb.14:                               ;   in Loop: Header=BB71_4 Depth=1
	s_lshl_b64 s[88:89], s[42:43], 2
	s_wait_alu 0xfffe
	v_add_co_u32 v6, vcc_lo, v2, s88
	s_wait_alu 0xfffd
	v_add_co_ci_u32_e64 v7, null, s89, v3, vcc_lo
	global_load_b32 v7, v[6:7], off
.LBB71_15:                              ;   in Loop: Header=BB71_4 Depth=1
	s_wait_alu 0xfffe
	s_or_b32 exec_lo, exec_lo, s18
	v_mov_b32_e32 v6, 0
	v_mov_b32_e32 v8, 0
	s_wait_loadcnt 0x0
	ds_store_b32 v91, v7 offset:1056
	s_and_saveexec_b32 s18, s4
	s_cbranch_execz .LBB71_17
; %bb.16:                               ;   in Loop: Header=BB71_4 Depth=1
	v_add_co_u32 v7, vcc_lo, v2, s64
	s_wait_alu 0xfffd
	v_add_co_ci_u32_e64 v8, null, s65, v3, vcc_lo
	global_load_b32 v8, v[7:8], off
.LBB71_17:                              ;   in Loop: Header=BB71_4 Depth=1
	s_wait_alu 0xfffe
	s_or_b32 exec_lo, exec_lo, s18
	s_wait_loadcnt 0x0
	ds_store_b32 v91, v8 offset:2112
	s_and_saveexec_b32 s18, s5
	s_cbranch_execz .LBB71_19
; %bb.18:                               ;   in Loop: Header=BB71_4 Depth=1
	s_lshl_b64 s[88:89], s[46:47], 2
	s_wait_alu 0xfffe
	v_add_co_u32 v6, vcc_lo, v2, s88
	s_wait_alu 0xfffd
	v_add_co_ci_u32_e64 v7, null, s89, v3, vcc_lo
	global_load_b32 v6, v[6:7], off
.LBB71_19:                              ;   in Loop: Header=BB71_4 Depth=1
	s_wait_alu 0xfffe
	s_or_b32 exec_lo, exec_lo, s18
	v_add_co_u32 v2, vcc_lo, v2, v94
	s_wait_alu 0xfffd
	v_add_co_ci_u32_e64 v3, null, 0, v3, vcc_lo
	s_lshl_b64 s[88:89], s[48:49], 2
	s_mov_b32 s18, 0
	s_wait_alu 0xfffe
	v_add_co_u32 v2, vcc_lo, v2, s88
	s_wait_alu 0xfffd
	v_add_co_ci_u32_e64 v3, null, s89, v3, vcc_lo
	s_wait_loadcnt 0x0
	ds_store_b32 v91, v6 offset:3168
	v_add_co_u32 v2, vcc_lo, v2, 4
	s_wait_alu 0xfffd
	v_add_co_ci_u32_e64 v3, null, 0, v3, vcc_lo
	s_delay_alu instid0(VALU_DEP_2) | instskip(NEXT) | instid1(VALU_DEP_2)
	v_cndmask_b32_e64 v2, v2, v0, s1
	v_cndmask_b32_e64 v3, v3, v1, s1
.LBB71_20:                              ;   in Loop: Header=BB71_4 Depth=1
	s_and_b32 vcc_lo, exec_lo, s18
	s_wait_alu 0xfffe
	s_cbranch_vccz .LBB71_22
; %bb.21:                               ;   in Loop: Header=BB71_4 Depth=1
	s_lshl_b64 s[88:89], s[42:43], 2
	s_wait_alu 0xfffe
	v_add_co_u32 v2, vcc_lo, v0, s88
	s_wait_alu 0xfffd
	v_add_co_ci_u32_e64 v3, null, s89, v1, vcc_lo
	s_delay_alu instid0(VALU_DEP_2) | instskip(SKIP_1) | instid1(VALU_DEP_2)
	v_add_co_u32 v6, vcc_lo, v2, s50
	s_wait_alu 0xfffd
	v_add_co_ci_u32_e64 v7, null, s51, v3, vcc_lo
	s_delay_alu instid0(VALU_DEP_2) | instskip(SKIP_1) | instid1(VALU_DEP_2)
	v_add_co_u32 v8, vcc_lo, v6, s50
	s_wait_alu 0xfffd
	v_add_co_ci_u32_e64 v9, null, s51, v7, vcc_lo
	s_clause 0x3
	global_load_b32 v10, v[0:1], off
	global_load_b32 v11, v[2:3], off
	;; [unrolled: 1-line block ×4, first 2 shown]
	v_dual_mov_b32 v3, v1 :: v_dual_mov_b32 v2, v0
	s_wait_loadcnt 0x3
	ds_store_b32 v91, v10
	s_wait_loadcnt 0x2
	ds_store_b32 v91, v11 offset:1056
	s_wait_loadcnt 0x1
	ds_store_b32 v91, v6 offset:2112
	;; [unrolled: 2-line block ×3, first 2 shown]
.LBB71_22:                              ;   in Loop: Header=BB71_4 Depth=1
	s_wait_dscnt 0x0
	s_barrier_signal -1
	s_barrier_wait -1
	global_inv scope:SCOPE_SE
	s_and_saveexec_b32 s18, s6
	s_cbranch_execnz .LBB71_123
; %bb.23:                               ;   in Loop: Header=BB71_4 Depth=1
	s_wait_alu 0xfffe
	s_or_b32 exec_lo, exec_lo, s18
	s_and_saveexec_b32 s18, s7
	s_cbranch_execnz .LBB71_124
.LBB71_24:                              ;   in Loop: Header=BB71_4 Depth=1
	s_wait_alu 0xfffe
	s_or_b32 exec_lo, exec_lo, s18
	s_and_saveexec_b32 s18, s8
	s_cbranch_execnz .LBB71_125
.LBB71_25:                              ;   in Loop: Header=BB71_4 Depth=1
	s_wait_alu 0xfffe
	s_or_b32 exec_lo, exec_lo, s18
	s_and_saveexec_b32 s18, s9
	s_cbranch_execz .LBB71_27
.LBB71_26:                              ;   in Loop: Header=BB71_4 Depth=1
	ds_load_b32 v0, v93 offset:264
	s_wait_dscnt 0x0
	ds_store_b32 v43, v0 offset:12
.LBB71_27:                              ;   in Loop: Header=BB71_4 Depth=1
	s_wait_alu 0xfffe
	s_or_b32 exec_lo, exec_lo, s18
	s_wait_loadcnt_dscnt 0x0
	s_barrier_signal -1
	s_barrier_wait -1
	global_inv scope:SCOPE_SE
	ds_load_b32 v10, v92
	ds_load_b32 v11, v93 offset:264
	ds_load_b128 v[6:9], v44
	ds_load_2addr_b32 v[0:1], v93 offset1:33
	v_mov_b32_e32 v98, 0
	s_wait_loadcnt_dscnt 0x0
	s_barrier_signal -1
	s_barrier_wait -1
	global_inv scope:SCOPE_SE
	v_fma_f32 v6, v10, v6, 0
	s_delay_alu instid0(VALU_DEP_1) | instskip(NEXT) | instid1(VALU_DEP_1)
	v_fmac_f32_e32 v6, v0, v7
	v_fmac_f32_e32 v6, v1, v8
	s_delay_alu instid0(VALU_DEP_1)
	v_fmac_f32_e32 v6, v11, v9
	ds_store_b32 v45, v6
	s_wait_loadcnt_dscnt 0x0
	s_barrier_signal -1
	s_barrier_wait -1
	global_inv scope:SCOPE_SE
	s_and_saveexec_b32 s18, s10
	s_cbranch_execz .LBB71_29
; %bb.28:                               ;   in Loop: Header=BB71_4 Depth=1
	ds_load_2addr_b32 v[0:1], v42 offset1:1
	ds_load_2addr_b32 v[6:7], v42 offset0:2 offset1:3
	ds_load_2addr_b32 v[8:9], v42 offset0:4 offset1:5
	;; [unrolled: 1-line block ×3, first 2 shown]
	s_wait_dscnt 0x3
	v_add_f32_e32 v0, v0, v1
	s_wait_dscnt 0x2
	s_delay_alu instid0(VALU_DEP_1) | instskip(NEXT) | instid1(VALU_DEP_1)
	v_add_f32_e32 v0, v0, v6
	v_add_f32_e32 v0, v0, v7
	s_wait_dscnt 0x1
	s_delay_alu instid0(VALU_DEP_1) | instskip(NEXT) | instid1(VALU_DEP_1)
	v_add_f32_e32 v0, v0, v8
	;; [unrolled: 4-line block ×3, first 2 shown]
	v_add_f32_e32 v98, v0, v11
.LBB71_29:                              ;   in Loop: Header=BB71_4 Depth=1
	s_wait_alu 0xfffe
	s_or_b32 exec_lo, exec_lo, s18
	v_add_co_u32 v6, vcc_lo, v2, s54
	s_wait_alu 0xfffd
	v_add_co_ci_u32_e64 v7, null, s55, v3, vcc_lo
	s_mov_b32 s18, -1
	v_add_co_u32 v2, vcc_lo, 0x80, v6
	s_wait_alu 0xfffd
	v_add_co_ci_u32_e64 v3, null, 0, v7, vcc_lo
	s_and_b32 vcc_lo, exec_lo, s92
	s_wait_loadcnt 0x0
	s_barrier_signal -1
	s_barrier_wait -1
	global_inv scope:SCOPE_SE
                                        ; implicit-def: $vgpr0_vgpr1
	s_wait_alu 0xfffe
	s_cbranch_vccz .LBB71_39
; %bb.30:                               ;   in Loop: Header=BB71_4 Depth=1
	v_add_co_u32 v0, vcc_lo, v6, v20
	s_wait_alu 0xfffd
	v_add_co_ci_u32_e64 v1, null, v7, v21, vcc_lo
	s_lshl_b64 s[88:89], s[26:27], 2
	v_dual_mov_b32 v9, 0 :: v_dual_mov_b32 v8, 0
	s_wait_alu 0xfffe
	v_add_co_u32 v0, vcc_lo, v0, s88
	s_wait_alu 0xfffd
	v_add_co_ci_u32_e64 v1, null, s89, v1, vcc_lo
	s_delay_alu instid0(VALU_DEP_2) | instskip(SKIP_1) | instid1(VALU_DEP_2)
	v_add_co_u32 v0, vcc_lo, v0, -4
	s_wait_alu 0xfffd
	v_add_co_ci_u32_e64 v1, null, -1, v1, vcc_lo
	s_delay_alu instid0(VALU_DEP_2) | instskip(NEXT) | instid1(VALU_DEP_2)
	v_cndmask_b32_e64 v0, v0, v2, s11
	v_cndmask_b32_e64 v1, v1, v3, s11
	s_and_saveexec_b32 s18, s12
	s_cbranch_execz .LBB71_32
; %bb.31:                               ;   in Loop: Header=BB71_4 Depth=1
	global_load_b32 v8, v[0:1], off
.LBB71_32:                              ;   in Loop: Header=BB71_4 Depth=1
	s_wait_alu 0xfffe
	s_or_b32 exec_lo, exec_lo, s18
	s_wait_loadcnt 0x0
	ds_store_b32 v91, v8
	s_and_saveexec_b32 s18, s13
	s_cbranch_execz .LBB71_34
; %bb.33:                               ;   in Loop: Header=BB71_4 Depth=1
	s_lshl_b64 s[88:89], s[42:43], 2
	s_wait_alu 0xfffe
	v_add_co_u32 v8, vcc_lo, v0, s88
	s_wait_alu 0xfffd
	v_add_co_ci_u32_e64 v9, null, s89, v1, vcc_lo
	global_load_b32 v9, v[8:9], off
.LBB71_34:                              ;   in Loop: Header=BB71_4 Depth=1
	s_wait_alu 0xfffe
	s_or_b32 exec_lo, exec_lo, s18
	v_mov_b32_e32 v8, 0
	v_mov_b32_e32 v10, 0
	s_wait_loadcnt 0x0
	ds_store_b32 v91, v9 offset:1056
	s_and_saveexec_b32 s18, s14
	s_cbranch_execz .LBB71_36
; %bb.35:                               ;   in Loop: Header=BB71_4 Depth=1
	v_add_co_u32 v9, vcc_lo, v0, s64
	s_wait_alu 0xfffd
	v_add_co_ci_u32_e64 v10, null, s65, v1, vcc_lo
	global_load_b32 v10, v[9:10], off
.LBB71_36:                              ;   in Loop: Header=BB71_4 Depth=1
	s_wait_alu 0xfffe
	s_or_b32 exec_lo, exec_lo, s18
	s_wait_loadcnt 0x0
	ds_store_b32 v91, v10 offset:2112
	s_and_saveexec_b32 s18, s15
	s_cbranch_execz .LBB71_38
; %bb.37:                               ;   in Loop: Header=BB71_4 Depth=1
	s_lshl_b64 s[88:89], s[46:47], 2
	s_wait_alu 0xfffe
	v_add_co_u32 v8, vcc_lo, v0, s88
	s_wait_alu 0xfffd
	v_add_co_ci_u32_e64 v9, null, s89, v1, vcc_lo
	global_load_b32 v8, v[8:9], off
.LBB71_38:                              ;   in Loop: Header=BB71_4 Depth=1
	s_wait_alu 0xfffe
	s_or_b32 exec_lo, exec_lo, s18
	v_add_co_u32 v0, vcc_lo, v0, v94
	s_wait_alu 0xfffd
	v_add_co_ci_u32_e64 v1, null, 0, v1, vcc_lo
	s_lshl_b64 s[88:89], s[48:49], 2
	s_mov_b32 s18, 0
	s_wait_alu 0xfffe
	v_add_co_u32 v0, vcc_lo, v0, s88
	s_wait_alu 0xfffd
	v_add_co_ci_u32_e64 v1, null, s89, v1, vcc_lo
	s_wait_loadcnt 0x0
	ds_store_b32 v91, v8 offset:3168
	v_add_co_u32 v0, vcc_lo, 0x84, v0
	s_wait_alu 0xfffd
	v_add_co_ci_u32_e64 v1, null, 0, v1, vcc_lo
	s_delay_alu instid0(VALU_DEP_2) | instskip(NEXT) | instid1(VALU_DEP_2)
	v_cndmask_b32_e64 v0, v0, v2, s11
	v_cndmask_b32_e64 v1, v1, v3, s11
.LBB71_39:                              ;   in Loop: Header=BB71_4 Depth=1
	s_and_b32 vcc_lo, exec_lo, s18
	s_wait_alu 0xfffe
	s_cbranch_vccz .LBB71_41
; %bb.40:                               ;   in Loop: Header=BB71_4 Depth=1
	s_lshl_b64 s[88:89], s[42:43], 2
	s_wait_alu 0xfffe
	v_add_co_u32 v0, vcc_lo, v6, s88
	s_wait_alu 0xfffd
	v_add_co_ci_u32_e64 v1, null, s89, v7, vcc_lo
	s_delay_alu instid0(VALU_DEP_2) | instskip(SKIP_1) | instid1(VALU_DEP_2)
	v_add_co_u32 v8, vcc_lo, v0, s50
	s_wait_alu 0xfffd
	v_add_co_ci_u32_e64 v9, null, s51, v1, vcc_lo
	s_delay_alu instid0(VALU_DEP_2) | instskip(SKIP_1) | instid1(VALU_DEP_2)
	v_add_co_u32 v10, vcc_lo, v8, s50
	s_wait_alu 0xfffd
	v_add_co_ci_u32_e64 v11, null, s51, v9, vcc_lo
	s_clause 0x3
	global_load_b32 v6, v[6:7], off offset:128
	global_load_b32 v7, v[0:1], off offset:128
	;; [unrolled: 1-line block ×4, first 2 shown]
	v_dual_mov_b32 v0, v2 :: v_dual_mov_b32 v1, v3
	s_wait_loadcnt 0x3
	ds_store_b32 v91, v6
	s_wait_loadcnt 0x2
	ds_store_b32 v91, v7 offset:1056
	s_wait_loadcnt 0x1
	ds_store_b32 v91, v8 offset:2112
	;; [unrolled: 2-line block ×3, first 2 shown]
.LBB71_41:                              ;   in Loop: Header=BB71_4 Depth=1
	s_wait_loadcnt_dscnt 0x0
	s_barrier_signal -1
	s_barrier_wait -1
	global_inv scope:SCOPE_SE
	s_and_saveexec_b32 s18, s6
	s_cbranch_execnz .LBB71_126
; %bb.42:                               ;   in Loop: Header=BB71_4 Depth=1
	s_wait_alu 0xfffe
	s_or_b32 exec_lo, exec_lo, s18
	s_and_saveexec_b32 s18, s7
	s_cbranch_execnz .LBB71_127
.LBB71_43:                              ;   in Loop: Header=BB71_4 Depth=1
	s_wait_alu 0xfffe
	s_or_b32 exec_lo, exec_lo, s18
	s_and_saveexec_b32 s18, s8
	s_cbranch_execnz .LBB71_128
.LBB71_44:                              ;   in Loop: Header=BB71_4 Depth=1
	s_wait_alu 0xfffe
	s_or_b32 exec_lo, exec_lo, s18
	s_and_saveexec_b32 s18, s9
	s_cbranch_execz .LBB71_46
.LBB71_45:                              ;   in Loop: Header=BB71_4 Depth=1
	ds_load_b32 v2, v93 offset:264
	s_wait_dscnt 0x0
	ds_store_b32 v43, v2 offset:12
.LBB71_46:                              ;   in Loop: Header=BB71_4 Depth=1
	s_wait_alu 0xfffe
	s_or_b32 exec_lo, exec_lo, s18
	s_wait_loadcnt_dscnt 0x0
	s_barrier_signal -1
	s_barrier_wait -1
	global_inv scope:SCOPE_SE
	ds_load_b32 v10, v92
	ds_load_b32 v11, v93 offset:264
	ds_load_b128 v[6:9], v44 offset:128
	ds_load_2addr_b32 v[2:3], v93 offset1:33
	s_wait_loadcnt_dscnt 0x0
	s_barrier_signal -1
	s_barrier_wait -1
	global_inv scope:SCOPE_SE
	v_fma_f32 v6, v10, v6, 0
	s_delay_alu instid0(VALU_DEP_1) | instskip(NEXT) | instid1(VALU_DEP_1)
	v_fmac_f32_e32 v6, v2, v7
	v_fmac_f32_e32 v6, v3, v8
	s_delay_alu instid0(VALU_DEP_1)
	v_fmac_f32_e32 v6, v11, v9
	ds_store_b32 v45, v6
	s_wait_loadcnt_dscnt 0x0
	s_barrier_signal -1
	s_barrier_wait -1
	global_inv scope:SCOPE_SE
	s_and_saveexec_b32 s18, s16
	s_cbranch_execz .LBB71_48
; %bb.47:                               ;   in Loop: Header=BB71_4 Depth=1
	ds_load_2addr_b32 v[2:3], v42 offset1:1
	ds_load_2addr_b32 v[6:7], v42 offset0:2 offset1:3
	ds_load_2addr_b32 v[8:9], v42 offset0:4 offset1:5
	ds_load_2addr_b32 v[10:11], v42 offset0:6 offset1:7
	s_wait_dscnt 0x3
	v_add_f32_e32 v2, v2, v3
	s_wait_dscnt 0x2
	s_delay_alu instid0(VALU_DEP_1) | instskip(NEXT) | instid1(VALU_DEP_1)
	v_add_f32_e32 v2, v2, v6
	v_add_f32_e32 v2, v2, v7
	s_wait_dscnt 0x1
	s_delay_alu instid0(VALU_DEP_1) | instskip(NEXT) | instid1(VALU_DEP_1)
	v_add_f32_e32 v2, v2, v8
	;; [unrolled: 4-line block ×3, first 2 shown]
	v_add_f32_e32 v98, v2, v11
.LBB71_48:                              ;   in Loop: Header=BB71_4 Depth=1
	s_wait_alu 0xfffe
	s_or_b32 exec_lo, exec_lo, s18
	v_add_co_u32 v2, vcc_lo, 0xffffff80, v0
	s_wait_alu 0xfffd
	v_add_co_ci_u32_e64 v3, null, -1, v1, vcc_lo
	s_and_b32 vcc_lo, exec_lo, s92
	s_mov_b32 s18, -1
	s_wait_loadcnt 0x0
	s_barrier_signal -1
	s_barrier_wait -1
	global_inv scope:SCOPE_SE
                                        ; implicit-def: $vgpr6_vgpr7
	s_wait_alu 0xfffe
	s_cbranch_vccz .LBB71_58
; %bb.49:                               ;   in Loop: Header=BB71_4 Depth=1
	v_add_co_u32 v6, vcc_lo, v0, v20
	s_wait_alu 0xfffd
	v_add_co_ci_u32_e64 v7, null, v1, v21, vcc_lo
	s_lshl_b64 s[88:89], s[26:27], 2
	v_dual_mov_b32 v9, 0 :: v_dual_mov_b32 v8, 0
	s_wait_alu 0xfffe
	v_add_co_u32 v6, vcc_lo, v6, s88
	s_wait_alu 0xfffd
	v_add_co_ci_u32_e64 v7, null, s89, v7, vcc_lo
	s_delay_alu instid0(VALU_DEP_2) | instskip(SKIP_1) | instid1(VALU_DEP_2)
	v_add_co_u32 v6, vcc_lo, 0xffffff7c, v6
	s_wait_alu 0xfffd
	v_add_co_ci_u32_e64 v7, null, -1, v7, vcc_lo
	s_delay_alu instid0(VALU_DEP_2) | instskip(NEXT) | instid1(VALU_DEP_2)
	v_cndmask_b32_e64 v6, v6, v2, s1
	v_cndmask_b32_e64 v7, v7, v3, s1
	s_and_saveexec_b32 s18, s12
	s_cbranch_execz .LBB71_51
; %bb.50:                               ;   in Loop: Header=BB71_4 Depth=1
	global_load_b32 v8, v[6:7], off
.LBB71_51:                              ;   in Loop: Header=BB71_4 Depth=1
	s_wait_alu 0xfffe
	s_or_b32 exec_lo, exec_lo, s18
	s_wait_loadcnt 0x0
	ds_store_b32 v91, v8
	s_and_saveexec_b32 s18, s13
	s_cbranch_execz .LBB71_53
; %bb.52:                               ;   in Loop: Header=BB71_4 Depth=1
	s_lshl_b64 s[88:89], s[42:43], 2
	s_wait_alu 0xfffe
	v_add_co_u32 v8, vcc_lo, v6, s88
	s_wait_alu 0xfffd
	v_add_co_ci_u32_e64 v9, null, s89, v7, vcc_lo
	global_load_b32 v9, v[8:9], off
.LBB71_53:                              ;   in Loop: Header=BB71_4 Depth=1
	s_wait_alu 0xfffe
	s_or_b32 exec_lo, exec_lo, s18
	v_mov_b32_e32 v8, 0
	v_mov_b32_e32 v10, 0
	s_wait_loadcnt 0x0
	ds_store_b32 v91, v9 offset:1056
	s_and_saveexec_b32 s18, s14
	s_cbranch_execz .LBB71_55
; %bb.54:                               ;   in Loop: Header=BB71_4 Depth=1
	v_add_co_u32 v9, vcc_lo, v6, s64
	s_wait_alu 0xfffd
	v_add_co_ci_u32_e64 v10, null, s65, v7, vcc_lo
	global_load_b32 v10, v[9:10], off
.LBB71_55:                              ;   in Loop: Header=BB71_4 Depth=1
	s_wait_alu 0xfffe
	s_or_b32 exec_lo, exec_lo, s18
	s_wait_loadcnt 0x0
	ds_store_b32 v91, v10 offset:2112
	s_and_saveexec_b32 s18, s15
	s_cbranch_execz .LBB71_57
; %bb.56:                               ;   in Loop: Header=BB71_4 Depth=1
	s_lshl_b64 s[88:89], s[46:47], 2
	s_wait_alu 0xfffe
	v_add_co_u32 v8, vcc_lo, v6, s88
	s_wait_alu 0xfffd
	v_add_co_ci_u32_e64 v9, null, s89, v7, vcc_lo
	global_load_b32 v8, v[8:9], off
.LBB71_57:                              ;   in Loop: Header=BB71_4 Depth=1
	s_wait_alu 0xfffe
	s_or_b32 exec_lo, exec_lo, s18
	v_add_co_u32 v6, vcc_lo, v6, v94
	s_wait_alu 0xfffd
	v_add_co_ci_u32_e64 v7, null, 0, v7, vcc_lo
	s_lshl_b64 s[88:89], s[48:49], 2
	s_mov_b32 s18, 0
	s_wait_alu 0xfffe
	v_add_co_u32 v6, vcc_lo, v6, s88
	s_wait_alu 0xfffd
	v_add_co_ci_u32_e64 v7, null, s89, v7, vcc_lo
	s_wait_loadcnt 0x0
	ds_store_b32 v91, v8 offset:3168
	v_add_co_u32 v6, vcc_lo, v6, 4
	s_wait_alu 0xfffd
	v_add_co_ci_u32_e64 v7, null, 0, v7, vcc_lo
	s_delay_alu instid0(VALU_DEP_2) | instskip(NEXT) | instid1(VALU_DEP_2)
	v_cndmask_b32_e64 v6, v6, v2, s1
	v_cndmask_b32_e64 v7, v7, v3, s1
.LBB71_58:                              ;   in Loop: Header=BB71_4 Depth=1
	s_and_b32 vcc_lo, exec_lo, s18
	s_wait_alu 0xfffe
	s_cbranch_vccz .LBB71_60
; %bb.59:                               ;   in Loop: Header=BB71_4 Depth=1
	s_lshl_b64 s[88:89], s[42:43], 2
	s_wait_alu 0xfffe
	v_add_co_u32 v6, vcc_lo, v0, s88
	s_wait_alu 0xfffd
	v_add_co_ci_u32_e64 v7, null, s89, v1, vcc_lo
	s_delay_alu instid0(VALU_DEP_2) | instskip(SKIP_1) | instid1(VALU_DEP_2)
	v_add_co_u32 v8, vcc_lo, v6, s50
	s_wait_alu 0xfffd
	v_add_co_ci_u32_e64 v9, null, s51, v7, vcc_lo
	s_delay_alu instid0(VALU_DEP_2) | instskip(SKIP_1) | instid1(VALU_DEP_2)
	v_add_co_u32 v10, vcc_lo, v8, s50
	s_wait_alu 0xfffd
	v_add_co_ci_u32_e64 v11, null, s51, v9, vcc_lo
	s_clause 0x3
	global_load_b32 v0, v[0:1], off offset:-128
	global_load_b32 v1, v[6:7], off offset:-128
	;; [unrolled: 1-line block ×4, first 2 shown]
	v_dual_mov_b32 v7, v3 :: v_dual_mov_b32 v6, v2
	s_wait_loadcnt 0x3
	ds_store_b32 v91, v0
	s_wait_loadcnt 0x2
	ds_store_b32 v91, v1 offset:1056
	s_wait_loadcnt 0x1
	ds_store_b32 v91, v8 offset:2112
	;; [unrolled: 2-line block ×3, first 2 shown]
.LBB71_60:                              ;   in Loop: Header=BB71_4 Depth=1
	s_wait_loadcnt_dscnt 0x0
	s_barrier_signal -1
	s_barrier_wait -1
	global_inv scope:SCOPE_SE
	ds_load_b32 v0, v95
	ds_load_b32 v1, v96
	ds_load_2addr_b32 v[12:13], v69 offset0:8 offset1:16
	ds_load_2addr_b32 v[14:15], v70 offset0:8 offset1:16
	ds_load_b32 v24, v69 offset:96
	ds_load_b32 v25, v70 offset:96
	;; [unrolled: 1-line block ×3, first 2 shown]
	s_wait_dscnt 0x5
	v_fma_f32 v26, v0, v1, 0
	ds_load_b32 v11, v92
	ds_load_b128 v[0:3], v44 offset:128
	ds_load_2addr_b32 v[8:9], v93 offset1:33
	s_wait_loadcnt_dscnt 0x0
	s_barrier_signal -1
	s_barrier_wait -1
	v_fmac_f32_e32 v26, v12, v14
	global_inv scope:SCOPE_SE
	v_fmac_f32_e32 v26, v13, v15
	s_delay_alu instid0(VALU_DEP_1)
	v_fmac_f32_e32 v26, v24, v25
	ds_store_b32 v45, v26
	s_wait_loadcnt_dscnt 0x0
	s_barrier_signal -1
	s_barrier_wait -1
	global_inv scope:SCOPE_SE
	s_and_saveexec_b32 s18, s16
	s_cbranch_execz .LBB71_62
; %bb.61:                               ;   in Loop: Header=BB71_4 Depth=1
	ds_load_2addr_b32 v[12:13], v42 offset1:1
	ds_load_2addr_b32 v[14:15], v42 offset0:2 offset1:3
	ds_load_2addr_b32 v[24:25], v42 offset0:4 offset1:5
	;; [unrolled: 1-line block ×3, first 2 shown]
	s_wait_dscnt 0x3
	v_add_f32_e32 v12, v98, v12
	s_delay_alu instid0(VALU_DEP_1) | instskip(SKIP_1) | instid1(VALU_DEP_1)
	v_add_f32_e32 v12, v12, v13
	s_wait_dscnt 0x2
	v_add_f32_e32 v12, v12, v14
	s_delay_alu instid0(VALU_DEP_1) | instskip(SKIP_1) | instid1(VALU_DEP_1)
	v_add_f32_e32 v12, v12, v15
	;; [unrolled: 4-line block ×3, first 2 shown]
	s_wait_dscnt 0x0
	v_add_f32_e32 v12, v12, v26
	s_delay_alu instid0(VALU_DEP_1)
	v_add_f32_e32 v98, v12, v27
.LBB71_62:                              ;   in Loop: Header=BB71_4 Depth=1
	s_wait_alu 0xfffe
	s_or_b32 exec_lo, exec_lo, s18
	v_fma_f32 v0, v11, v0, 0
	s_wait_loadcnt 0x0
	s_barrier_signal -1
	s_barrier_wait -1
	global_inv scope:SCOPE_SE
	v_fmac_f32_e32 v0, v8, v1
	s_delay_alu instid0(VALU_DEP_1) | instskip(NEXT) | instid1(VALU_DEP_1)
	v_fmac_f32_e32 v0, v9, v2
	v_fmac_f32_e32 v0, v10, v3
	ds_store_b32 v45, v0
	s_wait_loadcnt_dscnt 0x0
	s_barrier_signal -1
	s_barrier_wait -1
	global_inv scope:SCOPE_SE
	s_and_saveexec_b32 s18, s10
	s_cbranch_execz .LBB71_64
; %bb.63:                               ;   in Loop: Header=BB71_4 Depth=1
	ds_load_2addr_b32 v[0:1], v42 offset1:1
	ds_load_2addr_b32 v[2:3], v42 offset0:2 offset1:3
	ds_load_2addr_b32 v[8:9], v42 offset0:4 offset1:5
	;; [unrolled: 1-line block ×3, first 2 shown]
	s_wait_dscnt 0x3
	v_add_f32_e32 v0, v98, v0
	s_delay_alu instid0(VALU_DEP_1) | instskip(SKIP_1) | instid1(VALU_DEP_1)
	v_add_f32_e32 v0, v0, v1
	s_wait_dscnt 0x2
	v_add_f32_e32 v0, v0, v2
	s_delay_alu instid0(VALU_DEP_1) | instskip(SKIP_1) | instid1(VALU_DEP_1)
	v_add_f32_e32 v0, v0, v3
	;; [unrolled: 4-line block ×3, first 2 shown]
	s_wait_dscnt 0x0
	v_add_f32_e32 v0, v0, v10
	s_delay_alu instid0(VALU_DEP_1)
	v_add_f32_e32 v98, v0, v11
.LBB71_64:                              ;   in Loop: Header=BB71_4 Depth=1
	s_wait_alu 0xfffe
	s_or_b32 exec_lo, exec_lo, s18
	s_mul_u64 s[88:89], s[24:25], s[34:35]
	s_and_not1_b32 vcc_lo, exec_lo, s45
	s_wait_alu 0xfffe
	s_lshl_b64 s[88:89], s[88:89], 2
	s_wait_loadcnt 0x0
	s_wait_alu 0xfffe
	s_add_nc_u64 s[88:89], s[30:31], s[88:89]
	s_barrier_signal -1
	s_barrier_wait -1
	global_inv scope:SCOPE_SE
	s_cbranch_vccnz .LBB71_121
; %bb.65:                               ;   in Loop: Header=BB71_4 Depth=1
	v_add_co_u32 v99, vcc_lo, v4, s86
	s_wait_alu 0xfffd
	v_add_co_ci_u32_e64 v100, null, s87, v5, vcc_lo
	v_add_co_u32 v101, vcc_lo, v6, s54
	s_wait_alu 0xfffd
	v_add_co_ci_u32_e64 v102, null, s55, v7, vcc_lo
	;; [unrolled: 3-line block ×25, first 2 shown]
	v_mov_b32_e32 v24, v71
	s_mov_b32 s98, ttmp9
	s_mov_b32 s90, s97
	s_wait_alu 0xfffe
	s_cmp_eq_u32 s94, s98
	s_cselect_b32 s99, s33, 0
	s_and_saveexec_b32 s18, s0
	s_cbranch_execz .LBB71_69
.LBB71_66:                              ;   in Loop: Header=BB71_4 Depth=1
	s_wait_alu 0xfffe
	v_cmp_gt_i32_e32 vcc_lo, s99, v16
	s_cmp_eq_u32 s99, 0
	v_mov_b32_e32 v0, 0
	s_cselect_b32 s91, -1, 0
	s_delay_alu instid0(SALU_CYCLE_1) | instskip(NEXT) | instid1(SALU_CYCLE_1)
	s_or_b32 s91, s91, vcc_lo
	s_and_saveexec_b32 s100, s91
	s_cbranch_execz .LBB71_68
; %bb.67:                               ;   in Loop: Header=BB71_4 Depth=1
	s_ashr_i32 s91, s90, 31
	s_delay_alu instid0(SALU_CYCLE_1)
	s_lshl_b64 s[102:103], s[90:91], 2
	s_wait_alu 0xfffe
	v_add_co_u32 v0, vcc_lo, v99, s102
	s_wait_alu 0xfffd
	v_add_co_ci_u32_e64 v1, null, s103, v100, vcc_lo
	global_load_b32 v0, v[0:1], off
.LBB71_68:                              ;   in Loop: Header=BB71_4 Depth=1
	s_or_b32 exec_lo, exec_lo, s100
	s_wait_loadcnt 0x0
	ds_store_b32 v47, v0
.LBB71_69:                              ;   Parent Loop BB71_4 Depth=1
                                        ; =>  This Inner Loop Header: Depth=2
	s_wait_alu 0xfffe
	s_or_b32 exec_lo, exec_lo, s18
	s_cmp_eq_u32 s99, 0
	v_add_co_u32 v0, vcc_lo, v101, v74
	s_cselect_b32 s91, -1, 0
	s_cmp_lg_u32 s99, 0
	s_wait_alu 0xfffd
	v_add_co_ci_u32_e64 v1, null, v102, v75, vcc_lo
	s_cselect_b32 s18, -1, 0
	s_mov_b32 s100, -1
	s_wait_alu 0xfffe
	s_and_b32 vcc_lo, exec_lo, s18
	s_wait_loadcnt_dscnt 0x0
	s_barrier_signal -1
	s_barrier_wait -1
	global_inv scope:SCOPE_SE
                                        ; implicit-def: $vgpr150
                                        ; implicit-def: $vgpr151
                                        ; implicit-def: $vgpr149
                                        ; implicit-def: $vgpr152
	s_wait_alu 0xfffe
	s_cbranch_vccz .LBB71_79
; %bb.70:                               ;   in Loop: Header=BB71_69 Depth=2
	v_dual_mov_b32 v149, 0 :: v_dual_mov_b32 v152, 0
	s_mov_b32 s100, exec_lo
	v_cmpx_gt_i32_e64 s99, v46
	s_cbranch_execz .LBB71_72
; %bb.71:                               ;   in Loop: Header=BB71_69 Depth=2
	global_load_b32 v152, v[0:1], off
.LBB71_72:                              ;   in Loop: Header=BB71_69 Depth=2
	s_or_b32 exec_lo, exec_lo, s100
	s_delay_alu instid0(SALU_CYCLE_1)
	s_mov_b32 s100, exec_lo
	v_cmpx_gt_i32_e64 s99, v53
	s_cbranch_execz .LBB71_74
; %bb.73:                               ;   in Loop: Header=BB71_69 Depth=2
	v_add_co_u32 v2, vcc_lo, v107, v74
	s_wait_alu 0xfffd
	v_add_co_ci_u32_e64 v3, null, v108, v75, vcc_lo
	global_load_b32 v149, v[2:3], off
.LBB71_74:                              ;   in Loop: Header=BB71_69 Depth=2
	s_or_b32 exec_lo, exec_lo, s100
	v_dual_mov_b32 v150, 0 :: v_dual_mov_b32 v151, 0
	s_mov_b32 s100, exec_lo
	v_cmpx_gt_i32_e64 s99, v54
	s_cbranch_execz .LBB71_76
; %bb.75:                               ;   in Loop: Header=BB71_69 Depth=2
	v_add_co_u32 v2, vcc_lo, v109, v74
	s_wait_alu 0xfffd
	v_add_co_ci_u32_e64 v3, null, v110, v75, vcc_lo
	global_load_b32 v151, v[2:3], off
.LBB71_76:                              ;   in Loop: Header=BB71_69 Depth=2
	s_or_b32 exec_lo, exec_lo, s100
	s_delay_alu instid0(SALU_CYCLE_1)
	s_mov_b32 s100, exec_lo
	v_cmpx_gt_i32_e64 s99, v55
	s_cbranch_execz .LBB71_78
; %bb.77:                               ;   in Loop: Header=BB71_69 Depth=2
	v_add_co_u32 v2, vcc_lo, v111, v74
	s_wait_alu 0xfffd
	v_add_co_ci_u32_e64 v3, null, v112, v75, vcc_lo
	global_load_b32 v150, v[2:3], off
.LBB71_78:                              ;   in Loop: Header=BB71_69 Depth=2
	s_or_b32 exec_lo, exec_lo, s100
	s_mov_b32 s100, 0
.LBB71_79:                              ;   in Loop: Header=BB71_69 Depth=2
	s_delay_alu instid0(SALU_CYCLE_1)
	s_and_b32 vcc_lo, exec_lo, s100
	s_wait_alu 0xfffe
	s_cbranch_vccz .LBB71_81
; %bb.80:                               ;   in Loop: Header=BB71_69 Depth=2
	v_add_co_u32 v2, vcc_lo, v107, v74
	s_wait_alu 0xfffd
	v_add_co_ci_u32_e64 v3, null, v108, v75, vcc_lo
	v_add_co_u32 v4, vcc_lo, v103, v74
	s_wait_alu 0xfffd
	v_add_co_ci_u32_e64 v5, null, v104, v75, vcc_lo
	;; [unrolled: 3-line block ×3, first 2 shown]
	s_wait_loadcnt 0x0
	global_load_b32 v152, v[0:1], off
	global_load_b32 v149, v[2:3], off
	;; [unrolled: 1-line block ×4, first 2 shown]
.LBB71_81:                              ;   in Loop: Header=BB71_69 Depth=2
	ds_load_b32 v4, v38
	ds_load_b128 v[0:3], v48
	v_cndmask_b32_e64 v33, 0, 1, s18
                                        ; implicit-def: $vgpr156
                                        ; implicit-def: $vgpr155
                                        ; implicit-def: $vgpr154
                                        ; implicit-def: $vgpr153
	s_wait_loadcnt_dscnt 0x1
	v_mul_f32_e32 v5, v152, v4
	v_mul_f32_e32 v6, v149, v4
	;; [unrolled: 1-line block ×4, first 2 shown]
	ds_store_2addr_b32 v49, v5, v6 offset1:67
	ds_store_2addr_b32 v49, v7, v4 offset0:134 offset1:201
	s_wait_dscnt 0x0
	s_barrier_signal -1
	s_barrier_wait -1
	global_inv scope:SCOPE_SE
	ds_load_2addr_b32 v[14:15], v97 offset1:1
	ds_load_2addr_b32 v[12:13], v97 offset0:2 offset1:3
	v_add_co_u32 v4, vcc_lo, v113, v74
	s_wait_alu 0xfffd
	v_add_co_ci_u32_e64 v5, null, v114, v75, vcc_lo
	s_and_not1_b32 vcc_lo, exec_lo, s18
	s_mov_b32 s18, -1
	s_wait_loadcnt_dscnt 0x0
	s_barrier_signal -1
	s_barrier_wait -1
	global_inv scope:SCOPE_SE
	s_wait_alu 0xfffe
	s_cbranch_vccnz .LBB71_91
; %bb.82:                               ;   in Loop: Header=BB71_69 Depth=2
	v_dual_mov_b32 v154, 0 :: v_dual_mov_b32 v153, 0
	s_mov_b32 s18, exec_lo
	v_cmpx_gt_i32_e64 s99, v56
	s_cbranch_execz .LBB71_84
; %bb.83:                               ;   in Loop: Header=BB71_69 Depth=2
	global_load_b32 v153, v[4:5], off
.LBB71_84:                              ;   in Loop: Header=BB71_69 Depth=2
	s_wait_alu 0xfffe
	s_or_b32 exec_lo, exec_lo, s18
	s_delay_alu instid0(SALU_CYCLE_1)
	s_mov_b32 s18, exec_lo
	v_cmpx_gt_i32_e64 s99, v57
	s_cbranch_execz .LBB71_86
; %bb.85:                               ;   in Loop: Header=BB71_69 Depth=2
	v_add_co_u32 v6, vcc_lo, v115, v74
	s_wait_alu 0xfffd
	v_add_co_ci_u32_e64 v7, null, v116, v75, vcc_lo
	global_load_b32 v154, v[6:7], off
.LBB71_86:                              ;   in Loop: Header=BB71_69 Depth=2
	s_wait_alu 0xfffe
	s_or_b32 exec_lo, exec_lo, s18
	v_dual_mov_b32 v156, 0 :: v_dual_mov_b32 v155, 0
	s_mov_b32 s18, exec_lo
	v_cmpx_gt_i32_e64 s99, v58
	s_cbranch_execz .LBB71_88
; %bb.87:                               ;   in Loop: Header=BB71_69 Depth=2
	v_add_co_u32 v6, vcc_lo, v117, v74
	s_wait_alu 0xfffd
	v_add_co_ci_u32_e64 v7, null, v118, v75, vcc_lo
	global_load_b32 v155, v[6:7], off
.LBB71_88:                              ;   in Loop: Header=BB71_69 Depth=2
	s_wait_alu 0xfffe
	s_or_b32 exec_lo, exec_lo, s18
	s_delay_alu instid0(SALU_CYCLE_1)
	s_mov_b32 s18, exec_lo
	v_cmpx_gt_i32_e64 s99, v59
	s_cbranch_execz .LBB71_90
; %bb.89:                               ;   in Loop: Header=BB71_69 Depth=2
	v_add_co_u32 v6, vcc_lo, v119, v74
	s_wait_alu 0xfffd
	v_add_co_ci_u32_e64 v7, null, v120, v75, vcc_lo
	global_load_b32 v156, v[6:7], off
.LBB71_90:                              ;   in Loop: Header=BB71_69 Depth=2
	s_wait_alu 0xfffe
	s_or_b32 exec_lo, exec_lo, s18
	s_mov_b32 s18, 0
.LBB71_91:                              ;   in Loop: Header=BB71_69 Depth=2
	s_wait_alu 0xfffe
	s_and_b32 vcc_lo, exec_lo, s18
	s_wait_alu 0xfffe
	s_cbranch_vccz .LBB71_93
; %bb.92:                               ;   in Loop: Header=BB71_69 Depth=2
	s_wait_loadcnt 0x0
	global_load_b32 v153, v[4:5], off
	v_add_co_u32 v4, vcc_lo, v115, v74
	s_wait_alu 0xfffd
	v_add_co_ci_u32_e64 v5, null, v116, v75, vcc_lo
	global_load_b32 v154, v[4:5], off
	v_add_co_u32 v4, vcc_lo, v121, v74
	s_wait_alu 0xfffd
	v_add_co_ci_u32_e64 v5, null, v122, v75, vcc_lo
	;; [unrolled: 4-line block ×3, first 2 shown]
	global_load_b32 v156, v[4:5], off
.LBB71_93:                              ;   in Loop: Header=BB71_69 Depth=2
	ds_load_b32 v4, v38
	v_cmp_ne_u32_e32 vcc_lo, 1, v33
                                        ; implicit-def: $vgpr159
                                        ; implicit-def: $vgpr160
                                        ; implicit-def: $vgpr157
                                        ; implicit-def: $vgpr158
	s_and_b32 vcc_lo, exec_lo, vcc_lo
	s_wait_loadcnt_dscnt 0x0
	v_mul_f32_e32 v8, v153, v4
	v_mul_f32_e32 v9, v154, v4
	;; [unrolled: 1-line block ×4, first 2 shown]
	ds_load_b128 v[4:7], v48 offset:64
	ds_store_2addr_b32 v49, v8, v9 offset1:67
	ds_store_2addr_b32 v49, v10, v11 offset0:134 offset1:201
	s_wait_dscnt 0x0
	s_barrier_signal -1
	s_barrier_wait -1
	global_inv scope:SCOPE_SE
	ds_load_2addr_b32 v[27:28], v97 offset1:1
	ds_load_2addr_b32 v[25:26], v97 offset0:2 offset1:3
	v_add_co_u32 v8, s18, v125, v74
	s_wait_alu 0xf1ff
	v_add_co_ci_u32_e64 v9, null, v126, v75, s18
	s_mov_b32 s18, -1
	s_wait_loadcnt_dscnt 0x0
	s_barrier_signal -1
	s_barrier_wait -1
	global_inv scope:SCOPE_SE
	s_wait_alu 0xfffe
	s_cbranch_vccnz .LBB71_103
; %bb.94:                               ;   in Loop: Header=BB71_69 Depth=2
	v_dual_mov_b32 v157, 0 :: v_dual_mov_b32 v158, 0
	s_mov_b32 s18, exec_lo
	v_cmpx_gt_i32_e64 s99, v60
	s_cbranch_execz .LBB71_96
; %bb.95:                               ;   in Loop: Header=BB71_69 Depth=2
	global_load_b32 v158, v[8:9], off
.LBB71_96:                              ;   in Loop: Header=BB71_69 Depth=2
	s_wait_alu 0xfffe
	s_or_b32 exec_lo, exec_lo, s18
	s_delay_alu instid0(SALU_CYCLE_1)
	s_mov_b32 s18, exec_lo
	v_cmpx_gt_i32_e64 s99, v61
	s_cbranch_execz .LBB71_98
; %bb.97:                               ;   in Loop: Header=BB71_69 Depth=2
	v_add_co_u32 v10, vcc_lo, v127, v74
	s_wait_alu 0xfffd
	v_add_co_ci_u32_e64 v11, null, v128, v75, vcc_lo
	global_load_b32 v157, v[10:11], off
.LBB71_98:                              ;   in Loop: Header=BB71_69 Depth=2
	s_wait_alu 0xfffe
	s_or_b32 exec_lo, exec_lo, s18
	v_dual_mov_b32 v159, 0 :: v_dual_mov_b32 v160, 0
	s_mov_b32 s18, exec_lo
	v_cmpx_gt_i32_e64 s99, v62
	s_cbranch_execz .LBB71_100
; %bb.99:                               ;   in Loop: Header=BB71_69 Depth=2
	v_add_co_u32 v10, vcc_lo, v129, v74
	s_wait_alu 0xfffd
	v_add_co_ci_u32_e64 v11, null, v130, v75, vcc_lo
	global_load_b32 v160, v[10:11], off
.LBB71_100:                             ;   in Loop: Header=BB71_69 Depth=2
	s_wait_alu 0xfffe
	s_or_b32 exec_lo, exec_lo, s18
	s_delay_alu instid0(SALU_CYCLE_1)
	s_mov_b32 s18, exec_lo
	v_cmpx_gt_i32_e64 s99, v63
	s_cbranch_execz .LBB71_102
; %bb.101:                              ;   in Loop: Header=BB71_69 Depth=2
	v_add_co_u32 v10, vcc_lo, v131, v74
	s_wait_alu 0xfffd
	v_add_co_ci_u32_e64 v11, null, v132, v75, vcc_lo
	global_load_b32 v159, v[10:11], off
.LBB71_102:                             ;   in Loop: Header=BB71_69 Depth=2
	s_wait_alu 0xfffe
	s_or_b32 exec_lo, exec_lo, s18
	s_mov_b32 s18, 0
.LBB71_103:                             ;   in Loop: Header=BB71_69 Depth=2
	s_wait_alu 0xfffe
	s_and_b32 vcc_lo, exec_lo, s18
	s_wait_alu 0xfffe
	s_cbranch_vccz .LBB71_105
; %bb.104:                              ;   in Loop: Header=BB71_69 Depth=2
	v_add_co_u32 v10, vcc_lo, v127, v74
	s_wait_alu 0xfffd
	v_add_co_ci_u32_e64 v11, null, v128, v75, vcc_lo
	v_add_co_u32 v29, vcc_lo, v133, v74
	s_wait_alu 0xfffd
	v_add_co_ci_u32_e64 v30, null, v134, v75, vcc_lo
	;; [unrolled: 3-line block ×3, first 2 shown]
	s_wait_loadcnt 0x0
	global_load_b32 v158, v[8:9], off
	global_load_b32 v157, v[10:11], off
	global_load_b32 v160, v[29:30], off
	global_load_b32 v159, v[31:32], off
.LBB71_105:                             ;   in Loop: Header=BB71_69 Depth=2
	ds_load_b32 v29, v38
	ds_load_b128 v[8:11], v48 offset:128
	v_cmp_ne_u32_e32 vcc_lo, 1, v33
	v_add_co_u32 v33, s18, v137, v72
	s_wait_alu 0xf1ff
	v_add_co_ci_u32_e64 v34, null, v138, v73, s18
	s_and_b32 vcc_lo, exec_lo, vcc_lo
	s_mov_b32 s18, -1
                                        ; implicit-def: $vgpr163
                                        ; implicit-def: $vgpr164
                                        ; implicit-def: $vgpr161
                                        ; implicit-def: $vgpr162
	s_wait_loadcnt_dscnt 0x1
	v_mul_f32_e32 v30, v158, v29
	v_mul_f32_e32 v31, v157, v29
	;; [unrolled: 1-line block ×4, first 2 shown]
	ds_store_2addr_b32 v49, v30, v31 offset1:67
	ds_store_2addr_b32 v49, v32, v29 offset0:134 offset1:201
	s_wait_dscnt 0x0
	s_barrier_signal -1
	s_barrier_wait -1
	global_inv scope:SCOPE_SE
	ds_load_2addr_b32 v[31:32], v97 offset1:1
	ds_load_2addr_b32 v[29:30], v97 offset0:2 offset1:3
	s_wait_loadcnt_dscnt 0x0
	s_barrier_signal -1
	s_barrier_wait -1
	global_inv scope:SCOPE_SE
	s_wait_alu 0xfffe
	s_cbranch_vccnz .LBB71_115
; %bb.106:                              ;   in Loop: Header=BB71_69 Depth=2
	v_dual_mov_b32 v161, 0 :: v_dual_mov_b32 v162, 0
	s_mov_b32 s18, exec_lo
	v_cmpx_gt_i32_e64 s99, v64
	s_cbranch_execz .LBB71_108
; %bb.107:                              ;   in Loop: Header=BB71_69 Depth=2
	global_load_b32 v162, v[33:34], off
.LBB71_108:                             ;   in Loop: Header=BB71_69 Depth=2
	s_wait_alu 0xfffe
	s_or_b32 exec_lo, exec_lo, s18
	s_delay_alu instid0(SALU_CYCLE_1)
	s_mov_b32 s18, exec_lo
	v_cmpx_gt_i32_e64 s99, v65
	s_cbranch_execz .LBB71_110
; %bb.109:                              ;   in Loop: Header=BB71_69 Depth=2
	v_add_co_u32 v163, vcc_lo, v139, v72
	s_wait_alu 0xfffd
	v_add_co_ci_u32_e64 v164, null, v140, v73, vcc_lo
	global_load_b32 v161, v[163:164], off
.LBB71_110:                             ;   in Loop: Header=BB71_69 Depth=2
	s_wait_alu 0xfffe
	s_or_b32 exec_lo, exec_lo, s18
	v_dual_mov_b32 v163, 0 :: v_dual_mov_b32 v164, 0
	s_mov_b32 s18, exec_lo
	v_cmpx_gt_i32_e64 s99, v66
	s_cbranch_execz .LBB71_112
; %bb.111:                              ;   in Loop: Header=BB71_69 Depth=2
	v_add_co_u32 v164, vcc_lo, v141, v72
	s_wait_alu 0xfffd
	v_add_co_ci_u32_e64 v165, null, v142, v73, vcc_lo
	global_load_b32 v164, v[164:165], off
.LBB71_112:                             ;   in Loop: Header=BB71_69 Depth=2
	s_wait_alu 0xfffe
	s_or_b32 exec_lo, exec_lo, s18
	s_delay_alu instid0(SALU_CYCLE_1)
	s_mov_b32 s18, exec_lo
	v_cmpx_gt_i32_e64 s99, v67
	s_cbranch_execz .LBB71_114
; %bb.113:                              ;   in Loop: Header=BB71_69 Depth=2
	v_add_co_u32 v165, vcc_lo, v143, v72
	s_wait_alu 0xfffd
	v_add_co_ci_u32_e64 v166, null, v144, v73, vcc_lo
	global_load_b32 v163, v[165:166], off
.LBB71_114:                             ;   in Loop: Header=BB71_69 Depth=2
	s_wait_alu 0xfffe
	s_or_b32 exec_lo, exec_lo, s18
	s_mov_b32 s18, 0
.LBB71_115:                             ;   in Loop: Header=BB71_69 Depth=2
	s_wait_alu 0xfffe
	s_and_b32 vcc_lo, exec_lo, s18
	s_wait_alu 0xfffe
	s_cbranch_vccz .LBB71_117
; %bb.116:                              ;   in Loop: Header=BB71_69 Depth=2
	s_wait_loadcnt 0x0
	v_add_co_u32 v163, vcc_lo, v139, v72
	s_wait_alu 0xfffd
	v_add_co_ci_u32_e64 v164, null, v140, v73, vcc_lo
	v_add_co_u32 v165, vcc_lo, v145, v72
	s_wait_alu 0xfffd
	v_add_co_ci_u32_e64 v166, null, v146, v73, vcc_lo
	;; [unrolled: 3-line block ×3, first 2 shown]
	global_load_b32 v162, v[33:34], off
	global_load_b32 v161, v[163:164], off
	;; [unrolled: 1-line block ×4, first 2 shown]
.LBB71_117:                             ;   in Loop: Header=BB71_69 Depth=2
	v_dual_add_f32 v31, 0, v31 :: v_dual_add_f32 v14, 0, v14
	v_add_f32_e32 v27, 0, v27
	v_cmp_gt_i32_e32 vcc_lo, s99, v16
	s_delay_alu instid0(VALU_DEP_3) | instskip(NEXT) | instid1(VALU_DEP_3)
	v_dual_add_f32 v31, v31, v32 :: v_dual_add_f32 v14, v14, v15
	v_add_f32_e32 v27, v27, v28
	s_or_b32 s18, s91, vcc_lo
	s_wait_alu 0xfffe
	s_and_b32 s91, s17, s18
	v_dual_add_f32 v29, v31, v29 :: v_dual_add_f32 v12, v14, v12
	v_add_f32_e32 v25, v27, v25
	s_delay_alu instid0(VALU_DEP_2) | instskip(NEXT) | instid1(VALU_DEP_2)
	v_dual_add_f32 v29, v29, v30 :: v_dual_add_f32 v28, v12, v13
	v_add_f32_e32 v27, v25, v26
	ds_load_b32 v25, v38
	ds_load_b128 v[12:15], v48 offset:192
	s_wait_loadcnt_dscnt 0x1
	v_mul_f32_e32 v26, v162, v25
	v_mul_f32_e32 v30, v161, v25
	ds_store_2addr_b32 v49, v26, v30 offset1:67
	v_mul_f32_e32 v26, v164, v25
	v_mul_f32_e32 v25, v163, v25
	ds_store_2addr_b32 v49, v26, v25 offset0:134 offset1:201
	s_wait_dscnt 0x0
	s_barrier_signal -1
	s_barrier_wait -1
	global_inv scope:SCOPE_SE
	ds_load_2addr_b32 v[25:26], v97 offset1:1
	s_wait_dscnt 0x0
	v_add_f32_e32 v25, 0, v25
	s_delay_alu instid0(VALU_DEP_1)
	v_add_f32_e32 v30, v25, v26
	ds_load_2addr_b32 v[25:26], v97 offset0:2 offset1:3
	s_wait_loadcnt_dscnt 0x0
	s_barrier_signal -1
	s_barrier_wait -1
	global_inv scope:SCOPE_SE
	v_add_f32_e32 v25, v30, v25
	s_delay_alu instid0(VALU_DEP_1)
	v_add_f32_e32 v25, v25, v26
	ds_store_2addr_b32 v50, v28, v27 offset1:16
	ds_store_2addr_b32 v50, v29, v25 offset0:32 offset1:48
	s_wait_loadcnt_dscnt 0x0
	s_barrier_signal -1
	s_barrier_wait -1
	global_inv scope:SCOPE_SE
	s_and_saveexec_b32 s18, s91
	s_cbranch_execz .LBB71_119
; %bb.118:                              ;   in Loop: Header=BB71_69 Depth=2
	ds_load_2addr_b32 v[25:26], v51 offset1:1
	ds_load_2addr_b32 v[27:28], v51 offset0:2 offset1:3
	ds_load_2addr_b32 v[29:30], v51 offset0:4 offset1:5
	;; [unrolled: 1-line block ×3, first 2 shown]
	s_wait_dscnt 0x3
	v_add_f32_e32 v25, v25, v26
	s_wait_dscnt 0x2
	s_delay_alu instid0(VALU_DEP_1) | instskip(NEXT) | instid1(VALU_DEP_1)
	v_add_f32_e32 v25, v25, v27
	v_add_f32_e32 v27, v25, v28
	ds_load_2addr_b32 v[25:26], v51 offset0:8 offset1:9
	s_wait_dscnt 0x2
	v_add_f32_e32 v27, v27, v29
	s_delay_alu instid0(VALU_DEP_1) | instskip(SKIP_3) | instid1(VALU_DEP_1)
	v_add_f32_e32 v29, v27, v30
	ds_load_2addr_b32 v[27:28], v51 offset0:10 offset1:11
	s_wait_dscnt 0x2
	v_add_f32_e32 v29, v29, v31
	v_add_f32_e32 v31, v29, v32
	ds_load_2addr_b32 v[29:30], v51 offset0:12 offset1:13
	ds_load_b32 v32, v51 offset:56
	s_wait_dscnt 0x3
	v_add_f32_e32 v25, v31, v25
	s_delay_alu instid0(VALU_DEP_1) | instskip(SKIP_1) | instid1(VALU_DEP_1)
	v_add_f32_e32 v25, v25, v26
	s_wait_dscnt 0x2
	v_add_f32_e32 v25, v25, v27
	ds_load_b32 v27, v52
	v_add_f32_e32 v25, v25, v28
	s_wait_dscnt 0x2
	s_delay_alu instid0(VALU_DEP_1) | instskip(NEXT) | instid1(VALU_DEP_1)
	v_add_f32_e32 v25, v25, v29
	v_add_f32_e32 v26, v25, v30
	v_ashrrev_i32_e32 v25, 31, v24
	s_wait_dscnt 0x1
	s_delay_alu instid0(VALU_DEP_2) | instskip(NEXT) | instid1(VALU_DEP_2)
	v_add_f32_e32 v28, v26, v32
	v_lshlrev_b64_e32 v[25:26], 2, v[24:25]
	s_wait_dscnt 0x0
	s_delay_alu instid0(VALU_DEP_2) | instskip(NEXT) | instid1(VALU_DEP_2)
	v_add_f32_e32 v27, v28, v27
	v_add_co_u32 v25, vcc_lo, s88, v25
	s_wait_alu 0xfffd
	s_delay_alu instid0(VALU_DEP_3)
	v_add_co_ci_u32_e64 v26, null, s89, v26, vcc_lo
	global_store_b32 v[25:26], v27, off
.LBB71_119:                             ;   in Loop: Header=BB71_69 Depth=2
	s_wait_alu 0xfffe
	s_or_b32 exec_lo, exec_lo, s18
	v_fmac_f32_e32 v98, v152, v0
	v_add_co_u32 v101, vcc_lo, v101, s52
	s_wait_alu 0xfffd
	v_add_co_ci_u32_e64 v102, null, s53, v102, vcc_lo
	s_delay_alu instid0(VALU_DEP_3) | instskip(SKIP_3) | instid1(VALU_DEP_3)
	v_fmac_f32_e32 v98, v149, v1
	v_add_co_u32 v103, vcc_lo, v103, s52
	s_wait_alu 0xfffd
	v_add_co_ci_u32_e64 v104, null, s53, v104, vcc_lo
	v_fmac_f32_e32 v98, v151, v2
	v_add_co_u32 v105, vcc_lo, v105, s52
	s_wait_alu 0xfffd
	v_add_co_ci_u32_e64 v106, null, s53, v106, vcc_lo
	s_delay_alu instid0(VALU_DEP_3) | instskip(SKIP_3) | instid1(VALU_DEP_3)
	v_fmac_f32_e32 v98, v150, v3
	v_add_co_u32 v107, vcc_lo, v107, s52
	s_wait_alu 0xfffd
	v_add_co_ci_u32_e64 v108, null, s53, v108, vcc_lo
	;; [unrolled: 9-line block ×4, first 2 shown]
	v_fmac_f32_e32 v98, v158, v8
	v_add_co_u32 v117, vcc_lo, v117, s52
	s_wait_alu 0xfffd
	v_add_co_ci_u32_e64 v118, null, s53, v118, vcc_lo
	s_delay_alu instid0(VALU_DEP_3)
	v_fmac_f32_e32 v98, v157, v9
	v_add_co_u32 v119, vcc_lo, v119, s52
	s_wait_alu 0xfffd
	v_add_co_ci_u32_e64 v120, null, s53, v120, vcc_lo
	v_add_co_u32 v121, vcc_lo, v121, s52
	s_wait_alu 0xfffd
	v_add_co_ci_u32_e64 v122, null, s53, v122, vcc_lo
	v_add_co_u32 v123, vcc_lo, v123, s52
	v_fmac_f32_e32 v98, v160, v10
	s_wait_alu 0xfffd
	v_add_co_ci_u32_e64 v124, null, s53, v124, vcc_lo
	v_add_co_u32 v125, vcc_lo, v125, s52
	s_wait_alu 0xfffd
	v_add_co_ci_u32_e64 v126, null, s53, v126, vcc_lo
	v_add_co_u32 v127, vcc_lo, v127, s52
	v_fmac_f32_e32 v98, v159, v11
	s_wait_alu 0xfffd
	v_add_co_ci_u32_e64 v128, null, s53, v128, vcc_lo
	v_add_co_u32 v129, vcc_lo, v129, s52
	s_wait_alu 0xfffd
	v_add_co_ci_u32_e64 v130, null, s53, v130, vcc_lo
	v_add_co_u32 v131, vcc_lo, v131, s52
	;; [unrolled: 3-line block ×3, first 2 shown]
	v_fmac_f32_e32 v98, v162, v12
	s_wait_alu 0xfffd
	v_add_co_ci_u32_e64 v134, null, s53, v134, vcc_lo
	v_add_co_u32 v135, vcc_lo, v135, s52
	s_wait_alu 0xfffd
	v_add_co_ci_u32_e64 v136, null, s53, v136, vcc_lo
	v_add_co_u32 v137, vcc_lo, v137, s52
	v_fmac_f32_e32 v98, v161, v13
	s_wait_alu 0xfffd
	v_add_co_ci_u32_e64 v138, null, s53, v138, vcc_lo
	v_add_co_u32 v139, vcc_lo, v139, s52
	s_wait_alu 0xfffd
	v_add_co_ci_u32_e64 v140, null, s53, v140, vcc_lo
	v_add_co_u32 v141, vcc_lo, v141, s52
	;; [unrolled: 3-line block ×3, first 2 shown]
	v_fmac_f32_e32 v98, v164, v14
	s_wait_alu 0xfffd
	v_add_co_ci_u32_e64 v144, null, s53, v144, vcc_lo
	v_add_co_u32 v145, vcc_lo, v145, s52
	s_wait_alu 0xfffd
	v_add_co_ci_u32_e64 v146, null, s53, v146, vcc_lo
	v_add_co_u32 v147, vcc_lo, v147, s52
	v_add_nc_u32_e32 v24, 64, v24
	v_fmac_f32_e32 v98, v163, v15
	s_wait_alu 0xfffd
	v_add_co_ci_u32_e64 v148, null, s53, v148, vcc_lo
	s_add_co_i32 s91, s98, 2
	s_add_co_i32 s18, s98, 1
	;; [unrolled: 1-line block ×3, first 2 shown]
	s_cmp_ge_u32 s91, s44
	s_wait_loadcnt 0x0
	s_wait_storecnt 0x0
	s_barrier_signal -1
	s_barrier_wait -1
	global_inv scope:SCOPE_SE
	s_cbranch_scc1 .LBB71_121
; %bb.120:                              ;   in Loop: Header=BB71_69 Depth=2
	s_wait_alu 0xfffe
	s_mov_b32 s98, s18
	s_wait_alu 0xfffe
	s_cmp_eq_u32 s94, s98
	s_cselect_b32 s99, s33, 0
	s_and_saveexec_b32 s18, s0
	s_cbranch_execnz .LBB71_66
	s_branch .LBB71_69
.LBB71_121:                             ;   in Loop: Header=BB71_4 Depth=1
	ds_store_b32 v68, v98
	s_wait_loadcnt_dscnt 0x0
	s_barrier_signal -1
	s_barrier_wait -1
	global_inv scope:SCOPE_SE
	s_and_saveexec_b32 s18, s96
	s_cbranch_execz .LBB71_2
; %bb.122:                              ;   in Loop: Header=BB71_4 Depth=1
	ds_load_2addr_b32 v[0:1], v37 offset1:67
	ds_load_2addr_b32 v[2:3], v37 offset0:134 offset1:201
	s_wait_dscnt 0x1
	v_add_f32_e32 v0, v0, v1
	s_wait_dscnt 0x0
	s_delay_alu instid0(VALU_DEP_1) | instskip(NEXT) | instid1(VALU_DEP_1)
	v_add_f32_e32 v0, v0, v2
	v_add_f32_e32 v2, v0, v3
	s_wait_alu 0xfffe
	v_add_co_u32 v0, vcc_lo, s88, v22
	s_wait_alu 0xfffd
	v_add_co_ci_u32_e64 v1, null, s89, v23, vcc_lo
	global_store_b32 v[0:1], v2, off
	s_branch .LBB71_2
.LBB71_123:                             ;   in Loop: Header=BB71_4 Depth=1
	ds_load_b32 v0, v92
	s_wait_dscnt 0x0
	ds_store_b32 v43, v0
	s_wait_alu 0xfffe
	s_or_b32 exec_lo, exec_lo, s18
	s_and_saveexec_b32 s18, s7
	s_cbranch_execz .LBB71_24
.LBB71_124:                             ;   in Loop: Header=BB71_4 Depth=1
	ds_load_b32 v0, v93
	s_wait_dscnt 0x0
	ds_store_b32 v43, v0 offset:4
	s_wait_alu 0xfffe
	s_or_b32 exec_lo, exec_lo, s18
	s_and_saveexec_b32 s18, s8
	s_cbranch_execz .LBB71_25
.LBB71_125:                             ;   in Loop: Header=BB71_4 Depth=1
	ds_load_b32 v0, v93 offset:132
	s_wait_dscnt 0x0
	ds_store_b32 v43, v0 offset:8
	s_wait_alu 0xfffe
	s_or_b32 exec_lo, exec_lo, s18
	s_and_saveexec_b32 s18, s9
	s_cbranch_execnz .LBB71_26
	s_branch .LBB71_27
.LBB71_126:                             ;   in Loop: Header=BB71_4 Depth=1
	ds_load_b32 v2, v92
	s_wait_dscnt 0x0
	ds_store_b32 v43, v2
	s_wait_alu 0xfffe
	s_or_b32 exec_lo, exec_lo, s18
	s_and_saveexec_b32 s18, s7
	s_cbranch_execz .LBB71_43
.LBB71_127:                             ;   in Loop: Header=BB71_4 Depth=1
	ds_load_b32 v2, v93
	s_wait_dscnt 0x0
	ds_store_b32 v43, v2 offset:4
	s_wait_alu 0xfffe
	s_or_b32 exec_lo, exec_lo, s18
	s_and_saveexec_b32 s18, s8
	s_cbranch_execz .LBB71_44
.LBB71_128:                             ;   in Loop: Header=BB71_4 Depth=1
	ds_load_b32 v2, v93 offset:132
	s_wait_dscnt 0x0
	ds_store_b32 v43, v2 offset:8
	s_wait_alu 0xfffe
	s_or_b32 exec_lo, exec_lo, s18
	s_and_saveexec_b32 s18, s9
	s_cbranch_execnz .LBB71_45
	s_branch .LBB71_46
.LBB71_129:
	s_nop 0
	s_sendmsg sendmsg(MSG_DEALLOC_VGPRS)
	s_endpgm
	.section	.rodata,"a",@progbits
	.p2align	6, 0x0
	.amdhsa_kernel _ZL26rocblas_hemvn_kernel_upperILb0ELi64ELi4ELi33ELi32ELi16EiPKfS1_PfEviT6_lT7_lT5_lS4_lS5_lS3_lT8_i
		.amdhsa_group_segment_fixed_size 4800
		.amdhsa_private_segment_fixed_size 0
		.amdhsa_kernarg_size 376
		.amdhsa_user_sgpr_count 2
		.amdhsa_user_sgpr_dispatch_ptr 0
		.amdhsa_user_sgpr_queue_ptr 0
		.amdhsa_user_sgpr_kernarg_segment_ptr 1
		.amdhsa_user_sgpr_dispatch_id 0
		.amdhsa_user_sgpr_private_segment_size 0
		.amdhsa_wavefront_size32 1
		.amdhsa_uses_dynamic_stack 0
		.amdhsa_enable_private_segment 0
		.amdhsa_system_sgpr_workgroup_id_x 1
		.amdhsa_system_sgpr_workgroup_id_y 0
		.amdhsa_system_sgpr_workgroup_id_z 1
		.amdhsa_system_sgpr_workgroup_info 0
		.amdhsa_system_vgpr_workitem_id 1
		.amdhsa_next_free_vgpr 169
		.amdhsa_next_free_sgpr 104
		.amdhsa_reserve_vcc 1
		.amdhsa_float_round_mode_32 0
		.amdhsa_float_round_mode_16_64 0
		.amdhsa_float_denorm_mode_32 3
		.amdhsa_float_denorm_mode_16_64 3
		.amdhsa_fp16_overflow 0
		.amdhsa_workgroup_processor_mode 1
		.amdhsa_memory_ordered 1
		.amdhsa_forward_progress 1
		.amdhsa_inst_pref_size 72
		.amdhsa_round_robin_scheduling 0
		.amdhsa_exception_fp_ieee_invalid_op 0
		.amdhsa_exception_fp_denorm_src 0
		.amdhsa_exception_fp_ieee_div_zero 0
		.amdhsa_exception_fp_ieee_overflow 0
		.amdhsa_exception_fp_ieee_underflow 0
		.amdhsa_exception_fp_ieee_inexact 0
		.amdhsa_exception_int_div_zero 0
	.end_amdhsa_kernel
	.section	.text._ZL26rocblas_hemvn_kernel_upperILb0ELi64ELi4ELi33ELi32ELi16EiPKfS1_PfEviT6_lT7_lT5_lS4_lS5_lS3_lT8_i,"axG",@progbits,_ZL26rocblas_hemvn_kernel_upperILb0ELi64ELi4ELi33ELi32ELi16EiPKfS1_PfEviT6_lT7_lT5_lS4_lS5_lS3_lT8_i,comdat
.Lfunc_end71:
	.size	_ZL26rocblas_hemvn_kernel_upperILb0ELi64ELi4ELi33ELi32ELi16EiPKfS1_PfEviT6_lT7_lT5_lS4_lS5_lS3_lT8_i, .Lfunc_end71-_ZL26rocblas_hemvn_kernel_upperILb0ELi64ELi4ELi33ELi32ELi16EiPKfS1_PfEviT6_lT7_lT5_lS4_lS5_lS3_lT8_i
                                        ; -- End function
	.set _ZL26rocblas_hemvn_kernel_upperILb0ELi64ELi4ELi33ELi32ELi16EiPKfS1_PfEviT6_lT7_lT5_lS4_lS5_lS3_lT8_i.num_vgpr, 169
	.set _ZL26rocblas_hemvn_kernel_upperILb0ELi64ELi4ELi33ELi32ELi16EiPKfS1_PfEviT6_lT7_lT5_lS4_lS5_lS3_lT8_i.num_agpr, 0
	.set _ZL26rocblas_hemvn_kernel_upperILb0ELi64ELi4ELi33ELi32ELi16EiPKfS1_PfEviT6_lT7_lT5_lS4_lS5_lS3_lT8_i.numbered_sgpr, 104
	.set _ZL26rocblas_hemvn_kernel_upperILb0ELi64ELi4ELi33ELi32ELi16EiPKfS1_PfEviT6_lT7_lT5_lS4_lS5_lS3_lT8_i.num_named_barrier, 0
	.set _ZL26rocblas_hemvn_kernel_upperILb0ELi64ELi4ELi33ELi32ELi16EiPKfS1_PfEviT6_lT7_lT5_lS4_lS5_lS3_lT8_i.private_seg_size, 0
	.set _ZL26rocblas_hemvn_kernel_upperILb0ELi64ELi4ELi33ELi32ELi16EiPKfS1_PfEviT6_lT7_lT5_lS4_lS5_lS3_lT8_i.uses_vcc, 1
	.set _ZL26rocblas_hemvn_kernel_upperILb0ELi64ELi4ELi33ELi32ELi16EiPKfS1_PfEviT6_lT7_lT5_lS4_lS5_lS3_lT8_i.uses_flat_scratch, 0
	.set _ZL26rocblas_hemvn_kernel_upperILb0ELi64ELi4ELi33ELi32ELi16EiPKfS1_PfEviT6_lT7_lT5_lS4_lS5_lS3_lT8_i.has_dyn_sized_stack, 0
	.set _ZL26rocblas_hemvn_kernel_upperILb0ELi64ELi4ELi33ELi32ELi16EiPKfS1_PfEviT6_lT7_lT5_lS4_lS5_lS3_lT8_i.has_recursion, 0
	.set _ZL26rocblas_hemvn_kernel_upperILb0ELi64ELi4ELi33ELi32ELi16EiPKfS1_PfEviT6_lT7_lT5_lS4_lS5_lS3_lT8_i.has_indirect_call, 0
	.section	.AMDGPU.csdata,"",@progbits
; Kernel info:
; codeLenInByte = 9204
; TotalNumSgprs: 106
; NumVgprs: 169
; ScratchSize: 0
; MemoryBound: 0
; FloatMode: 240
; IeeeMode: 1
; LDSByteSize: 4800 bytes/workgroup (compile time only)
; SGPRBlocks: 0
; VGPRBlocks: 21
; NumSGPRsForWavesPerEU: 106
; NumVGPRsForWavesPerEU: 169
; Occupancy: 8
; WaveLimiterHint : 0
; COMPUTE_PGM_RSRC2:SCRATCH_EN: 0
; COMPUTE_PGM_RSRC2:USER_SGPR: 2
; COMPUTE_PGM_RSRC2:TRAP_HANDLER: 0
; COMPUTE_PGM_RSRC2:TGID_X_EN: 1
; COMPUTE_PGM_RSRC2:TGID_Y_EN: 0
; COMPUTE_PGM_RSRC2:TGID_Z_EN: 1
; COMPUTE_PGM_RSRC2:TIDIG_COMP_CNT: 1
	.section	.text._ZL36rocblas_hemvn_kernel_upper_block_sumILi64EiPKfPffEviT1_lS3_lT2_lT0_lPT3_i,"axG",@progbits,_ZL36rocblas_hemvn_kernel_upper_block_sumILi64EiPKfPffEviT1_lS3_lT2_lT0_lPT3_i,comdat
	.globl	_ZL36rocblas_hemvn_kernel_upper_block_sumILi64EiPKfPffEviT1_lS3_lT2_lT0_lPT3_i ; -- Begin function _ZL36rocblas_hemvn_kernel_upper_block_sumILi64EiPKfPffEviT1_lS3_lT2_lT0_lPT3_i
	.p2align	8
	.type	_ZL36rocblas_hemvn_kernel_upper_block_sumILi64EiPKfPffEviT1_lS3_lT2_lT0_lPT3_i,@function
_ZL36rocblas_hemvn_kernel_upper_block_sumILi64EiPKfPffEviT1_lS3_lT2_lT0_lPT3_i: ; @_ZL36rocblas_hemvn_kernel_upper_block_sumILi64EiPKfPffEviT1_lS3_lT2_lT0_lPT3_i
; %bb.0:
	s_load_b32 s22, s[0:1], 0x50
	s_lshr_b32 s2, ttmp7, 16
	s_wait_kmcnt 0x0
	s_cmp_ge_u32 s2, s22
	s_cbranch_scc1 .LBB72_25
; %bb.1:
	s_clause 0x3
	s_load_b32 s3, s[0:1], 0x38
	s_load_b128 s[24:27], s[0:1], 0x28
	s_load_b32 s18, s[0:1], 0x0
	s_load_b128 s[12:15], s[0:1], 0x40
	v_lshl_or_b32 v0, ttmp9, 6, v0
	s_load_b256 s[4:11], s[0:1], 0x8
	s_add_nc_u64 s[16:17], s[0:1], 0x58
	s_delay_alu instid0(VALU_DEP_1) | instskip(NEXT) | instid1(VALU_DEP_1)
	v_ashrrev_i32_e32 v1, 31, v0
	v_lshlrev_b64_e32 v[4:5], 2, v[0:1]
	s_wait_kmcnt 0x0
	v_mul_lo_u32 v2, s3, v0
	s_lshl_b64 s[20:21], s[26:27], 2
	v_cmp_gt_i32_e64 s0, s18, v0
	s_delay_alu instid0(VALU_DEP_3)
	v_add_co_u32 v0, vcc_lo, s14, v4
	s_ashr_i32 s19, s18, 31
	v_add_co_ci_u32_e64 v1, null, s15, v5, vcc_lo
	v_ashrrev_i32_e32 v3, 31, v2
	s_cmp_gt_i32 ttmp9, -1
	s_add_nc_u64 s[14:15], s[24:25], s[20:21]
	s_cselect_b32 s1, -1, 0
	s_add_co_i32 s23, ttmp9, 1
	v_lshlrev_b64_e32 v[2:3], 2, v[2:3]
	s_wait_alu 0xfffe
	s_lshl_b64 s[18:19], s[18:19], 2
	s_mov_b32 s3, 0
	s_branch .LBB72_4
.LBB72_2:                               ;   in Loop: Header=BB72_4 Depth=1
	s_wait_alu 0xfffe
	s_or_b32 exec_lo, exec_lo, s24
.LBB72_3:                               ;   in Loop: Header=BB72_4 Depth=1
	s_add_co_i32 s2, s2, 0x10000
	s_wait_alu 0xfffe
	s_cmp_lt_u32 s2, s22
	s_cbranch_scc0 .LBB72_25
.LBB72_4:                               ; =>This Loop Header: Depth=1
                                        ;     Child Loop BB72_16 Depth 2
	s_wait_alu 0xfffe
	s_mul_u64 s[20:21], s[6:7], s[2:3]
	s_mul_u64 s[26:27], s[10:11], s[2:3]
	s_wait_alu 0xfffe
	s_lshl_b64 s[20:21], s[20:21], 2
	s_wait_alu 0xfffe
	s_add_nc_u64 s[20:21], s[4:5], s[20:21]
	s_load_b32 s24, s[20:21], 0x0
	s_lshl_b64 s[20:21], s[26:27], 2
	s_wait_alu 0xfffe
	s_add_nc_u64 s[20:21], s[8:9], s[20:21]
	s_load_b32 s25, s[20:21], 0x0
	s_wait_kmcnt 0x0
	s_cmp_eq_f32 s24, 0
	s_cselect_b32 s20, -1, 0
	s_cmp_eq_f32 s25, 1.0
	s_cselect_b32 s21, -1, 0
	s_wait_alu 0xfffe
	s_and_b32 s20, s20, s21
	s_wait_alu 0xfffe
	s_and_b32 vcc_lo, exec_lo, s20
	s_wait_alu 0xfffe
	s_cbranch_vccnz .LBB72_3
; %bb.5:                                ;   in Loop: Header=BB72_4 Depth=1
	s_mul_u64 s[20:21], s[12:13], s[2:3]
	s_wait_alu 0xfffe
	s_lshl_b64 s[20:21], s[20:21], 2
	s_cmp_neq_f32 s24, 0
	s_wait_alu 0xfffe
	s_add_nc_u64 s[20:21], s[14:15], s[20:21]
	s_cbranch_scc1 .LBB72_9
; %bb.6:                                ;   in Loop: Header=BB72_4 Depth=1
	s_mov_b32 s27, 0
	s_mov_b32 s26, 0
                                        ; implicit-def: $vgpr4
	s_and_saveexec_b32 s28, s0
	s_cbranch_execz .LBB72_10
; %bb.7:                                ;   in Loop: Header=BB72_4 Depth=1
	s_cmp_eq_f32 s25, 0
	s_cbranch_scc1 .LBB72_11
; %bb.8:                                ;   in Loop: Header=BB72_4 Depth=1
	s_wait_alu 0xfffe
	v_add_co_u32 v4, vcc_lo, s20, v2
	s_wait_alu 0xfffd
	v_add_co_ci_u32_e64 v5, null, s21, v3, vcc_lo
	global_load_b32 v4, v[4:5], off
	s_wait_loadcnt 0x0
	v_mul_f32_e32 v4, s25, v4
	s_branch .LBB72_12
.LBB72_9:                               ;   in Loop: Header=BB72_4 Depth=1
	s_mov_b32 s26, 0
                                        ; implicit-def: $vgpr4
	s_cbranch_execnz .LBB72_13
	s_branch .LBB72_22
.LBB72_10:                              ;   in Loop: Header=BB72_4 Depth=1
	s_wait_alu 0xfffe
	s_or_b32 exec_lo, exec_lo, s28
	s_delay_alu instid0(SALU_CYCLE_1)
	s_and_b32 vcc_lo, exec_lo, s27
	s_wait_alu 0xfffe
	s_cbranch_vccnz .LBB72_13
	s_branch .LBB72_22
.LBB72_11:                              ;   in Loop: Header=BB72_4 Depth=1
	v_mov_b32_e32 v4, 0
.LBB72_12:                              ;   in Loop: Header=BB72_4 Depth=1
	s_mov_b32 s26, exec_lo
	s_wait_alu 0xfffe
	s_or_b32 exec_lo, exec_lo, s28
	s_delay_alu instid0(SALU_CYCLE_1)
	s_and_b32 vcc_lo, exec_lo, s27
	s_wait_alu 0xfffe
	s_cbranch_vccz .LBB72_22
.LBB72_13:                              ;   in Loop: Header=BB72_4 Depth=1
                                        ; implicit-def: $vgpr4
	s_and_saveexec_b32 s27, s0
	s_cbranch_execz .LBB72_21
; %bb.14:                               ;   in Loop: Header=BB72_4 Depth=1
	v_mov_b32_e32 v6, 0
	s_and_not1_b32 vcc_lo, exec_lo, s1
	s_wait_alu 0xfffe
	s_cbranch_vccnz .LBB72_17
; %bb.15:                               ;   in Loop: Header=BB72_4 Depth=1
	s_load_b32 s28, s[16:17], 0x0
	s_mov_b32 s29, s3
	s_wait_kmcnt 0x0
	s_wait_alu 0xfffe
	s_mul_u64 s[28:29], s[18:19], s[28:29]
	s_wait_alu 0xfffe
	v_mad_co_u64_u32 v[4:5], null, s28, s2, v[0:1]
	s_mov_b32 s28, s23
	v_mad_co_u64_u32 v[5:6], null, s29, s2, v[5:6]
	v_mov_b32_e32 v6, 0
.LBB72_16:                              ;   Parent Loop BB72_4 Depth=1
                                        ; =>  This Inner Loop Header: Depth=2
	global_load_b32 v7, v[4:5], off
	v_add_co_u32 v4, vcc_lo, v4, s18
	s_wait_alu 0xfffd
	v_add_co_ci_u32_e64 v5, null, s19, v5, vcc_lo
	s_wait_alu 0xfffe
	s_add_co_i32 s28, s28, -1
	s_wait_alu 0xfffe
	s_cmp_eq_u32 s28, 0
	s_wait_loadcnt 0x0
	v_add_f32_e32 v6, v6, v7
	s_cbranch_scc0 .LBB72_16
.LBB72_17:                              ;   in Loop: Header=BB72_4 Depth=1
	s_cmp_eq_f32 s25, 0
	s_cbranch_scc0 .LBB72_24
; %bb.18:                               ;   in Loop: Header=BB72_4 Depth=1
	s_delay_alu instid0(VALU_DEP_1)
	v_mul_f32_e32 v4, s24, v6
	s_cbranch_execnz .LBB72_20
.LBB72_19:                              ;   in Loop: Header=BB72_4 Depth=1
	v_add_co_u32 v4, vcc_lo, s20, v2
	s_wait_alu 0xfffd
	v_add_co_ci_u32_e64 v5, null, s21, v3, vcc_lo
	global_load_b32 v4, v[4:5], off
	s_wait_loadcnt 0x0
	v_mul_f32_e32 v4, s25, v4
	s_delay_alu instid0(VALU_DEP_1)
	v_fmac_f32_e32 v4, s24, v6
.LBB72_20:                              ;   in Loop: Header=BB72_4 Depth=1
	s_or_b32 s26, s26, exec_lo
.LBB72_21:                              ;   in Loop: Header=BB72_4 Depth=1
	s_or_b32 exec_lo, exec_lo, s27
.LBB72_22:                              ;   in Loop: Header=BB72_4 Depth=1
	s_and_saveexec_b32 s24, s26
	s_cbranch_execz .LBB72_2
; %bb.23:                               ;   in Loop: Header=BB72_4 Depth=1
	s_wait_alu 0xfffe
	v_add_co_u32 v5, vcc_lo, s20, v2
	s_wait_alu 0xfffd
	v_add_co_ci_u32_e64 v6, null, s21, v3, vcc_lo
	global_store_b32 v[5:6], v4, off
	s_branch .LBB72_2
.LBB72_24:                              ;   in Loop: Header=BB72_4 Depth=1
                                        ; implicit-def: $vgpr4
	s_branch .LBB72_19
.LBB72_25:
	s_endpgm
	.section	.rodata,"a",@progbits
	.p2align	6, 0x0
	.amdhsa_kernel _ZL36rocblas_hemvn_kernel_upper_block_sumILi64EiPKfPffEviT1_lS3_lT2_lT0_lPT3_i
		.amdhsa_group_segment_fixed_size 0
		.amdhsa_private_segment_fixed_size 0
		.amdhsa_kernarg_size 344
		.amdhsa_user_sgpr_count 2
		.amdhsa_user_sgpr_dispatch_ptr 0
		.amdhsa_user_sgpr_queue_ptr 0
		.amdhsa_user_sgpr_kernarg_segment_ptr 1
		.amdhsa_user_sgpr_dispatch_id 0
		.amdhsa_user_sgpr_private_segment_size 0
		.amdhsa_wavefront_size32 1
		.amdhsa_uses_dynamic_stack 0
		.amdhsa_enable_private_segment 0
		.amdhsa_system_sgpr_workgroup_id_x 1
		.amdhsa_system_sgpr_workgroup_id_y 0
		.amdhsa_system_sgpr_workgroup_id_z 1
		.amdhsa_system_sgpr_workgroup_info 0
		.amdhsa_system_vgpr_workitem_id 0
		.amdhsa_next_free_vgpr 8
		.amdhsa_next_free_sgpr 30
		.amdhsa_reserve_vcc 1
		.amdhsa_float_round_mode_32 0
		.amdhsa_float_round_mode_16_64 0
		.amdhsa_float_denorm_mode_32 3
		.amdhsa_float_denorm_mode_16_64 3
		.amdhsa_fp16_overflow 0
		.amdhsa_workgroup_processor_mode 1
		.amdhsa_memory_ordered 1
		.amdhsa_forward_progress 1
		.amdhsa_inst_pref_size 6
		.amdhsa_round_robin_scheduling 0
		.amdhsa_exception_fp_ieee_invalid_op 0
		.amdhsa_exception_fp_denorm_src 0
		.amdhsa_exception_fp_ieee_div_zero 0
		.amdhsa_exception_fp_ieee_overflow 0
		.amdhsa_exception_fp_ieee_underflow 0
		.amdhsa_exception_fp_ieee_inexact 0
		.amdhsa_exception_int_div_zero 0
	.end_amdhsa_kernel
	.section	.text._ZL36rocblas_hemvn_kernel_upper_block_sumILi64EiPKfPffEviT1_lS3_lT2_lT0_lPT3_i,"axG",@progbits,_ZL36rocblas_hemvn_kernel_upper_block_sumILi64EiPKfPffEviT1_lS3_lT2_lT0_lPT3_i,comdat
.Lfunc_end72:
	.size	_ZL36rocblas_hemvn_kernel_upper_block_sumILi64EiPKfPffEviT1_lS3_lT2_lT0_lPT3_i, .Lfunc_end72-_ZL36rocblas_hemvn_kernel_upper_block_sumILi64EiPKfPffEviT1_lS3_lT2_lT0_lPT3_i
                                        ; -- End function
	.set _ZL36rocblas_hemvn_kernel_upper_block_sumILi64EiPKfPffEviT1_lS3_lT2_lT0_lPT3_i.num_vgpr, 8
	.set _ZL36rocblas_hemvn_kernel_upper_block_sumILi64EiPKfPffEviT1_lS3_lT2_lT0_lPT3_i.num_agpr, 0
	.set _ZL36rocblas_hemvn_kernel_upper_block_sumILi64EiPKfPffEviT1_lS3_lT2_lT0_lPT3_i.numbered_sgpr, 30
	.set _ZL36rocblas_hemvn_kernel_upper_block_sumILi64EiPKfPffEviT1_lS3_lT2_lT0_lPT3_i.num_named_barrier, 0
	.set _ZL36rocblas_hemvn_kernel_upper_block_sumILi64EiPKfPffEviT1_lS3_lT2_lT0_lPT3_i.private_seg_size, 0
	.set _ZL36rocblas_hemvn_kernel_upper_block_sumILi64EiPKfPffEviT1_lS3_lT2_lT0_lPT3_i.uses_vcc, 1
	.set _ZL36rocblas_hemvn_kernel_upper_block_sumILi64EiPKfPffEviT1_lS3_lT2_lT0_lPT3_i.uses_flat_scratch, 0
	.set _ZL36rocblas_hemvn_kernel_upper_block_sumILi64EiPKfPffEviT1_lS3_lT2_lT0_lPT3_i.has_dyn_sized_stack, 0
	.set _ZL36rocblas_hemvn_kernel_upper_block_sumILi64EiPKfPffEviT1_lS3_lT2_lT0_lPT3_i.has_recursion, 0
	.set _ZL36rocblas_hemvn_kernel_upper_block_sumILi64EiPKfPffEviT1_lS3_lT2_lT0_lPT3_i.has_indirect_call, 0
	.section	.AMDGPU.csdata,"",@progbits
; Kernel info:
; codeLenInByte = 752
; TotalNumSgprs: 32
; NumVgprs: 8
; ScratchSize: 0
; MemoryBound: 0
; FloatMode: 240
; IeeeMode: 1
; LDSByteSize: 0 bytes/workgroup (compile time only)
; SGPRBlocks: 0
; VGPRBlocks: 0
; NumSGPRsForWavesPerEU: 32
; NumVGPRsForWavesPerEU: 8
; Occupancy: 16
; WaveLimiterHint : 0
; COMPUTE_PGM_RSRC2:SCRATCH_EN: 0
; COMPUTE_PGM_RSRC2:USER_SGPR: 2
; COMPUTE_PGM_RSRC2:TRAP_HANDLER: 0
; COMPUTE_PGM_RSRC2:TGID_X_EN: 1
; COMPUTE_PGM_RSRC2:TGID_Y_EN: 0
; COMPUTE_PGM_RSRC2:TGID_Z_EN: 1
; COMPUTE_PGM_RSRC2:TIDIG_COMP_CNT: 0
	.section	.text._ZL26rocblas_hemvn_kernel_upperILb0ELi64ELi4ELi33ELi32ELi16ElfPKfPfEviT6_lT7_lT5_lS4_lS5_lS3_lT8_i,"axG",@progbits,_ZL26rocblas_hemvn_kernel_upperILb0ELi64ELi4ELi33ELi32ELi16ElfPKfPfEviT6_lT7_lT5_lS4_lS5_lS3_lT8_i,comdat
	.globl	_ZL26rocblas_hemvn_kernel_upperILb0ELi64ELi4ELi33ELi32ELi16ElfPKfPfEviT6_lT7_lT5_lS4_lS5_lS3_lT8_i ; -- Begin function _ZL26rocblas_hemvn_kernel_upperILb0ELi64ELi4ELi33ELi32ELi16ElfPKfPfEviT6_lT7_lT5_lS4_lS5_lS3_lT8_i
	.p2align	8
	.type	_ZL26rocblas_hemvn_kernel_upperILb0ELi64ELi4ELi33ELi32ELi16ElfPKfPfEviT6_lT7_lT5_lS4_lS5_lS3_lT8_i,@function
_ZL26rocblas_hemvn_kernel_upperILb0ELi64ELi4ELi33ELi32ELi16ElfPKfPfEviT6_lT7_lT5_lS4_lS5_lS3_lT8_i: ; @_ZL26rocblas_hemvn_kernel_upperILb0ELi64ELi4ELi33ELi32ELi16ElfPKfPfEviT6_lT7_lT5_lS4_lS5_lS3_lT8_i
; %bb.0:
	s_clause 0x1
	s_load_b64 s[2:3], s[0:1], 0x7c
	s_load_b32 s33, s[0:1], 0x68
	s_lshr_b32 s34, ttmp7, 16
	s_wait_kmcnt 0x0
	s_lshr_b32 s4, s2, 16
	s_and_b32 s2, s2, 0xffff
	s_and_b32 s3, s3, 0xffff
	s_mul_i32 s2, s4, s2
	s_delay_alu instid0(SALU_CYCLE_1) | instskip(NEXT) | instid1(SALU_CYCLE_1)
	s_mul_i32 s2, s2, s3
	s_cmp_lg_u32 s2, 0x100
	s_cselect_b32 s2, -1, 0
	s_cmp_ge_u32 s34, s33
	s_cselect_b32 s3, -1, 0
	s_delay_alu instid0(SALU_CYCLE_1) | instskip(NEXT) | instid1(SALU_CYCLE_1)
	s_or_b32 s2, s2, s3
	s_and_b32 vcc_lo, exec_lo, s2
	s_cbranch_vccnz .LBB73_129
; %bb.1:
	s_clause 0x2
	s_load_b512 s[16:31], s[0:1], 0x10
	s_load_b32 s3, s[0:1], 0x50
	s_load_b64 s[4:5], s[0:1], 0x0
	s_add_nc_u64 s[8:9], s[0:1], 0x70
	v_and_b32_e32 v32, 0x3ff, v0
	v_bfe_u32 v10, v0, 10, 10
	s_load_b32 s36, s[8:9], 0x0
	s_load_b64 s[6:7], s[0:1], 0x60
	v_dual_mov_b32 v2, 0 :: v_dual_and_b32 v1, 31, v0
	s_delay_alu instid0(VALU_DEP_2) | instskip(SKIP_2) | instid1(VALU_DEP_2)
	v_lshl_add_u32 v11, v10, 6, v32
	s_mov_b32 s2, ttmp9
	s_mov_b32 s35, 0
	v_lshlrev_b32_e32 v20, 2, v1
	s_mov_b32 s37, s35
	v_lshrrev_b32_e32 v12, 5, v11
	v_cmp_eq_u32_e64 s0, 0, v10
	v_lshlrev_b32_e32 v45, 2, v10
	v_lshl_or_b32 v40, v1, 7, v20
	v_and_b32_e32 v25, 0x7ff0, v11
	s_wait_kmcnt 0x0
	s_lshl_b64 s[8:9], s[26:27], 2
	s_lshl_b64 s[12:13], s[18:19], 2
	s_cmp_neq_f32 s3, 1.0
	v_mad_co_u64_u32 v[2:3], null, s20, v12, v[1:2]
	s_add_nc_u64 s[10:11], s[24:25], s[8:9]
	s_cselect_b32 s1, -1, 0
	s_cmp_neq_f32 s5, 0
	s_add_nc_u64 s[8:9], s[16:17], s[12:13]
	v_mul_u32_u24_e32 v21, 0x84, v12
	v_lshlrev_b32_e32 v15, 4, v12
	s_cselect_b32 s3, -1, 0
	s_lshl_b32 s18, ttmp9, 6
	s_ashr_i32 s5, s4, 31
	v_add_nc_u32_e32 v4, s18, v32
	s_lshr_b32 s13, s5, 26
	s_add_co_i32 s12, s36, -1
	s_add_co_i32 s13, s4, s13
	s_or_b32 s54, s3, s1
	v_ashrrev_i32_e32 v5, 31, v4
	v_mul_lo_u32 v13, s29, v4
	v_mad_co_u64_u32 v[6:7], null, s28, v4, 0
	s_and_not1_b32 s13, s13, 63
	v_mul_lo_u32 v14, s28, v5
	v_mad_co_u64_u32 v[8:9], null, s21, v12, v[3:4]
	s_sub_co_i32 s55, s4, s13
	s_cmp_eq_u32 ttmp9, s12
	v_cndmask_b32_e64 v34, 0, 1, s3
	s_cselect_b32 s24, s55, 0
	s_mul_u64 s[26:27], s[36:37], s[4:5]
	v_add3_u32 v7, v7, v14, v13
	s_cmp_lg_u32 s24, 0
	v_mov_b32_e32 v3, v8
	s_cselect_b32 s56, -1, 0
	s_cmp_eq_u32 s24, 0
	v_lshlrev_b64_e32 v[6:7], 2, v[6:7]
	s_cselect_b32 s1, -1, 0
	s_ashr_i32 s3, ttmp9, 31
	v_cmp_gt_i32_e32 vcc_lo, s24, v32
	s_wait_alu 0xfffe
	s_mul_u64 s[2:3], s[4:5], s[2:3]
	s_ashr_i32 s19, s18, 31
	v_lshlrev_b64_e32 v[2:3], 2, v[2:3]
	s_wait_alu 0xfffe
	s_lshl_b64 s[2:3], s[2:3], 2
	s_lshl_b64 s[4:5], s[18:19], 2
	v_lshlrev_b32_e32 v14, 2, v12
	s_or_b32 s57, s1, vcc_lo
	v_add_co_u32 v35, vcc_lo, s10, v6
	s_wait_alu 0xfffe
	s_add_nc_u64 s[38:39], s[6:7], s[2:3]
	s_add_nc_u64 s[2:3], s[8:9], s[4:5]
	v_add_co_ci_u32_e64 v36, null, s11, v7, vcc_lo
	s_wait_alu 0xfffe
	v_add_co_u32 v6, vcc_lo, s2, v2
	s_mul_u64 s[4:5], s[20:21], s[18:19]
	v_lshlrev_b32_e32 v33, 2, v32
	s_wait_alu 0xfffd
	v_add_co_ci_u32_e64 v7, null, s3, v3, vcc_lo
	v_add_nc_u32_e32 v8, 8, v12
	v_add_nc_u32_e32 v9, 16, v12
	v_or_b32_e32 v18, 3, v14
	s_lshl_b64 s[2:3], s[4:5], 2
	s_sub_co_i32 s15, s24, 32
	s_wait_alu 0xfffe
	v_add_co_u32 v38, vcc_lo, v6, s2
	v_sub_co_u32 v6, s2, 0, v1
	s_wait_alu 0xfffd
	v_add_co_ci_u32_e64 v39, null, s3, v7, vcc_lo
	s_wait_alu 0xf1ff
	v_sub_co_ci_u32_e64 v7, null, 0, 0, s2
	v_cmp_gt_i32_e64 s2, s24, v12
	v_cmp_gt_i32_e64 s3, s24, v8
	;; [unrolled: 1-line block ×3, first 2 shown]
	v_add_nc_u32_e32 v13, 24, v12
	v_mul_u32_u24_e32 v22, 0x210, v12
	v_cmp_gt_u32_e64 s9, v18, v1
	v_cmp_gt_i32_e64 s12, s15, v12
	v_cmp_gt_i32_e64 s13, s15, v8
	;; [unrolled: 1-line block ×3, first 2 shown]
	v_cmp_eq_u32_e64 s16, 1, v12
	v_mul_i32_i24_e32 v44, -12, v12
	v_and_b32_e32 v8, 15, v0
	v_lshlrev_b32_e32 v18, 4, v10
	v_lshrrev_b32_e32 v9, 2, v11
	v_and_b32_e32 v0, 48, v0
	v_or_b32_e32 v12, 60, v33
	v_mul_u32_u24_e32 v24, 0x10c, v8
	v_add_nc_u32_e32 v41, v40, v15
	v_and_b32_e32 v9, 0x1ffc, v9
	v_lshlrev_b32_e32 v0, 2, v0
	v_mad_u32_u24 v51, 0x10c, v8, v12
	v_add_nc_u32_e32 v12, 0x80, v18
	v_add_nc_u32_e32 v42, 0x11c0, v15
	v_mad_u32_u24 v49, 0x10c, v8, v9
	v_mad_u32_u24 v50, 0x10c, v8, v0
	v_add_nc_u32_e32 v15, 0x88, v18
	v_mad_co_u64_u32 v[8:9], null, s20, v12, 0
	v_or_b32_e32 v16, 1, v14
	s_add_co_i32 s17, ttmp9, 1
	s_ashr_i32 s25, s24, 31
	s_lshl_b64 s[40:41], s[20:21], 5
	s_lshl_b64 s[42:43], s[20:21], 6
	v_cmp_gt_u32_e64 s10, 32, v11
	s_cmp_lt_u32 s17, s36
	v_cmp_gt_u32_e64 s17, 64, v11
	v_mov_b32_e32 v0, v9
	v_mad_u32_u24 v48, 0x430, v10, v33
	v_mad_u32_u24 v67, 0x10c, v10, v33
	v_mad_co_u64_u32 v[10:11], null, s20, v15, 0
	v_mul_u32_u24_e32 v23, 0x84, v16
	v_mul_u32_u24_e32 v16, 33, v1
	v_add_nc_u32_e32 v9, 0x8c, v18
	v_or_b32_e32 v17, 2, v14
	v_cmp_gt_i32_e64 s5, s24, v13
	v_cmp_gt_i32_e64 s15, s15, v13
	v_mad_co_u64_u32 v[12:13], null, s21, v12, v[0:1]
	v_cmp_gt_u32_e64 s6, v14, v1
	v_cmp_ge_u32_e64 s7, v14, v1
	v_lshl_add_u32 v43, v16, 2, v14
	v_add_nc_u32_e32 v68, v40, v14
	v_add_nc_u32_e32 v69, 0x11c0, v14
	v_mad_co_u64_u32 v[13:14], null, s20, v9, 0
	v_dual_mov_b32 v0, v11 :: v_dual_add_nc_u32 v37, 0x11c0, v33
	v_cmp_gt_u32_e64 s8, v17, v1
	v_or_b32_e32 v17, 32, v1
	v_add_nc_u32_e32 v19, 0x84, v18
	v_sub_co_u32 v70, vcc_lo, v8, v2
	v_mad_co_u64_u32 v[15:16], null, s21, v15, v[0:1]
	s_delay_alu instid0(VALU_DEP_4) | instskip(NEXT) | instid1(VALU_DEP_4)
	v_cmp_gt_i32_e64 s11, s24, v17
	v_mad_co_u64_u32 v[16:17], null, s20, v19, 0
	v_mov_b32_e32 v0, v14
	s_wait_alu 0xfffd
	v_sub_co_ci_u32_e64 v71, null, v12, v3, vcc_lo
	v_sub_co_u32 v72, vcc_lo, v10, v2
	s_delay_alu instid0(VALU_DEP_3)
	v_mad_co_u64_u32 v[9:10], null, s21, v9, v[0:1]
	v_add_nc_u32_e32 v12, 0xc0, v18
	v_mov_b32_e32 v8, v17
	s_wait_alu 0xfffd
	v_sub_co_ci_u32_e64 v73, null, v15, v3, vcc_lo
	v_sub_co_u32 v74, vcc_lo, v13, v2
	v_mad_co_u64_u32 v[10:11], null, s20, v12, 0
	v_mad_co_u64_u32 v[14:15], null, s21, v19, v[8:9]
	v_add_nc_u32_e32 v15, 0xc4, v18
	s_wait_alu 0xfffd
	v_sub_co_ci_u32_e64 v75, null, v9, v3, vcc_lo
	s_delay_alu instid0(VALU_DEP_4) | instskip(NEXT) | instid1(VALU_DEP_3)
	v_dual_mov_b32 v0, v11 :: v_dual_add_nc_u32 v17, 0xc8, v18
	v_mad_co_u64_u32 v[8:9], null, s20, v15, 0
	v_add_nc_u32_e32 v19, 0xcc, v18
	v_sub_co_u32 v76, vcc_lo, v16, v2
	s_delay_alu instid0(VALU_DEP_4)
	v_mad_co_u64_u32 v[11:12], null, s21, v12, v[0:1]
	v_mad_co_u64_u32 v[12:13], null, s20, v17, 0
	v_mov_b32_e32 v0, v9
	s_wait_alu 0xfffd
	v_sub_co_ci_u32_e64 v77, null, v14, v3, vcc_lo
	v_sub_co_u32 v78, vcc_lo, v10, v2
	s_delay_alu instid0(VALU_DEP_3)
	v_mad_co_u64_u32 v[14:15], null, s21, v15, v[0:1]
	v_mad_co_u64_u32 v[15:16], null, s20, v19, 0
	v_mov_b32_e32 v0, v13
	v_add_nc_u32_e32 v26, 0x100, v18
	v_add_nc_u32_e32 v47, 0x10c0, v18
	s_wait_alu 0xfffd
	v_sub_co_ci_u32_e64 v79, null, v11, v3, vcc_lo
	v_mad_co_u64_u32 v[9:10], null, s21, v17, v[0:1]
	v_sub_co_u32 v80, vcc_lo, v8, v2
	v_mov_b32_e32 v8, v16
	v_mad_co_u64_u32 v[10:11], null, s20, v26, 0
	s_wait_alu 0xfffd
	v_sub_co_ci_u32_e64 v81, null, v14, v3, vcc_lo
	s_delay_alu instid0(VALU_DEP_3)
	v_mad_co_u64_u32 v[13:14], null, s21, v19, v[8:9]
	v_add_nc_u32_e32 v14, 0x104, v18
	v_sub_co_u32 v82, vcc_lo, v12, v2
	s_wait_alu 0xfffd
	v_sub_co_ci_u32_e64 v83, null, v9, v3, vcc_lo
	v_mov_b32_e32 v0, v11
	v_mad_co_u64_u32 v[8:9], null, s20, v14, 0
	v_add_nc_u32_e32 v17, 0x108, v18
	v_sub_co_u32 v84, vcc_lo, v15, v2
	s_delay_alu instid0(VALU_DEP_4)
	v_mad_co_u64_u32 v[11:12], null, s21, v26, v[0:1]
	s_wait_alu 0xfffd
	v_sub_co_ci_u32_e64 v85, null, v13, v3, vcc_lo
	v_mad_co_u64_u32 v[12:13], null, s20, v17, 0
	v_dual_mov_b32 v0, v9 :: v_dual_add_nc_u32 v19, 0x10c, v18
	v_add_nc_u32_e32 v55, 16, v45
	v_sub_co_u32 v86, vcc_lo, v10, v2
	s_delay_alu instid0(VALU_DEP_3) | instskip(NEXT) | instid1(VALU_DEP_4)
	v_mad_co_u64_u32 v[14:15], null, s21, v14, v[0:1]
	v_mad_co_u64_u32 v[15:16], null, s20, v19, 0
	v_dual_mov_b32 v0, v13 :: v_dual_add_nc_u32 v57, 18, v45
	s_wait_alu 0xfffd
	v_sub_co_ci_u32_e64 v87, null, v11, v3, vcc_lo
	v_sub_co_u32 v88, vcc_lo, v8, v2
	s_delay_alu instid0(VALU_DEP_3)
	v_mad_co_u64_u32 v[9:10], null, s21, v17, v[0:1]
	v_mov_b32_e32 v8, v16
	v_add_nc_u32_e32 v26, 0x140, v18
	s_wait_alu 0xfffd
	v_sub_co_ci_u32_e64 v89, null, v14, v3, vcc_lo
	v_add_nc_u32_e32 v27, 0x144, v18
	v_sub_co_u32 v90, vcc_lo, v12, v2
	v_mad_co_u64_u32 v[10:11], null, s21, v19, v[8:9]
	v_mad_co_u64_u32 v[13:14], null, s20, v26, 0
	v_add_nc_u32_e32 v19, 0x148, v18
	v_mad_co_u64_u32 v[16:17], null, s20, v27, 0
	s_wait_alu 0xfffd
	v_sub_co_ci_u32_e64 v91, null, v9, v3, vcc_lo
	v_sub_co_u32 v92, vcc_lo, v15, v2
	v_dual_mov_b32 v0, v14 :: v_dual_add_nc_u32 v59, 32, v45
	s_wait_alu 0xfffd
	v_sub_co_ci_u32_e64 v93, null, v10, v3, vcc_lo
	v_mad_co_u64_u32 v[9:10], null, s20, v19, 0
	v_add_nc_u32_e32 v28, 0x14c, v18
	v_dual_mov_b32 v8, v17 :: v_dual_add_nc_u32 v61, 34, v45
	v_mad_co_u64_u32 v[11:12], null, s21, v26, v[0:1]
	s_delay_alu instid0(VALU_DEP_3)
	v_mad_co_u64_u32 v[17:18], null, s20, v28, 0
	v_dual_mov_b32 v0, v10 :: v_dual_add_nc_u32 v63, 48, v45
	v_sub_co_u32 v94, vcc_lo, v13, v2
	v_add_nc_u32_e32 v65, 50, v45
	s_wait_alu 0xfffd
	v_sub_co_ci_u32_e64 v95, null, v11, v3, vcc_lo
	v_mad_co_u64_u32 v[10:11], null, s21, v19, v[0:1]
	v_mov_b32_e32 v0, v18
	v_mad_co_u64_u32 v[14:15], null, s21, v27, v[8:9]
	v_sub_co_u32 v96, vcc_lo, v16, v2
	s_delay_alu instid0(VALU_DEP_3)
	v_mad_co_u64_u32 v[11:12], null, s21, v28, v[0:1]
	s_mul_u64 s[46:47], s[28:29], s[18:19]
	v_lshlrev_b64_e32 v[18:19], 2, v[6:7]
	s_wait_alu 0xfffd
	v_sub_co_ci_u32_e64 v97, null, v14, v3, vcc_lo
	v_sub_co_u32 v98, vcc_lo, v9, v2
	s_wait_alu 0xfffd
	v_sub_co_ci_u32_e64 v99, null, v10, v3, vcc_lo
	v_sub_co_u32 v100, vcc_lo, v17, v2
	v_lshlrev_b64_e32 v[16:17], 2, v[4:5]
	v_cmp_gt_i32_e64 s1, s24, v1
	v_add_nc_u32_e32 v46, 0x10c0, v33
	v_or_b32_e32 v52, 1, v45
	v_or_b32_e32 v53, 2, v45
	;; [unrolled: 1-line block ×3, first 2 shown]
	v_add_nc_u32_e32 v56, 17, v45
	v_add_nc_u32_e32 v58, 19, v45
	;; [unrolled: 1-line block ×6, first 2 shown]
	s_wait_alu 0xfffd
	v_sub_co_ci_u32_e64 v101, null, v11, v3, vcc_lo
	v_add_nc_u32_e32 v102, v20, v21
	v_lshlrev_b32_e32 v103, 2, v1
	v_add_nc_u32_e32 v104, v20, v22
	v_add_nc_u32_e32 v105, v20, v23
	;; [unrolled: 1-line block ×3, first 2 shown]
	s_sub_nc_u64 s[48:49], 0, s[46:47]
	s_mul_u64 s[44:45], s[20:21], 0x60
	s_cselect_b32 s19, -1, 0
	s_add_co_i32 s37, s36, -2
	s_and_b32 s58, s0, s57
	s_wait_alu 0xfffe
	s_sub_nc_u64 s[46:47], 0, s[24:25]
	s_add_co_i32 s59, s18, 64
	s_lshl_b64 s[20:21], s[20:21], 8
	s_lshl_b64 s[48:49], s[48:49], 2
	s_branch .LBB73_4
.LBB73_2:                               ;   in Loop: Header=BB73_4 Depth=1
	s_wait_alu 0xfffe
	s_or_b32 exec_lo, exec_lo, s18
.LBB73_3:                               ;   in Loop: Header=BB73_4 Depth=1
	s_add_co_i32 s34, s34, 0x10000
	s_delay_alu instid0(SALU_CYCLE_1)
	s_cmp_lt_u32 s34, s33
	s_cbranch_scc0 .LBB73_129
.LBB73_4:                               ; =>This Loop Header: Depth=1
                                        ;     Child Loop BB73_69 Depth 2
	s_and_not1_b32 vcc_lo, exec_lo, s54
	s_wait_alu 0xfffe
	s_cbranch_vccnz .LBB73_3
; %bb.5:                                ;   in Loop: Header=BB73_4 Depth=1
	v_cmp_ne_u32_e32 vcc_lo, 1, v34
	s_cbranch_vccnz .LBB73_3
; %bb.6:                                ;   in Loop: Header=BB73_4 Depth=1
	s_mul_u64 s[50:51], s[30:31], s[34:35]
	s_wait_alu 0xfffe
	s_lshl_b64 s[50:51], s[50:51], 2
	s_wait_alu 0xfffe
	v_add_co_u32 v4, vcc_lo, v35, s50
	s_wait_alu 0xfffd
	v_add_co_ci_u32_e64 v5, null, s51, v36, vcc_lo
	s_and_saveexec_b32 s18, s0
	s_cbranch_execz .LBB73_10
; %bb.7:                                ;   in Loop: Header=BB73_4 Depth=1
	v_mov_b32_e32 v0, 0
	s_and_saveexec_b32 s50, s57
	s_cbranch_execz .LBB73_9
; %bb.8:                                ;   in Loop: Header=BB73_4 Depth=1
	global_load_b32 v0, v[4:5], off
.LBB73_9:                               ;   in Loop: Header=BB73_4 Depth=1
	s_wait_alu 0xfffe
	s_or_b32 exec_lo, exec_lo, s50
	s_wait_loadcnt 0x0
	ds_store_b32 v37, v0
.LBB73_10:                              ;   in Loop: Header=BB73_4 Depth=1
	s_wait_alu 0xfffe
	s_or_b32 exec_lo, exec_lo, s18
	s_mul_u64 s[50:51], s[22:23], s[34:35]
	s_mov_b32 s18, -1
	s_wait_alu 0xfffe
	s_lshl_b64 s[50:51], s[50:51], 2
                                        ; implicit-def: $vgpr2_vgpr3
	s_wait_alu 0xfffe
	v_add_co_u32 v0, vcc_lo, v38, s50
	s_wait_alu 0xfffd
	v_add_co_ci_u32_e64 v1, null, s51, v39, vcc_lo
	s_and_b32 vcc_lo, exec_lo, s56
	s_wait_alu 0xfffe
	s_cbranch_vccz .LBB73_20
; %bb.11:                               ;   in Loop: Header=BB73_4 Depth=1
	v_add_co_u32 v2, vcc_lo, v0, v18
	s_wait_alu 0xfffd
	v_add_co_ci_u32_e64 v3, null, v1, v19, vcc_lo
	s_lshl_b64 s[50:51], s[24:25], 2
	v_dual_mov_b32 v7, 0 :: v_dual_mov_b32 v6, 0
	s_wait_alu 0xfffe
	v_add_co_u32 v2, vcc_lo, v2, s50
	s_wait_alu 0xfffd
	v_add_co_ci_u32_e64 v3, null, s51, v3, vcc_lo
	s_delay_alu instid0(VALU_DEP_2) | instskip(SKIP_1) | instid1(VALU_DEP_2)
	v_add_co_u32 v2, vcc_lo, v2, -4
	s_wait_alu 0xfffd
	v_add_co_ci_u32_e64 v3, null, -1, v3, vcc_lo
	s_delay_alu instid0(VALU_DEP_2) | instskip(NEXT) | instid1(VALU_DEP_2)
	v_cndmask_b32_e64 v2, v2, v0, s1
	v_cndmask_b32_e64 v3, v3, v1, s1
	s_and_saveexec_b32 s18, s2
	s_cbranch_execz .LBB73_13
; %bb.12:                               ;   in Loop: Header=BB73_4 Depth=1
	global_load_b32 v6, v[2:3], off
.LBB73_13:                              ;   in Loop: Header=BB73_4 Depth=1
	s_wait_alu 0xfffe
	s_or_b32 exec_lo, exec_lo, s18
	s_wait_loadcnt 0x0
	ds_store_b32 v102, v6
	s_and_saveexec_b32 s18, s3
	s_cbranch_execz .LBB73_15
; %bb.14:                               ;   in Loop: Header=BB73_4 Depth=1
	v_add_co_u32 v6, vcc_lo, v2, s40
	s_wait_alu 0xfffd
	v_add_co_ci_u32_e64 v7, null, s41, v3, vcc_lo
	global_load_b32 v7, v[6:7], off
.LBB73_15:                              ;   in Loop: Header=BB73_4 Depth=1
	s_wait_alu 0xfffe
	s_or_b32 exec_lo, exec_lo, s18
	v_mov_b32_e32 v6, 0
	v_mov_b32_e32 v8, 0
	s_wait_loadcnt 0x0
	ds_store_b32 v102, v7 offset:1056
	s_and_saveexec_b32 s18, s4
	s_cbranch_execz .LBB73_17
; %bb.16:                               ;   in Loop: Header=BB73_4 Depth=1
	v_add_co_u32 v7, vcc_lo, v2, s42
	s_wait_alu 0xfffd
	v_add_co_ci_u32_e64 v8, null, s43, v3, vcc_lo
	global_load_b32 v8, v[7:8], off
.LBB73_17:                              ;   in Loop: Header=BB73_4 Depth=1
	s_wait_alu 0xfffe
	s_or_b32 exec_lo, exec_lo, s18
	s_wait_loadcnt 0x0
	ds_store_b32 v102, v8 offset:2112
	s_and_saveexec_b32 s18, s5
	s_cbranch_execz .LBB73_19
; %bb.18:                               ;   in Loop: Header=BB73_4 Depth=1
	v_add_co_u32 v6, vcc_lo, v2, s44
	s_wait_alu 0xfffd
	v_add_co_ci_u32_e64 v7, null, s45, v3, vcc_lo
	global_load_b32 v6, v[6:7], off
.LBB73_19:                              ;   in Loop: Header=BB73_4 Depth=1
	s_wait_alu 0xfffe
	s_or_b32 exec_lo, exec_lo, s18
	v_add_co_u32 v2, vcc_lo, v2, v103
	s_wait_alu 0xfffd
	v_add_co_ci_u32_e64 v3, null, 0, v3, vcc_lo
	s_lshl_b64 s[50:51], s[46:47], 2
	s_mov_b32 s18, 0
	s_wait_alu 0xfffe
	v_add_co_u32 v2, vcc_lo, v2, s50
	s_wait_alu 0xfffd
	v_add_co_ci_u32_e64 v3, null, s51, v3, vcc_lo
	s_wait_loadcnt 0x0
	ds_store_b32 v102, v6 offset:3168
	v_add_co_u32 v2, vcc_lo, v2, 4
	s_wait_alu 0xfffd
	v_add_co_ci_u32_e64 v3, null, 0, v3, vcc_lo
	s_delay_alu instid0(VALU_DEP_2) | instskip(NEXT) | instid1(VALU_DEP_2)
	v_cndmask_b32_e64 v2, v2, v0, s1
	v_cndmask_b32_e64 v3, v3, v1, s1
.LBB73_20:                              ;   in Loop: Header=BB73_4 Depth=1
	s_and_b32 vcc_lo, exec_lo, s18
	s_wait_alu 0xfffe
	s_cbranch_vccz .LBB73_22
; %bb.21:                               ;   in Loop: Header=BB73_4 Depth=1
	v_add_co_u32 v2, vcc_lo, v0, s40
	s_wait_alu 0xfffd
	v_add_co_ci_u32_e64 v3, null, s41, v1, vcc_lo
	s_delay_alu instid0(VALU_DEP_2) | instskip(SKIP_1) | instid1(VALU_DEP_2)
	v_add_co_u32 v6, vcc_lo, v2, s40
	s_wait_alu 0xfffd
	v_add_co_ci_u32_e64 v7, null, s41, v3, vcc_lo
	s_delay_alu instid0(VALU_DEP_2) | instskip(SKIP_1) | instid1(VALU_DEP_2)
	v_add_co_u32 v8, vcc_lo, v6, s40
	s_wait_alu 0xfffd
	v_add_co_ci_u32_e64 v9, null, s41, v7, vcc_lo
	s_clause 0x3
	global_load_b32 v10, v[0:1], off
	global_load_b32 v11, v[2:3], off
	;; [unrolled: 1-line block ×4, first 2 shown]
	v_dual_mov_b32 v3, v1 :: v_dual_mov_b32 v2, v0
	s_wait_loadcnt 0x3
	ds_store_b32 v102, v10
	s_wait_loadcnt 0x2
	ds_store_b32 v102, v11 offset:1056
	s_wait_loadcnt 0x1
	ds_store_b32 v102, v6 offset:2112
	;; [unrolled: 2-line block ×3, first 2 shown]
.LBB73_22:                              ;   in Loop: Header=BB73_4 Depth=1
	s_wait_dscnt 0x0
	s_barrier_signal -1
	s_barrier_wait -1
	global_inv scope:SCOPE_SE
	s_and_saveexec_b32 s18, s6
	s_cbranch_execnz .LBB73_123
; %bb.23:                               ;   in Loop: Header=BB73_4 Depth=1
	s_wait_alu 0xfffe
	s_or_b32 exec_lo, exec_lo, s18
	s_and_saveexec_b32 s18, s7
	s_cbranch_execnz .LBB73_124
.LBB73_24:                              ;   in Loop: Header=BB73_4 Depth=1
	s_wait_alu 0xfffe
	s_or_b32 exec_lo, exec_lo, s18
	s_and_saveexec_b32 s18, s8
	s_cbranch_execnz .LBB73_125
.LBB73_25:                              ;   in Loop: Header=BB73_4 Depth=1
	s_wait_alu 0xfffe
	s_or_b32 exec_lo, exec_lo, s18
	s_and_saveexec_b32 s18, s9
	s_cbranch_execz .LBB73_27
.LBB73_26:                              ;   in Loop: Header=BB73_4 Depth=1
	ds_load_b32 v0, v105 offset:264
	s_wait_dscnt 0x0
	ds_store_b32 v41, v0 offset:12
.LBB73_27:                              ;   in Loop: Header=BB73_4 Depth=1
	s_wait_alu 0xfffe
	s_or_b32 exec_lo, exec_lo, s18
	s_wait_loadcnt_dscnt 0x0
	s_barrier_signal -1
	s_barrier_wait -1
	global_inv scope:SCOPE_SE
	ds_load_b32 v10, v104
	ds_load_b128 v[6:9], v42
	ds_load_2addr_b32 v[0:1], v105 offset1:33
	ds_load_b32 v11, v105 offset:264
	s_wait_loadcnt_dscnt 0x0
	s_barrier_signal -1
	s_barrier_wait -1
	global_inv scope:SCOPE_SE
	v_mov_b32_e32 v107, 0
	v_fma_f32 v6, v10, v6, 0
	s_delay_alu instid0(VALU_DEP_1) | instskip(NEXT) | instid1(VALU_DEP_1)
	v_fmac_f32_e32 v6, v0, v7
	v_fmac_f32_e32 v6, v1, v8
	s_delay_alu instid0(VALU_DEP_1)
	v_fmac_f32_e32 v6, v11, v9
	ds_store_b32 v43, v6
	s_wait_loadcnt_dscnt 0x0
	s_barrier_signal -1
	s_barrier_wait -1
	global_inv scope:SCOPE_SE
	s_and_saveexec_b32 s18, s10
	s_cbranch_execz .LBB73_29
; %bb.28:                               ;   in Loop: Header=BB73_4 Depth=1
	ds_load_2addr_b32 v[0:1], v40 offset1:1
	ds_load_2addr_b32 v[6:7], v40 offset0:2 offset1:3
	ds_load_2addr_b32 v[8:9], v40 offset0:4 offset1:5
	ds_load_2addr_b32 v[10:11], v40 offset0:6 offset1:7
	s_wait_dscnt 0x3
	v_add_f32_e32 v0, v0, v1
	s_wait_dscnt 0x2
	s_delay_alu instid0(VALU_DEP_1) | instskip(NEXT) | instid1(VALU_DEP_1)
	v_add_f32_e32 v0, v0, v6
	v_add_f32_e32 v0, v0, v7
	s_wait_dscnt 0x1
	s_delay_alu instid0(VALU_DEP_1) | instskip(NEXT) | instid1(VALU_DEP_1)
	v_add_f32_e32 v0, v0, v8
	;; [unrolled: 4-line block ×3, first 2 shown]
	v_add_f32_e32 v107, v0, v11
.LBB73_29:                              ;   in Loop: Header=BB73_4 Depth=1
	s_wait_alu 0xfffe
	s_or_b32 exec_lo, exec_lo, s18
	s_lshl_b64 s[50:51], s[40:41], 2
	s_mov_b32 s18, -1
	s_wait_alu 0xfffe
	v_add_co_u32 v6, vcc_lo, v2, s50
	s_wait_alu 0xfffd
	v_add_co_ci_u32_e64 v7, null, s51, v3, vcc_lo
	s_wait_loadcnt 0x0
	s_delay_alu instid0(VALU_DEP_2) | instskip(SKIP_1) | instid1(VALU_DEP_2)
	v_add_co_u32 v2, vcc_lo, 0x80, v6
	s_wait_alu 0xfffd
	v_add_co_ci_u32_e64 v3, null, 0, v7, vcc_lo
	s_and_b32 vcc_lo, exec_lo, s56
	s_barrier_signal -1
	s_barrier_wait -1
	global_inv scope:SCOPE_SE
                                        ; implicit-def: $vgpr0_vgpr1
	s_wait_alu 0xfffe
	s_cbranch_vccz .LBB73_39
; %bb.30:                               ;   in Loop: Header=BB73_4 Depth=1
	v_add_co_u32 v0, vcc_lo, v6, v18
	s_wait_alu 0xfffd
	v_add_co_ci_u32_e64 v1, null, v7, v19, vcc_lo
	s_lshl_b64 s[50:51], s[24:25], 2
	v_dual_mov_b32 v9, 0 :: v_dual_mov_b32 v8, 0
	s_wait_alu 0xfffe
	v_add_co_u32 v0, vcc_lo, v0, s50
	s_wait_alu 0xfffd
	v_add_co_ci_u32_e64 v1, null, s51, v1, vcc_lo
	s_delay_alu instid0(VALU_DEP_2) | instskip(SKIP_1) | instid1(VALU_DEP_2)
	v_add_co_u32 v0, vcc_lo, v0, -4
	s_wait_alu 0xfffd
	v_add_co_ci_u32_e64 v1, null, -1, v1, vcc_lo
	s_delay_alu instid0(VALU_DEP_2) | instskip(NEXT) | instid1(VALU_DEP_2)
	v_cndmask_b32_e64 v0, v0, v2, s11
	v_cndmask_b32_e64 v1, v1, v3, s11
	s_and_saveexec_b32 s18, s12
	s_cbranch_execz .LBB73_32
; %bb.31:                               ;   in Loop: Header=BB73_4 Depth=1
	global_load_b32 v8, v[0:1], off
.LBB73_32:                              ;   in Loop: Header=BB73_4 Depth=1
	s_wait_alu 0xfffe
	s_or_b32 exec_lo, exec_lo, s18
	s_wait_loadcnt 0x0
	ds_store_b32 v102, v8
	s_and_saveexec_b32 s18, s13
	s_cbranch_execz .LBB73_34
; %bb.33:                               ;   in Loop: Header=BB73_4 Depth=1
	v_add_co_u32 v8, vcc_lo, v0, s40
	s_wait_alu 0xfffd
	v_add_co_ci_u32_e64 v9, null, s41, v1, vcc_lo
	global_load_b32 v9, v[8:9], off
.LBB73_34:                              ;   in Loop: Header=BB73_4 Depth=1
	s_wait_alu 0xfffe
	s_or_b32 exec_lo, exec_lo, s18
	v_mov_b32_e32 v8, 0
	v_mov_b32_e32 v10, 0
	s_wait_loadcnt 0x0
	ds_store_b32 v102, v9 offset:1056
	s_and_saveexec_b32 s18, s14
	s_cbranch_execz .LBB73_36
; %bb.35:                               ;   in Loop: Header=BB73_4 Depth=1
	v_add_co_u32 v9, vcc_lo, v0, s42
	s_wait_alu 0xfffd
	v_add_co_ci_u32_e64 v10, null, s43, v1, vcc_lo
	global_load_b32 v10, v[9:10], off
.LBB73_36:                              ;   in Loop: Header=BB73_4 Depth=1
	s_wait_alu 0xfffe
	s_or_b32 exec_lo, exec_lo, s18
	s_wait_loadcnt 0x0
	ds_store_b32 v102, v10 offset:2112
	s_and_saveexec_b32 s18, s15
	s_cbranch_execz .LBB73_38
; %bb.37:                               ;   in Loop: Header=BB73_4 Depth=1
	v_add_co_u32 v8, vcc_lo, v0, s44
	s_wait_alu 0xfffd
	v_add_co_ci_u32_e64 v9, null, s45, v1, vcc_lo
	global_load_b32 v8, v[8:9], off
.LBB73_38:                              ;   in Loop: Header=BB73_4 Depth=1
	s_wait_alu 0xfffe
	s_or_b32 exec_lo, exec_lo, s18
	v_add_co_u32 v0, vcc_lo, v0, v103
	s_wait_alu 0xfffd
	v_add_co_ci_u32_e64 v1, null, 0, v1, vcc_lo
	s_lshl_b64 s[50:51], s[46:47], 2
	s_mov_b32 s18, 0
	s_wait_alu 0xfffe
	v_add_co_u32 v0, vcc_lo, v0, s50
	s_wait_alu 0xfffd
	v_add_co_ci_u32_e64 v1, null, s51, v1, vcc_lo
	s_wait_loadcnt 0x0
	ds_store_b32 v102, v8 offset:3168
	v_add_co_u32 v0, vcc_lo, 0x84, v0
	s_wait_alu 0xfffd
	v_add_co_ci_u32_e64 v1, null, 0, v1, vcc_lo
	s_delay_alu instid0(VALU_DEP_2) | instskip(NEXT) | instid1(VALU_DEP_2)
	v_cndmask_b32_e64 v0, v0, v2, s11
	v_cndmask_b32_e64 v1, v1, v3, s11
.LBB73_39:                              ;   in Loop: Header=BB73_4 Depth=1
	s_and_b32 vcc_lo, exec_lo, s18
	s_wait_alu 0xfffe
	s_cbranch_vccz .LBB73_41
; %bb.40:                               ;   in Loop: Header=BB73_4 Depth=1
	v_add_co_u32 v0, vcc_lo, v6, s40
	s_wait_alu 0xfffd
	v_add_co_ci_u32_e64 v1, null, s41, v7, vcc_lo
	s_delay_alu instid0(VALU_DEP_2) | instskip(SKIP_1) | instid1(VALU_DEP_2)
	v_add_co_u32 v8, vcc_lo, v0, s40
	s_wait_alu 0xfffd
	v_add_co_ci_u32_e64 v9, null, s41, v1, vcc_lo
	s_delay_alu instid0(VALU_DEP_2) | instskip(SKIP_1) | instid1(VALU_DEP_2)
	v_add_co_u32 v10, vcc_lo, v8, s40
	s_wait_alu 0xfffd
	v_add_co_ci_u32_e64 v11, null, s41, v9, vcc_lo
	s_clause 0x3
	global_load_b32 v6, v[6:7], off offset:128
	global_load_b32 v7, v[0:1], off offset:128
	global_load_b32 v8, v[8:9], off offset:128
	global_load_b32 v9, v[10:11], off offset:128
	v_dual_mov_b32 v0, v2 :: v_dual_mov_b32 v1, v3
	s_wait_loadcnt 0x3
	ds_store_b32 v102, v6
	s_wait_loadcnt 0x2
	ds_store_b32 v102, v7 offset:1056
	s_wait_loadcnt 0x1
	ds_store_b32 v102, v8 offset:2112
	;; [unrolled: 2-line block ×3, first 2 shown]
.LBB73_41:                              ;   in Loop: Header=BB73_4 Depth=1
	s_wait_loadcnt_dscnt 0x0
	s_barrier_signal -1
	s_barrier_wait -1
	global_inv scope:SCOPE_SE
	s_and_saveexec_b32 s18, s6
	s_cbranch_execnz .LBB73_126
; %bb.42:                               ;   in Loop: Header=BB73_4 Depth=1
	s_wait_alu 0xfffe
	s_or_b32 exec_lo, exec_lo, s18
	s_and_saveexec_b32 s18, s7
	s_cbranch_execnz .LBB73_127
.LBB73_43:                              ;   in Loop: Header=BB73_4 Depth=1
	s_wait_alu 0xfffe
	s_or_b32 exec_lo, exec_lo, s18
	s_and_saveexec_b32 s18, s8
	s_cbranch_execnz .LBB73_128
.LBB73_44:                              ;   in Loop: Header=BB73_4 Depth=1
	s_wait_alu 0xfffe
	s_or_b32 exec_lo, exec_lo, s18
	s_and_saveexec_b32 s18, s9
	s_cbranch_execz .LBB73_46
.LBB73_45:                              ;   in Loop: Header=BB73_4 Depth=1
	ds_load_b32 v2, v105 offset:264
	s_wait_dscnt 0x0
	ds_store_b32 v41, v2 offset:12
.LBB73_46:                              ;   in Loop: Header=BB73_4 Depth=1
	s_wait_alu 0xfffe
	s_or_b32 exec_lo, exec_lo, s18
	s_wait_loadcnt_dscnt 0x0
	s_barrier_signal -1
	s_barrier_wait -1
	global_inv scope:SCOPE_SE
	ds_load_b32 v10, v104
	ds_load_b128 v[6:9], v42 offset:128
	ds_load_2addr_b32 v[2:3], v105 offset1:33
	ds_load_b32 v11, v105 offset:264
	s_wait_loadcnt_dscnt 0x0
	s_barrier_signal -1
	s_barrier_wait -1
	global_inv scope:SCOPE_SE
	v_fma_f32 v6, v10, v6, 0
	s_delay_alu instid0(VALU_DEP_1) | instskip(NEXT) | instid1(VALU_DEP_1)
	v_fmac_f32_e32 v6, v2, v7
	v_fmac_f32_e32 v6, v3, v8
	s_delay_alu instid0(VALU_DEP_1)
	v_fmac_f32_e32 v6, v11, v9
	ds_store_b32 v43, v6
	s_wait_loadcnt_dscnt 0x0
	s_barrier_signal -1
	s_barrier_wait -1
	global_inv scope:SCOPE_SE
	s_and_saveexec_b32 s18, s16
	s_cbranch_execz .LBB73_48
; %bb.47:                               ;   in Loop: Header=BB73_4 Depth=1
	ds_load_2addr_b32 v[2:3], v40 offset1:1
	ds_load_2addr_b32 v[6:7], v40 offset0:2 offset1:3
	ds_load_2addr_b32 v[8:9], v40 offset0:4 offset1:5
	;; [unrolled: 1-line block ×3, first 2 shown]
	s_wait_dscnt 0x3
	v_add_f32_e32 v2, v2, v3
	s_wait_dscnt 0x2
	s_delay_alu instid0(VALU_DEP_1) | instskip(NEXT) | instid1(VALU_DEP_1)
	v_add_f32_e32 v2, v2, v6
	v_add_f32_e32 v2, v2, v7
	s_wait_dscnt 0x1
	s_delay_alu instid0(VALU_DEP_1) | instskip(NEXT) | instid1(VALU_DEP_1)
	v_add_f32_e32 v2, v2, v8
	v_add_f32_e32 v2, v2, v9
	s_wait_dscnt 0x0
	s_delay_alu instid0(VALU_DEP_1) | instskip(NEXT) | instid1(VALU_DEP_1)
	v_add_f32_e32 v2, v2, v10
	v_add_f32_e32 v107, v2, v11
.LBB73_48:                              ;   in Loop: Header=BB73_4 Depth=1
	s_wait_alu 0xfffe
	s_or_b32 exec_lo, exec_lo, s18
	v_add_co_u32 v2, vcc_lo, 0xffffff80, v0
	s_wait_alu 0xfffd
	v_add_co_ci_u32_e64 v3, null, -1, v1, vcc_lo
	s_and_b32 vcc_lo, exec_lo, s56
	s_mov_b32 s18, -1
	s_wait_loadcnt 0x0
	s_barrier_signal -1
	s_barrier_wait -1
	global_inv scope:SCOPE_SE
                                        ; implicit-def: $vgpr6_vgpr7
	s_wait_alu 0xfffe
	s_cbranch_vccz .LBB73_58
; %bb.49:                               ;   in Loop: Header=BB73_4 Depth=1
	v_add_co_u32 v6, vcc_lo, v0, v18
	s_wait_alu 0xfffd
	v_add_co_ci_u32_e64 v7, null, v1, v19, vcc_lo
	s_lshl_b64 s[50:51], s[24:25], 2
	v_dual_mov_b32 v9, 0 :: v_dual_mov_b32 v8, 0
	s_wait_alu 0xfffe
	v_add_co_u32 v6, vcc_lo, v6, s50
	s_wait_alu 0xfffd
	v_add_co_ci_u32_e64 v7, null, s51, v7, vcc_lo
	s_delay_alu instid0(VALU_DEP_2) | instskip(SKIP_1) | instid1(VALU_DEP_2)
	v_add_co_u32 v6, vcc_lo, 0xffffff7c, v6
	s_wait_alu 0xfffd
	v_add_co_ci_u32_e64 v7, null, -1, v7, vcc_lo
	s_delay_alu instid0(VALU_DEP_2) | instskip(NEXT) | instid1(VALU_DEP_2)
	v_cndmask_b32_e64 v6, v6, v2, s1
	v_cndmask_b32_e64 v7, v7, v3, s1
	s_and_saveexec_b32 s18, s12
	s_cbranch_execz .LBB73_51
; %bb.50:                               ;   in Loop: Header=BB73_4 Depth=1
	global_load_b32 v8, v[6:7], off
.LBB73_51:                              ;   in Loop: Header=BB73_4 Depth=1
	s_wait_alu 0xfffe
	s_or_b32 exec_lo, exec_lo, s18
	s_wait_loadcnt 0x0
	ds_store_b32 v102, v8
	s_and_saveexec_b32 s18, s13
	s_cbranch_execz .LBB73_53
; %bb.52:                               ;   in Loop: Header=BB73_4 Depth=1
	v_add_co_u32 v8, vcc_lo, v6, s40
	s_wait_alu 0xfffd
	v_add_co_ci_u32_e64 v9, null, s41, v7, vcc_lo
	global_load_b32 v9, v[8:9], off
.LBB73_53:                              ;   in Loop: Header=BB73_4 Depth=1
	s_wait_alu 0xfffe
	s_or_b32 exec_lo, exec_lo, s18
	v_mov_b32_e32 v8, 0
	v_mov_b32_e32 v10, 0
	s_wait_loadcnt 0x0
	ds_store_b32 v102, v9 offset:1056
	s_and_saveexec_b32 s18, s14
	s_cbranch_execz .LBB73_55
; %bb.54:                               ;   in Loop: Header=BB73_4 Depth=1
	v_add_co_u32 v9, vcc_lo, v6, s42
	s_wait_alu 0xfffd
	v_add_co_ci_u32_e64 v10, null, s43, v7, vcc_lo
	global_load_b32 v10, v[9:10], off
.LBB73_55:                              ;   in Loop: Header=BB73_4 Depth=1
	s_wait_alu 0xfffe
	s_or_b32 exec_lo, exec_lo, s18
	s_wait_loadcnt 0x0
	ds_store_b32 v102, v10 offset:2112
	s_and_saveexec_b32 s18, s15
	s_cbranch_execz .LBB73_57
; %bb.56:                               ;   in Loop: Header=BB73_4 Depth=1
	v_add_co_u32 v8, vcc_lo, v6, s44
	s_wait_alu 0xfffd
	v_add_co_ci_u32_e64 v9, null, s45, v7, vcc_lo
	global_load_b32 v8, v[8:9], off
.LBB73_57:                              ;   in Loop: Header=BB73_4 Depth=1
	s_wait_alu 0xfffe
	s_or_b32 exec_lo, exec_lo, s18
	v_add_co_u32 v6, vcc_lo, v6, v103
	s_wait_alu 0xfffd
	v_add_co_ci_u32_e64 v7, null, 0, v7, vcc_lo
	s_lshl_b64 s[50:51], s[46:47], 2
	s_mov_b32 s18, 0
	s_wait_alu 0xfffe
	v_add_co_u32 v6, vcc_lo, v6, s50
	s_wait_alu 0xfffd
	v_add_co_ci_u32_e64 v7, null, s51, v7, vcc_lo
	s_wait_loadcnt 0x0
	ds_store_b32 v102, v8 offset:3168
	v_add_co_u32 v6, vcc_lo, v6, 4
	s_wait_alu 0xfffd
	v_add_co_ci_u32_e64 v7, null, 0, v7, vcc_lo
	s_delay_alu instid0(VALU_DEP_2) | instskip(NEXT) | instid1(VALU_DEP_2)
	v_cndmask_b32_e64 v6, v6, v2, s1
	v_cndmask_b32_e64 v7, v7, v3, s1
.LBB73_58:                              ;   in Loop: Header=BB73_4 Depth=1
	s_and_b32 vcc_lo, exec_lo, s18
	s_wait_alu 0xfffe
	s_cbranch_vccz .LBB73_60
; %bb.59:                               ;   in Loop: Header=BB73_4 Depth=1
	v_add_co_u32 v6, vcc_lo, v0, s40
	s_wait_alu 0xfffd
	v_add_co_ci_u32_e64 v7, null, s41, v1, vcc_lo
	s_delay_alu instid0(VALU_DEP_2) | instskip(SKIP_1) | instid1(VALU_DEP_2)
	v_add_co_u32 v8, vcc_lo, v6, s40
	s_wait_alu 0xfffd
	v_add_co_ci_u32_e64 v9, null, s41, v7, vcc_lo
	s_delay_alu instid0(VALU_DEP_2) | instskip(SKIP_1) | instid1(VALU_DEP_2)
	v_add_co_u32 v10, vcc_lo, v8, s40
	s_wait_alu 0xfffd
	v_add_co_ci_u32_e64 v11, null, s41, v9, vcc_lo
	s_clause 0x3
	global_load_b32 v0, v[0:1], off offset:-128
	global_load_b32 v1, v[6:7], off offset:-128
	;; [unrolled: 1-line block ×4, first 2 shown]
	v_dual_mov_b32 v7, v3 :: v_dual_mov_b32 v6, v2
	s_wait_loadcnt 0x3
	ds_store_b32 v102, v0
	s_wait_loadcnt 0x2
	ds_store_b32 v102, v1 offset:1056
	s_wait_loadcnt 0x1
	ds_store_b32 v102, v8 offset:2112
	;; [unrolled: 2-line block ×3, first 2 shown]
.LBB73_60:                              ;   in Loop: Header=BB73_4 Depth=1
	v_add_nc_u32_e32 v0, v41, v44
	v_add_nc_u32_e32 v1, v42, v44
	s_wait_loadcnt_dscnt 0x0
	s_barrier_signal -1
	s_barrier_wait -1
	global_inv scope:SCOPE_SE
	ds_load_b32 v0, v0
	ds_load_b32 v1, v1
	ds_load_2addr_b32 v[12:13], v68 offset0:8 offset1:16
	ds_load_2addr_b32 v[14:15], v69 offset0:8 offset1:16
	ds_load_b32 v20, v68 offset:96
	ds_load_b32 v21, v69 offset:96
	;; [unrolled: 1-line block ×3, first 2 shown]
	s_wait_dscnt 0x5
	v_fma_f32 v22, v0, v1, 0
	ds_load_b32 v11, v104
	ds_load_2addr_b32 v[8:9], v105 offset1:33
	ds_load_b128 v[0:3], v42 offset:128
	s_wait_loadcnt_dscnt 0x0
	s_barrier_signal -1
	s_barrier_wait -1
	v_fmac_f32_e32 v22, v12, v14
	global_inv scope:SCOPE_SE
	v_fmac_f32_e32 v22, v13, v15
	s_delay_alu instid0(VALU_DEP_1)
	v_fmac_f32_e32 v22, v20, v21
	ds_store_b32 v43, v22
	s_wait_loadcnt_dscnt 0x0
	s_barrier_signal -1
	s_barrier_wait -1
	global_inv scope:SCOPE_SE
	s_and_saveexec_b32 s18, s16
	s_cbranch_execz .LBB73_62
; %bb.61:                               ;   in Loop: Header=BB73_4 Depth=1
	ds_load_2addr_b32 v[12:13], v40 offset1:1
	ds_load_2addr_b32 v[14:15], v40 offset0:2 offset1:3
	ds_load_2addr_b32 v[20:21], v40 offset0:4 offset1:5
	;; [unrolled: 1-line block ×3, first 2 shown]
	s_wait_dscnt 0x3
	v_add_f32_e32 v12, v107, v12
	s_delay_alu instid0(VALU_DEP_1) | instskip(SKIP_1) | instid1(VALU_DEP_1)
	v_add_f32_e32 v12, v12, v13
	s_wait_dscnt 0x2
	v_add_f32_e32 v12, v12, v14
	s_delay_alu instid0(VALU_DEP_1) | instskip(SKIP_1) | instid1(VALU_DEP_1)
	v_add_f32_e32 v12, v12, v15
	;; [unrolled: 4-line block ×3, first 2 shown]
	s_wait_dscnt 0x0
	v_add_f32_e32 v12, v12, v22
	s_delay_alu instid0(VALU_DEP_1)
	v_add_f32_e32 v107, v12, v23
.LBB73_62:                              ;   in Loop: Header=BB73_4 Depth=1
	s_wait_alu 0xfffe
	s_or_b32 exec_lo, exec_lo, s18
	v_fma_f32 v0, v11, v0, 0
	s_wait_loadcnt 0x0
	s_barrier_signal -1
	s_barrier_wait -1
	global_inv scope:SCOPE_SE
	v_fmac_f32_e32 v0, v8, v1
	s_delay_alu instid0(VALU_DEP_1) | instskip(NEXT) | instid1(VALU_DEP_1)
	v_fmac_f32_e32 v0, v9, v2
	v_fmac_f32_e32 v0, v10, v3
	ds_store_b32 v43, v0
	s_wait_loadcnt_dscnt 0x0
	s_barrier_signal -1
	s_barrier_wait -1
	global_inv scope:SCOPE_SE
	s_and_saveexec_b32 s18, s10
	s_cbranch_execz .LBB73_64
; %bb.63:                               ;   in Loop: Header=BB73_4 Depth=1
	ds_load_2addr_b32 v[0:1], v40 offset1:1
	ds_load_2addr_b32 v[2:3], v40 offset0:2 offset1:3
	ds_load_2addr_b32 v[8:9], v40 offset0:4 offset1:5
	;; [unrolled: 1-line block ×3, first 2 shown]
	s_wait_dscnt 0x3
	v_add_f32_e32 v0, v107, v0
	s_delay_alu instid0(VALU_DEP_1) | instskip(SKIP_1) | instid1(VALU_DEP_1)
	v_add_f32_e32 v0, v0, v1
	s_wait_dscnt 0x2
	v_add_f32_e32 v0, v0, v2
	s_delay_alu instid0(VALU_DEP_1) | instskip(SKIP_1) | instid1(VALU_DEP_1)
	v_add_f32_e32 v0, v0, v3
	;; [unrolled: 4-line block ×3, first 2 shown]
	s_wait_dscnt 0x0
	v_add_f32_e32 v0, v0, v10
	s_delay_alu instid0(VALU_DEP_1)
	v_add_f32_e32 v107, v0, v11
.LBB73_64:                              ;   in Loop: Header=BB73_4 Depth=1
	s_wait_alu 0xfffe
	s_or_b32 exec_lo, exec_lo, s18
	s_mul_u64 s[50:51], s[26:27], s[34:35]
	s_and_not1_b32 vcc_lo, exec_lo, s19
	s_wait_alu 0xfffe
	s_lshl_b64 s[50:51], s[50:51], 2
	s_wait_loadcnt 0x0
	s_wait_alu 0xfffe
	s_add_nc_u64 s[50:51], s[38:39], s[50:51]
	s_barrier_signal -1
	s_barrier_wait -1
	global_inv scope:SCOPE_SE
	s_cbranch_vccnz .LBB73_121
; %bb.65:                               ;   in Loop: Header=BB73_4 Depth=1
	v_add_co_u32 v108, vcc_lo, v4, s48
	s_wait_alu 0xfffd
	v_add_co_ci_u32_e64 v109, null, s49, v5, vcc_lo
	v_add_co_u32 v110, vcc_lo, v6, v70
	s_wait_alu 0xfffd
	v_add_co_ci_u32_e64 v111, null, v7, v71, vcc_lo
	;; [unrolled: 3-line block ×17, first 2 shown]
	s_mov_b32 s60, ttmp9
	s_mov_b32 s52, s59
	s_wait_alu 0xfffe
	s_cmp_eq_u32 s37, s60
	s_cselect_b32 s61, s55, 0
	s_and_saveexec_b32 s18, s0
	s_cbranch_execz .LBB73_69
.LBB73_66:                              ;   in Loop: Header=BB73_4 Depth=1
	s_wait_alu 0xfffe
	v_cmp_gt_i32_e32 vcc_lo, s61, v32
	s_cmp_eq_u32 s61, 0
	v_mov_b32_e32 v0, 0
	s_cselect_b32 s53, -1, 0
	s_wait_alu 0xfffe
	s_or_b32 s53, s53, vcc_lo
	s_wait_alu 0xfffe
	s_and_saveexec_b32 s62, s53
	s_cbranch_execz .LBB73_68
; %bb.67:                               ;   in Loop: Header=BB73_4 Depth=1
	s_ashr_i32 s53, s52, 31
	s_wait_alu 0xfffe
	s_mul_u64 s[64:65], s[28:29], s[52:53]
	s_wait_alu 0xfffe
	s_lshl_b64 s[64:65], s[64:65], 2
	s_wait_alu 0xfffe
	v_add_co_u32 v0, vcc_lo, v108, s64
	s_wait_alu 0xfffd
	v_add_co_ci_u32_e64 v1, null, s65, v109, vcc_lo
	global_load_b32 v0, v[0:1], off
.LBB73_68:                              ;   in Loop: Header=BB73_4 Depth=1
	s_or_b32 exec_lo, exec_lo, s62
	s_wait_loadcnt 0x0
	ds_store_b32 v46, v0
.LBB73_69:                              ;   Parent Loop BB73_4 Depth=1
                                        ; =>  This Inner Loop Header: Depth=2
	s_wait_alu 0xfffe
	s_or_b32 exec_lo, exec_lo, s18
	s_cmp_eq_u32 s61, 0
	v_add_co_u32 v0, vcc_lo, v110, v33
	s_cselect_b32 s53, -1, 0
	s_cmp_lg_u32 s61, 0
	s_wait_alu 0xfffd
	v_add_co_ci_u32_e64 v1, null, 0, v111, vcc_lo
	s_cselect_b32 s18, -1, 0
	s_mov_b32 s62, -1
	s_wait_alu 0xfffe
	s_and_b32 vcc_lo, exec_lo, s18
	s_wait_loadcnt_dscnt 0x0
	s_barrier_signal -1
	s_barrier_wait -1
	global_inv scope:SCOPE_SE
                                        ; implicit-def: $vgpr143
                                        ; implicit-def: $vgpr144
                                        ; implicit-def: $vgpr142
                                        ; implicit-def: $vgpr145
	s_wait_alu 0xfffe
	s_cbranch_vccz .LBB73_79
; %bb.70:                               ;   in Loop: Header=BB73_69 Depth=2
	v_dual_mov_b32 v142, 0 :: v_dual_mov_b32 v145, 0
	s_mov_b32 s62, exec_lo
	v_cmpx_gt_i32_e64 s61, v45
	s_cbranch_execz .LBB73_72
; %bb.71:                               ;   in Loop: Header=BB73_69 Depth=2
	global_load_b32 v145, v[0:1], off
.LBB73_72:                              ;   in Loop: Header=BB73_69 Depth=2
	s_or_b32 exec_lo, exec_lo, s62
	s_delay_alu instid0(SALU_CYCLE_1)
	s_mov_b32 s62, exec_lo
	v_cmpx_gt_i32_e64 s61, v52
	s_cbranch_execz .LBB73_74
; %bb.73:                               ;   in Loop: Header=BB73_69 Depth=2
	v_add_co_u32 v2, vcc_lo, v116, v33
	s_wait_alu 0xfffd
	v_add_co_ci_u32_e64 v3, null, 0, v117, vcc_lo
	global_load_b32 v142, v[2:3], off
.LBB73_74:                              ;   in Loop: Header=BB73_69 Depth=2
	s_or_b32 exec_lo, exec_lo, s62
	v_dual_mov_b32 v143, 0 :: v_dual_mov_b32 v144, 0
	s_mov_b32 s62, exec_lo
	v_cmpx_gt_i32_e64 s61, v53
	s_cbranch_execz .LBB73_76
; %bb.75:                               ;   in Loop: Header=BB73_69 Depth=2
	v_add_co_u32 v2, vcc_lo, v112, v33
	s_wait_alu 0xfffd
	v_add_co_ci_u32_e64 v3, null, 0, v113, vcc_lo
	global_load_b32 v144, v[2:3], off
.LBB73_76:                              ;   in Loop: Header=BB73_69 Depth=2
	s_or_b32 exec_lo, exec_lo, s62
	s_delay_alu instid0(SALU_CYCLE_1)
	s_mov_b32 s62, exec_lo
	v_cmpx_gt_i32_e64 s61, v54
	s_cbranch_execz .LBB73_78
; %bb.77:                               ;   in Loop: Header=BB73_69 Depth=2
	v_add_co_u32 v2, vcc_lo, v114, v33
	s_wait_alu 0xfffd
	v_add_co_ci_u32_e64 v3, null, 0, v115, vcc_lo
	global_load_b32 v143, v[2:3], off
.LBB73_78:                              ;   in Loop: Header=BB73_69 Depth=2
	s_or_b32 exec_lo, exec_lo, s62
	s_mov_b32 s62, 0
.LBB73_79:                              ;   in Loop: Header=BB73_69 Depth=2
	s_delay_alu instid0(SALU_CYCLE_1)
	s_and_b32 vcc_lo, exec_lo, s62
	s_wait_alu 0xfffe
	s_cbranch_vccz .LBB73_81
; %bb.80:                               ;   in Loop: Header=BB73_69 Depth=2
	v_add_co_u32 v2, vcc_lo, v116, v33
	s_wait_alu 0xfffd
	v_add_co_ci_u32_e64 v3, null, 0, v117, vcc_lo
	v_add_co_u32 v4, vcc_lo, v112, v33
	s_wait_alu 0xfffd
	v_add_co_ci_u32_e64 v5, null, 0, v113, vcc_lo
	;; [unrolled: 3-line block ×3, first 2 shown]
	s_wait_loadcnt 0x0
	global_load_b32 v145, v[0:1], off
	global_load_b32 v142, v[2:3], off
	;; [unrolled: 1-line block ×4, first 2 shown]
.LBB73_81:                              ;   in Loop: Header=BB73_69 Depth=2
	ds_load_b32 v4, v37
	ds_load_b128 v[0:3], v47
	v_cndmask_b32_e64 v12, 0, 1, s18
                                        ; implicit-def: $vgpr148
                                        ; implicit-def: $vgpr149
                                        ; implicit-def: $vgpr146
                                        ; implicit-def: $vgpr147
	s_wait_loadcnt_dscnt 0x1
	v_mul_f32_e32 v5, v145, v4
	v_mul_f32_e32 v6, v142, v4
	;; [unrolled: 1-line block ×4, first 2 shown]
	ds_store_2addr_b32 v48, v5, v6 offset1:67
	ds_store_2addr_b32 v48, v7, v4 offset0:134 offset1:201
	s_wait_dscnt 0x0
	s_barrier_signal -1
	s_barrier_wait -1
	global_inv scope:SCOPE_SE
	ds_load_2addr_b32 v[22:23], v106 offset1:1
	ds_load_2addr_b32 v[20:21], v106 offset0:2 offset1:3
	v_add_co_u32 v4, vcc_lo, v118, v33
	s_wait_alu 0xfffd
	v_add_co_ci_u32_e64 v5, null, 0, v119, vcc_lo
	s_and_not1_b32 vcc_lo, exec_lo, s18
	s_mov_b32 s18, -1
	s_wait_loadcnt_dscnt 0x0
	s_barrier_signal -1
	s_barrier_wait -1
	global_inv scope:SCOPE_SE
	s_wait_alu 0xfffe
	s_cbranch_vccnz .LBB73_91
; %bb.82:                               ;   in Loop: Header=BB73_69 Depth=2
	v_dual_mov_b32 v146, 0 :: v_dual_mov_b32 v147, 0
	s_mov_b32 s18, exec_lo
	v_cmpx_gt_i32_e64 s61, v55
	s_cbranch_execz .LBB73_84
; %bb.83:                               ;   in Loop: Header=BB73_69 Depth=2
	global_load_b32 v147, v[4:5], off
.LBB73_84:                              ;   in Loop: Header=BB73_69 Depth=2
	s_wait_alu 0xfffe
	s_or_b32 exec_lo, exec_lo, s18
	s_delay_alu instid0(SALU_CYCLE_1)
	s_mov_b32 s18, exec_lo
	v_cmpx_gt_i32_e64 s61, v56
	s_cbranch_execz .LBB73_86
; %bb.85:                               ;   in Loop: Header=BB73_69 Depth=2
	v_add_co_u32 v6, vcc_lo, v120, v33
	s_wait_alu 0xfffd
	v_add_co_ci_u32_e64 v7, null, 0, v121, vcc_lo
	global_load_b32 v146, v[6:7], off
.LBB73_86:                              ;   in Loop: Header=BB73_69 Depth=2
	s_wait_alu 0xfffe
	s_or_b32 exec_lo, exec_lo, s18
	v_dual_mov_b32 v148, 0 :: v_dual_mov_b32 v149, 0
	s_mov_b32 s18, exec_lo
	v_cmpx_gt_i32_e64 s61, v57
	s_cbranch_execz .LBB73_88
; %bb.87:                               ;   in Loop: Header=BB73_69 Depth=2
	v_add_co_u32 v6, vcc_lo, v122, v33
	s_wait_alu 0xfffd
	v_add_co_ci_u32_e64 v7, null, 0, v123, vcc_lo
	global_load_b32 v149, v[6:7], off
.LBB73_88:                              ;   in Loop: Header=BB73_69 Depth=2
	s_wait_alu 0xfffe
	s_or_b32 exec_lo, exec_lo, s18
	s_delay_alu instid0(SALU_CYCLE_1)
	s_mov_b32 s18, exec_lo
	v_cmpx_gt_i32_e64 s61, v58
	s_cbranch_execz .LBB73_90
; %bb.89:                               ;   in Loop: Header=BB73_69 Depth=2
	v_add_co_u32 v6, vcc_lo, v124, v33
	s_wait_alu 0xfffd
	v_add_co_ci_u32_e64 v7, null, 0, v125, vcc_lo
	global_load_b32 v148, v[6:7], off
.LBB73_90:                              ;   in Loop: Header=BB73_69 Depth=2
	s_wait_alu 0xfffe
	s_or_b32 exec_lo, exec_lo, s18
	s_mov_b32 s18, 0
.LBB73_91:                              ;   in Loop: Header=BB73_69 Depth=2
	s_wait_alu 0xfffe
	s_and_b32 vcc_lo, exec_lo, s18
	s_wait_alu 0xfffe
	s_cbranch_vccz .LBB73_93
; %bb.92:                               ;   in Loop: Header=BB73_69 Depth=2
	v_add_co_u32 v6, vcc_lo, v120, v33
	s_wait_alu 0xfffd
	v_add_co_ci_u32_e64 v7, null, 0, v121, vcc_lo
	v_add_co_u32 v8, vcc_lo, v122, v33
	s_wait_alu 0xfffd
	v_add_co_ci_u32_e64 v9, null, 0, v123, vcc_lo
	;; [unrolled: 3-line block ×3, first 2 shown]
	s_wait_loadcnt 0x0
	global_load_b32 v147, v[4:5], off
	global_load_b32 v146, v[6:7], off
	;; [unrolled: 1-line block ×4, first 2 shown]
.LBB73_93:                              ;   in Loop: Header=BB73_69 Depth=2
	ds_load_b32 v4, v37
	v_cmp_ne_u32_e32 vcc_lo, 1, v12
                                        ; implicit-def: $vgpr152
                                        ; implicit-def: $vgpr153
                                        ; implicit-def: $vgpr150
                                        ; implicit-def: $vgpr151
	s_and_b32 vcc_lo, exec_lo, vcc_lo
	s_wait_loadcnt_dscnt 0x0
	v_mul_f32_e32 v8, v147, v4
	v_mul_f32_e32 v9, v146, v4
	;; [unrolled: 1-line block ×4, first 2 shown]
	ds_load_b128 v[4:7], v47 offset:64
	ds_store_2addr_b32 v48, v8, v9 offset1:67
	ds_store_2addr_b32 v48, v10, v11 offset0:134 offset1:201
	s_wait_dscnt 0x0
	s_barrier_signal -1
	s_barrier_wait -1
	global_inv scope:SCOPE_SE
	ds_load_2addr_b32 v[26:27], v106 offset1:1
	ds_load_2addr_b32 v[24:25], v106 offset0:2 offset1:3
	v_add_co_u32 v8, s18, v126, v33
	s_wait_alu 0xf1ff
	v_add_co_ci_u32_e64 v9, null, 0, v127, s18
	s_mov_b32 s18, -1
	s_wait_loadcnt_dscnt 0x0
	s_barrier_signal -1
	s_barrier_wait -1
	global_inv scope:SCOPE_SE
	s_wait_alu 0xfffe
	s_cbranch_vccnz .LBB73_103
; %bb.94:                               ;   in Loop: Header=BB73_69 Depth=2
	v_dual_mov_b32 v150, 0 :: v_dual_mov_b32 v151, 0
	s_mov_b32 s18, exec_lo
	v_cmpx_gt_i32_e64 s61, v59
	s_cbranch_execz .LBB73_96
; %bb.95:                               ;   in Loop: Header=BB73_69 Depth=2
	global_load_b32 v151, v[8:9], off
.LBB73_96:                              ;   in Loop: Header=BB73_69 Depth=2
	s_wait_alu 0xfffe
	s_or_b32 exec_lo, exec_lo, s18
	s_delay_alu instid0(SALU_CYCLE_1)
	s_mov_b32 s18, exec_lo
	v_cmpx_gt_i32_e64 s61, v60
	s_cbranch_execz .LBB73_98
; %bb.97:                               ;   in Loop: Header=BB73_69 Depth=2
	v_add_co_u32 v10, vcc_lo, v128, v33
	s_wait_alu 0xfffd
	v_add_co_ci_u32_e64 v11, null, 0, v129, vcc_lo
	global_load_b32 v150, v[10:11], off
.LBB73_98:                              ;   in Loop: Header=BB73_69 Depth=2
	s_wait_alu 0xfffe
	s_or_b32 exec_lo, exec_lo, s18
	v_dual_mov_b32 v152, 0 :: v_dual_mov_b32 v153, 0
	s_mov_b32 s18, exec_lo
	v_cmpx_gt_i32_e64 s61, v61
	s_cbranch_execz .LBB73_100
; %bb.99:                               ;   in Loop: Header=BB73_69 Depth=2
	v_add_co_u32 v10, vcc_lo, v130, v33
	s_wait_alu 0xfffd
	v_add_co_ci_u32_e64 v11, null, 0, v131, vcc_lo
	global_load_b32 v153, v[10:11], off
.LBB73_100:                             ;   in Loop: Header=BB73_69 Depth=2
	s_wait_alu 0xfffe
	s_or_b32 exec_lo, exec_lo, s18
	s_delay_alu instid0(SALU_CYCLE_1)
	s_mov_b32 s18, exec_lo
	v_cmpx_gt_i32_e64 s61, v62
	s_cbranch_execz .LBB73_102
; %bb.101:                              ;   in Loop: Header=BB73_69 Depth=2
	v_add_co_u32 v10, vcc_lo, v132, v33
	s_wait_alu 0xfffd
	v_add_co_ci_u32_e64 v11, null, 0, v133, vcc_lo
	global_load_b32 v152, v[10:11], off
.LBB73_102:                             ;   in Loop: Header=BB73_69 Depth=2
	s_wait_alu 0xfffe
	s_or_b32 exec_lo, exec_lo, s18
	s_mov_b32 s18, 0
.LBB73_103:                             ;   in Loop: Header=BB73_69 Depth=2
	s_wait_alu 0xfffe
	s_and_b32 vcc_lo, exec_lo, s18
	s_wait_alu 0xfffe
	s_cbranch_vccz .LBB73_105
; %bb.104:                              ;   in Loop: Header=BB73_69 Depth=2
	v_add_co_u32 v10, vcc_lo, v128, v33
	s_wait_alu 0xfffd
	v_add_co_ci_u32_e64 v11, null, 0, v129, vcc_lo
	v_add_co_u32 v13, vcc_lo, v130, v33
	s_wait_alu 0xfffd
	v_add_co_ci_u32_e64 v14, null, 0, v131, vcc_lo
	;; [unrolled: 3-line block ×3, first 2 shown]
	s_wait_loadcnt 0x0
	global_load_b32 v151, v[8:9], off
	global_load_b32 v150, v[10:11], off
	;; [unrolled: 1-line block ×4, first 2 shown]
.LBB73_105:                             ;   in Loop: Header=BB73_69 Depth=2
	ds_load_b32 v13, v37
	ds_load_b128 v[8:11], v47 offset:128
	v_cmp_ne_u32_e32 vcc_lo, 1, v12
	v_add_co_u32 v12, s18, v134, v33
                                        ; implicit-def: $vgpr156
                                        ; implicit-def: $vgpr157
                                        ; implicit-def: $vgpr154
                                        ; implicit-def: $vgpr155
	s_and_b32 vcc_lo, exec_lo, vcc_lo
	s_wait_loadcnt_dscnt 0x1
	v_mul_f32_e32 v14, v151, v13
	v_mul_f32_e32 v15, v150, v13
	;; [unrolled: 1-line block ×4, first 2 shown]
	ds_store_2addr_b32 v48, v14, v15 offset1:67
	ds_store_2addr_b32 v48, v28, v13 offset0:134 offset1:201
	s_wait_dscnt 0x0
	s_barrier_signal -1
	s_barrier_wait -1
	global_inv scope:SCOPE_SE
	ds_load_2addr_b32 v[30:31], v106 offset1:1
	ds_load_2addr_b32 v[28:29], v106 offset0:2 offset1:3
	s_wait_alu 0xf1ff
	v_add_co_ci_u32_e64 v13, null, 0, v135, s18
	s_mov_b32 s18, -1
	s_wait_loadcnt_dscnt 0x0
	s_barrier_signal -1
	s_barrier_wait -1
	global_inv scope:SCOPE_SE
	s_wait_alu 0xfffe
	s_cbranch_vccnz .LBB73_115
; %bb.106:                              ;   in Loop: Header=BB73_69 Depth=2
	v_dual_mov_b32 v154, 0 :: v_dual_mov_b32 v155, 0
	s_mov_b32 s18, exec_lo
	v_cmpx_gt_i32_e64 s61, v63
	s_cbranch_execz .LBB73_108
; %bb.107:                              ;   in Loop: Header=BB73_69 Depth=2
	global_load_b32 v155, v[12:13], off
.LBB73_108:                             ;   in Loop: Header=BB73_69 Depth=2
	s_wait_alu 0xfffe
	s_or_b32 exec_lo, exec_lo, s18
	s_delay_alu instid0(SALU_CYCLE_1)
	s_mov_b32 s18, exec_lo
	v_cmpx_gt_i32_e64 s61, v64
	s_cbranch_execz .LBB73_110
; %bb.109:                              ;   in Loop: Header=BB73_69 Depth=2
	v_add_co_u32 v14, vcc_lo, v136, v33
	s_wait_alu 0xfffd
	v_add_co_ci_u32_e64 v15, null, 0, v137, vcc_lo
	global_load_b32 v154, v[14:15], off
.LBB73_110:                             ;   in Loop: Header=BB73_69 Depth=2
	s_wait_alu 0xfffe
	s_or_b32 exec_lo, exec_lo, s18
	v_dual_mov_b32 v156, 0 :: v_dual_mov_b32 v157, 0
	s_mov_b32 s18, exec_lo
	v_cmpx_gt_i32_e64 s61, v65
	s_cbranch_execz .LBB73_112
; %bb.111:                              ;   in Loop: Header=BB73_69 Depth=2
	v_add_co_u32 v14, vcc_lo, v138, v33
	s_wait_alu 0xfffd
	v_add_co_ci_u32_e64 v15, null, 0, v139, vcc_lo
	global_load_b32 v157, v[14:15], off
.LBB73_112:                             ;   in Loop: Header=BB73_69 Depth=2
	s_wait_alu 0xfffe
	s_or_b32 exec_lo, exec_lo, s18
	s_delay_alu instid0(SALU_CYCLE_1)
	s_mov_b32 s18, exec_lo
	v_cmpx_gt_i32_e64 s61, v66
	s_cbranch_execz .LBB73_114
; %bb.113:                              ;   in Loop: Header=BB73_69 Depth=2
	v_add_co_u32 v14, vcc_lo, v140, v33
	s_wait_alu 0xfffd
	v_add_co_ci_u32_e64 v15, null, 0, v141, vcc_lo
	global_load_b32 v156, v[14:15], off
.LBB73_114:                             ;   in Loop: Header=BB73_69 Depth=2
	s_wait_alu 0xfffe
	s_or_b32 exec_lo, exec_lo, s18
	s_mov_b32 s18, 0
.LBB73_115:                             ;   in Loop: Header=BB73_69 Depth=2
	s_wait_alu 0xfffe
	s_and_b32 vcc_lo, exec_lo, s18
	s_wait_alu 0xfffe
	s_cbranch_vccz .LBB73_117
; %bb.116:                              ;   in Loop: Header=BB73_69 Depth=2
	v_add_co_u32 v14, vcc_lo, v136, v33
	s_wait_alu 0xfffd
	v_add_co_ci_u32_e64 v15, null, 0, v137, vcc_lo
	s_wait_loadcnt 0x0
	v_add_co_u32 v156, vcc_lo, v138, v33
	s_wait_alu 0xfffd
	v_add_co_ci_u32_e64 v157, null, 0, v139, vcc_lo
	v_add_co_u32 v158, vcc_lo, v140, v33
	s_wait_alu 0xfffd
	v_add_co_ci_u32_e64 v159, null, 0, v141, vcc_lo
	global_load_b32 v155, v[12:13], off
	global_load_b32 v154, v[14:15], off
	;; [unrolled: 1-line block ×4, first 2 shown]
.LBB73_117:                             ;   in Loop: Header=BB73_69 Depth=2
	ds_load_b32 v158, v37
	ds_load_b128 v[12:15], v47 offset:192
	v_add_f32_e32 v30, 0, v30
	v_add_f32_e32 v22, 0, v22
	v_cmp_gt_i32_e32 vcc_lo, s61, v32
	s_delay_alu instid0(VALU_DEP_3) | instskip(SKIP_1) | instid1(VALU_DEP_4)
	v_add_f32_e32 v30, v30, v31
	v_add_f32_e32 v26, 0, v26
	;; [unrolled: 1-line block ×3, first 2 shown]
	s_or_b32 s18, s53, vcc_lo
	s_wait_alu 0xfffe
	s_and_b32 s53, s17, s18
	v_add_f32_e32 v26, v26, v27
	v_add_f32_e32 v27, v30, v28
	;; [unrolled: 1-line block ×3, first 2 shown]
	s_wait_loadcnt_dscnt 0x1
	s_delay_alu instid0(VALU_DEP_3)
	v_dual_add_f32 v24, v26, v24 :: v_dual_mul_f32 v159, v155, v158
	v_mul_f32_e32 v160, v154, v158
	v_mul_f32_e32 v161, v157, v158
	;; [unrolled: 1-line block ×3, first 2 shown]
	ds_store_2addr_b32 v48, v159, v160 offset1:67
	ds_store_2addr_b32 v48, v161, v158 offset0:134 offset1:201
	s_wait_dscnt 0x0
	s_barrier_signal -1
	s_barrier_wait -1
	global_inv scope:SCOPE_SE
	ds_load_2addr_b32 v[158:159], v106 offset1:1
	ds_load_2addr_b32 v[160:161], v106 offset0:2 offset1:3
	v_add_f32_e32 v20, v20, v21
	s_wait_loadcnt_dscnt 0x0
	v_add_f32_e32 v24, v24, v25
	s_barrier_signal -1
	s_barrier_wait -1
	global_inv scope:SCOPE_SE
	v_add_f32_e32 v158, 0, v158
	s_delay_alu instid0(VALU_DEP_1) | instskip(NEXT) | instid1(VALU_DEP_1)
	v_add_f32_e32 v23, v158, v159
	v_add_f32_e32 v22, v23, v160
	;; [unrolled: 1-line block ×3, first 2 shown]
	s_delay_alu instid0(VALU_DEP_2)
	v_add_f32_e32 v21, v22, v161
	ds_store_2addr_b32 v49, v20, v24 offset1:16
	ds_store_2addr_b32 v49, v23, v21 offset0:32 offset1:48
	s_wait_loadcnt_dscnt 0x0
	s_barrier_signal -1
	s_barrier_wait -1
	global_inv scope:SCOPE_SE
	s_wait_alu 0xfffe
	s_and_saveexec_b32 s18, s53
	s_cbranch_execz .LBB73_119
; %bb.118:                              ;   in Loop: Header=BB73_69 Depth=2
	ds_load_2addr_b32 v[20:21], v50 offset1:1
	ds_load_2addr_b32 v[22:23], v50 offset0:2 offset1:3
	ds_load_2addr_b32 v[24:25], v50 offset0:4 offset1:5
	;; [unrolled: 1-line block ×3, first 2 shown]
	s_wait_dscnt 0x3
	v_add_f32_e32 v20, v20, v21
	s_wait_dscnt 0x2
	s_delay_alu instid0(VALU_DEP_1) | instskip(NEXT) | instid1(VALU_DEP_1)
	v_add_f32_e32 v20, v20, v22
	v_add_f32_e32 v22, v20, v23
	ds_load_2addr_b32 v[20:21], v50 offset0:8 offset1:9
	s_wait_dscnt 0x2
	v_add_f32_e32 v22, v22, v24
	s_delay_alu instid0(VALU_DEP_1) | instskip(SKIP_3) | instid1(VALU_DEP_1)
	v_add_f32_e32 v24, v22, v25
	ds_load_2addr_b32 v[22:23], v50 offset0:10 offset1:11
	s_wait_dscnt 0x2
	v_add_f32_e32 v24, v24, v26
	v_add_f32_e32 v26, v24, v27
	ds_load_2addr_b32 v[24:25], v50 offset0:12 offset1:13
	ds_load_b32 v27, v50 offset:56
	s_wait_dscnt 0x3
	v_add_f32_e32 v20, v26, v20
	s_delay_alu instid0(VALU_DEP_1) | instskip(SKIP_1) | instid1(VALU_DEP_1)
	v_add_f32_e32 v20, v20, v21
	s_wait_dscnt 0x2
	v_add_f32_e32 v20, v20, v22
	ds_load_b32 v22, v51
	v_add_f32_e32 v20, v20, v23
	s_wait_dscnt 0x2
	s_delay_alu instid0(VALU_DEP_1) | instskip(NEXT) | instid1(VALU_DEP_1)
	v_add_f32_e32 v21, v20, v24
	v_dual_add_f32 v23, v21, v25 :: v_dual_add_nc_u32 v20, s52, v32
	s_delay_alu instid0(VALU_DEP_1) | instskip(SKIP_1) | instid1(VALU_DEP_2)
	v_ashrrev_i32_e32 v21, 31, v20
	s_wait_dscnt 0x1
	v_add_f32_e32 v23, v23, v27
	s_delay_alu instid0(VALU_DEP_2) | instskip(SKIP_1) | instid1(VALU_DEP_2)
	v_lshlrev_b64_e32 v[20:21], 2, v[20:21]
	s_wait_dscnt 0x0
	v_add_f32_e32 v22, v23, v22
	s_delay_alu instid0(VALU_DEP_2) | instskip(SKIP_1) | instid1(VALU_DEP_3)
	v_add_co_u32 v20, vcc_lo, s50, v20
	s_wait_alu 0xfffd
	v_add_co_ci_u32_e64 v21, null, s51, v21, vcc_lo
	global_store_b32 v[20:21], v22, off
.LBB73_119:                             ;   in Loop: Header=BB73_69 Depth=2
	s_wait_alu 0xfffe
	s_or_b32 exec_lo, exec_lo, s18
	v_fmac_f32_e32 v107, v145, v0
	v_add_co_u32 v110, vcc_lo, v110, s20
	s_wait_alu 0xfffd
	v_add_co_ci_u32_e64 v111, null, s21, v111, vcc_lo
	s_delay_alu instid0(VALU_DEP_3) | instskip(SKIP_3) | instid1(VALU_DEP_3)
	v_fmac_f32_e32 v107, v142, v1
	v_add_co_u32 v112, vcc_lo, v112, s20
	s_wait_alu 0xfffd
	v_add_co_ci_u32_e64 v113, null, s21, v113, vcc_lo
	v_fmac_f32_e32 v107, v144, v2
	v_add_co_u32 v114, vcc_lo, v114, s20
	s_wait_alu 0xfffd
	v_add_co_ci_u32_e64 v115, null, s21, v115, vcc_lo
	s_delay_alu instid0(VALU_DEP_3) | instskip(SKIP_3) | instid1(VALU_DEP_3)
	v_fmac_f32_e32 v107, v143, v3
	v_add_co_u32 v116, vcc_lo, v116, s20
	s_wait_alu 0xfffd
	v_add_co_ci_u32_e64 v117, null, s21, v117, vcc_lo
	v_fmac_f32_e32 v107, v147, v4
	v_add_co_u32 v118, vcc_lo, v118, s20
	s_wait_alu 0xfffd
	v_add_co_ci_u32_e64 v119, null, s21, v119, vcc_lo
	s_delay_alu instid0(VALU_DEP_3) | instskip(SKIP_3) | instid1(VALU_DEP_3)
	v_fmac_f32_e32 v107, v146, v5
	v_add_co_u32 v120, vcc_lo, v120, s20
	s_wait_alu 0xfffd
	v_add_co_ci_u32_e64 v121, null, s21, v121, vcc_lo
	v_fmac_f32_e32 v107, v149, v6
	v_add_co_u32 v122, vcc_lo, v122, s20
	s_wait_alu 0xfffd
	v_add_co_ci_u32_e64 v123, null, s21, v123, vcc_lo
	s_delay_alu instid0(VALU_DEP_3) | instskip(SKIP_3) | instid1(VALU_DEP_3)
	v_fmac_f32_e32 v107, v148, v7
	v_add_co_u32 v124, vcc_lo, v124, s20
	s_wait_alu 0xfffd
	v_add_co_ci_u32_e64 v125, null, s21, v125, vcc_lo
	v_fmac_f32_e32 v107, v151, v8
	v_add_co_u32 v126, vcc_lo, v126, s20
	s_wait_alu 0xfffd
	v_add_co_ci_u32_e64 v127, null, s21, v127, vcc_lo
	s_delay_alu instid0(VALU_DEP_3) | instskip(SKIP_3) | instid1(VALU_DEP_3)
	v_fmac_f32_e32 v107, v150, v9
	v_add_co_u32 v128, vcc_lo, v128, s20
	s_wait_alu 0xfffd
	v_add_co_ci_u32_e64 v129, null, s21, v129, vcc_lo
	v_fmac_f32_e32 v107, v153, v10
	v_add_co_u32 v130, vcc_lo, v130, s20
	s_wait_alu 0xfffd
	v_add_co_ci_u32_e64 v131, null, s21, v131, vcc_lo
	s_delay_alu instid0(VALU_DEP_3) | instskip(SKIP_3) | instid1(VALU_DEP_3)
	v_fmac_f32_e32 v107, v152, v11
	v_add_co_u32 v132, vcc_lo, v132, s20
	s_wait_alu 0xfffd
	v_add_co_ci_u32_e64 v133, null, s21, v133, vcc_lo
	v_fmac_f32_e32 v107, v155, v12
	v_add_co_u32 v134, vcc_lo, v134, s20
	s_wait_alu 0xfffd
	v_add_co_ci_u32_e64 v135, null, s21, v135, vcc_lo
	s_delay_alu instid0(VALU_DEP_3) | instskip(SKIP_3) | instid1(VALU_DEP_3)
	v_fmac_f32_e32 v107, v154, v13
	v_add_co_u32 v136, vcc_lo, v136, s20
	s_wait_alu 0xfffd
	v_add_co_ci_u32_e64 v137, null, s21, v137, vcc_lo
	v_fmac_f32_e32 v107, v157, v14
	v_add_co_u32 v138, vcc_lo, v138, s20
	s_wait_alu 0xfffd
	v_add_co_ci_u32_e64 v139, null, s21, v139, vcc_lo
	v_add_co_u32 v140, vcc_lo, v140, s20
	v_fmac_f32_e32 v107, v156, v15
	s_wait_alu 0xfffd
	v_add_co_ci_u32_e64 v141, null, s21, v141, vcc_lo
	s_add_co_i32 s53, s60, 2
	s_add_co_i32 s18, s60, 1
	;; [unrolled: 1-line block ×3, first 2 shown]
	s_wait_alu 0xfffe
	s_cmp_ge_u32 s53, s36
	s_wait_loadcnt 0x0
	s_wait_storecnt 0x0
	s_barrier_signal -1
	s_barrier_wait -1
	global_inv scope:SCOPE_SE
	s_cbranch_scc1 .LBB73_121
; %bb.120:                              ;   in Loop: Header=BB73_69 Depth=2
	s_mov_b32 s60, s18
	s_wait_alu 0xfffe
	s_cmp_eq_u32 s37, s60
	s_cselect_b32 s61, s55, 0
	s_and_saveexec_b32 s18, s0
	s_cbranch_execnz .LBB73_66
	s_branch .LBB73_69
.LBB73_121:                             ;   in Loop: Header=BB73_4 Depth=1
	ds_store_b32 v67, v107
	s_wait_loadcnt_dscnt 0x0
	s_barrier_signal -1
	s_barrier_wait -1
	global_inv scope:SCOPE_SE
	s_and_saveexec_b32 s18, s58
	s_cbranch_execz .LBB73_2
; %bb.122:                              ;   in Loop: Header=BB73_4 Depth=1
	ds_load_2addr_b32 v[0:1], v33 offset1:67
	ds_load_2addr_b32 v[2:3], v33 offset0:134 offset1:201
	s_wait_dscnt 0x1
	v_add_f32_e32 v0, v0, v1
	s_wait_dscnt 0x0
	s_delay_alu instid0(VALU_DEP_1) | instskip(NEXT) | instid1(VALU_DEP_1)
	v_add_f32_e32 v0, v0, v2
	v_add_f32_e32 v2, v0, v3
	s_wait_alu 0xfffe
	v_add_co_u32 v0, vcc_lo, s50, v16
	s_wait_alu 0xfffd
	v_add_co_ci_u32_e64 v1, null, s51, v17, vcc_lo
	global_store_b32 v[0:1], v2, off
	s_branch .LBB73_2
.LBB73_123:                             ;   in Loop: Header=BB73_4 Depth=1
	ds_load_b32 v0, v104
	s_wait_dscnt 0x0
	ds_store_b32 v41, v0
	s_wait_alu 0xfffe
	s_or_b32 exec_lo, exec_lo, s18
	s_and_saveexec_b32 s18, s7
	s_cbranch_execz .LBB73_24
.LBB73_124:                             ;   in Loop: Header=BB73_4 Depth=1
	ds_load_b32 v0, v105
	s_wait_dscnt 0x0
	ds_store_b32 v41, v0 offset:4
	s_wait_alu 0xfffe
	s_or_b32 exec_lo, exec_lo, s18
	s_and_saveexec_b32 s18, s8
	s_cbranch_execz .LBB73_25
.LBB73_125:                             ;   in Loop: Header=BB73_4 Depth=1
	ds_load_b32 v0, v105 offset:132
	s_wait_dscnt 0x0
	ds_store_b32 v41, v0 offset:8
	s_wait_alu 0xfffe
	s_or_b32 exec_lo, exec_lo, s18
	s_and_saveexec_b32 s18, s9
	s_cbranch_execnz .LBB73_26
	s_branch .LBB73_27
.LBB73_126:                             ;   in Loop: Header=BB73_4 Depth=1
	ds_load_b32 v2, v104
	s_wait_dscnt 0x0
	ds_store_b32 v41, v2
	s_wait_alu 0xfffe
	s_or_b32 exec_lo, exec_lo, s18
	s_and_saveexec_b32 s18, s7
	s_cbranch_execz .LBB73_43
.LBB73_127:                             ;   in Loop: Header=BB73_4 Depth=1
	ds_load_b32 v2, v105
	s_wait_dscnt 0x0
	ds_store_b32 v41, v2 offset:4
	s_wait_alu 0xfffe
	s_or_b32 exec_lo, exec_lo, s18
	s_and_saveexec_b32 s18, s8
	s_cbranch_execz .LBB73_44
.LBB73_128:                             ;   in Loop: Header=BB73_4 Depth=1
	ds_load_b32 v2, v105 offset:132
	s_wait_dscnt 0x0
	ds_store_b32 v41, v2 offset:8
	s_wait_alu 0xfffe
	s_or_b32 exec_lo, exec_lo, s18
	s_and_saveexec_b32 s18, s9
	s_cbranch_execnz .LBB73_45
	s_branch .LBB73_46
.LBB73_129:
	s_nop 0
	s_sendmsg sendmsg(MSG_DEALLOC_VGPRS)
	s_endpgm
	.section	.rodata,"a",@progbits
	.p2align	6, 0x0
	.amdhsa_kernel _ZL26rocblas_hemvn_kernel_upperILb0ELi64ELi4ELi33ELi32ELi16ElfPKfPfEviT6_lT7_lT5_lS4_lS5_lS3_lT8_i
		.amdhsa_group_segment_fixed_size 4800
		.amdhsa_private_segment_fixed_size 0
		.amdhsa_kernarg_size 368
		.amdhsa_user_sgpr_count 2
		.amdhsa_user_sgpr_dispatch_ptr 0
		.amdhsa_user_sgpr_queue_ptr 0
		.amdhsa_user_sgpr_kernarg_segment_ptr 1
		.amdhsa_user_sgpr_dispatch_id 0
		.amdhsa_user_sgpr_private_segment_size 0
		.amdhsa_wavefront_size32 1
		.amdhsa_uses_dynamic_stack 0
		.amdhsa_enable_private_segment 0
		.amdhsa_system_sgpr_workgroup_id_x 1
		.amdhsa_system_sgpr_workgroup_id_y 0
		.amdhsa_system_sgpr_workgroup_id_z 1
		.amdhsa_system_sgpr_workgroup_info 0
		.amdhsa_system_vgpr_workitem_id 1
		.amdhsa_next_free_vgpr 162
		.amdhsa_next_free_sgpr 66
		.amdhsa_reserve_vcc 1
		.amdhsa_float_round_mode_32 0
		.amdhsa_float_round_mode_16_64 0
		.amdhsa_float_denorm_mode_32 3
		.amdhsa_float_denorm_mode_16_64 3
		.amdhsa_fp16_overflow 0
		.amdhsa_workgroup_processor_mode 1
		.amdhsa_memory_ordered 1
		.amdhsa_forward_progress 1
		.amdhsa_inst_pref_size 72
		.amdhsa_round_robin_scheduling 0
		.amdhsa_exception_fp_ieee_invalid_op 0
		.amdhsa_exception_fp_denorm_src 0
		.amdhsa_exception_fp_ieee_div_zero 0
		.amdhsa_exception_fp_ieee_overflow 0
		.amdhsa_exception_fp_ieee_underflow 0
		.amdhsa_exception_fp_ieee_inexact 0
		.amdhsa_exception_int_div_zero 0
	.end_amdhsa_kernel
	.section	.text._ZL26rocblas_hemvn_kernel_upperILb0ELi64ELi4ELi33ELi32ELi16ElfPKfPfEviT6_lT7_lT5_lS4_lS5_lS3_lT8_i,"axG",@progbits,_ZL26rocblas_hemvn_kernel_upperILb0ELi64ELi4ELi33ELi32ELi16ElfPKfPfEviT6_lT7_lT5_lS4_lS5_lS3_lT8_i,comdat
.Lfunc_end73:
	.size	_ZL26rocblas_hemvn_kernel_upperILb0ELi64ELi4ELi33ELi32ELi16ElfPKfPfEviT6_lT7_lT5_lS4_lS5_lS3_lT8_i, .Lfunc_end73-_ZL26rocblas_hemvn_kernel_upperILb0ELi64ELi4ELi33ELi32ELi16ElfPKfPfEviT6_lT7_lT5_lS4_lS5_lS3_lT8_i
                                        ; -- End function
	.set _ZL26rocblas_hemvn_kernel_upperILb0ELi64ELi4ELi33ELi32ELi16ElfPKfPfEviT6_lT7_lT5_lS4_lS5_lS3_lT8_i.num_vgpr, 162
	.set _ZL26rocblas_hemvn_kernel_upperILb0ELi64ELi4ELi33ELi32ELi16ElfPKfPfEviT6_lT7_lT5_lS4_lS5_lS3_lT8_i.num_agpr, 0
	.set _ZL26rocblas_hemvn_kernel_upperILb0ELi64ELi4ELi33ELi32ELi16ElfPKfPfEviT6_lT7_lT5_lS4_lS5_lS3_lT8_i.numbered_sgpr, 66
	.set _ZL26rocblas_hemvn_kernel_upperILb0ELi64ELi4ELi33ELi32ELi16ElfPKfPfEviT6_lT7_lT5_lS4_lS5_lS3_lT8_i.num_named_barrier, 0
	.set _ZL26rocblas_hemvn_kernel_upperILb0ELi64ELi4ELi33ELi32ELi16ElfPKfPfEviT6_lT7_lT5_lS4_lS5_lS3_lT8_i.private_seg_size, 0
	.set _ZL26rocblas_hemvn_kernel_upperILb0ELi64ELi4ELi33ELi32ELi16ElfPKfPfEviT6_lT7_lT5_lS4_lS5_lS3_lT8_i.uses_vcc, 1
	.set _ZL26rocblas_hemvn_kernel_upperILb0ELi64ELi4ELi33ELi32ELi16ElfPKfPfEviT6_lT7_lT5_lS4_lS5_lS3_lT8_i.uses_flat_scratch, 0
	.set _ZL26rocblas_hemvn_kernel_upperILb0ELi64ELi4ELi33ELi32ELi16ElfPKfPfEviT6_lT7_lT5_lS4_lS5_lS3_lT8_i.has_dyn_sized_stack, 0
	.set _ZL26rocblas_hemvn_kernel_upperILb0ELi64ELi4ELi33ELi32ELi16ElfPKfPfEviT6_lT7_lT5_lS4_lS5_lS3_lT8_i.has_recursion, 0
	.set _ZL26rocblas_hemvn_kernel_upperILb0ELi64ELi4ELi33ELi32ELi16ElfPKfPfEviT6_lT7_lT5_lS4_lS5_lS3_lT8_i.has_indirect_call, 0
	.section	.AMDGPU.csdata,"",@progbits
; Kernel info:
; codeLenInByte = 9156
; TotalNumSgprs: 68
; NumVgprs: 162
; ScratchSize: 0
; MemoryBound: 0
; FloatMode: 240
; IeeeMode: 1
; LDSByteSize: 4800 bytes/workgroup (compile time only)
; SGPRBlocks: 0
; VGPRBlocks: 20
; NumSGPRsForWavesPerEU: 68
; NumVGPRsForWavesPerEU: 162
; Occupancy: 9
; WaveLimiterHint : 0
; COMPUTE_PGM_RSRC2:SCRATCH_EN: 0
; COMPUTE_PGM_RSRC2:USER_SGPR: 2
; COMPUTE_PGM_RSRC2:TRAP_HANDLER: 0
; COMPUTE_PGM_RSRC2:TGID_X_EN: 1
; COMPUTE_PGM_RSRC2:TGID_Y_EN: 0
; COMPUTE_PGM_RSRC2:TGID_Z_EN: 1
; COMPUTE_PGM_RSRC2:TIDIG_COMP_CNT: 1
	.section	.text._ZL36rocblas_hemvn_kernel_upper_block_sumILi64ElfPffEviT1_lS1_lT2_lT0_lPT3_i,"axG",@progbits,_ZL36rocblas_hemvn_kernel_upper_block_sumILi64ElfPffEviT1_lS1_lT2_lT0_lPT3_i,comdat
	.globl	_ZL36rocblas_hemvn_kernel_upper_block_sumILi64ElfPffEviT1_lS1_lT2_lT0_lPT3_i ; -- Begin function _ZL36rocblas_hemvn_kernel_upper_block_sumILi64ElfPffEviT1_lS1_lT2_lT0_lPT3_i
	.p2align	8
	.type	_ZL36rocblas_hemvn_kernel_upper_block_sumILi64ElfPffEviT1_lS1_lT2_lT0_lPT3_i,@function
_ZL36rocblas_hemvn_kernel_upper_block_sumILi64ElfPffEviT1_lS1_lT2_lT0_lPT3_i: ; @_ZL36rocblas_hemvn_kernel_upper_block_sumILi64ElfPffEviT1_lS1_lT2_lT0_lPT3_i
; %bb.0:
	s_load_b32 s3, s[0:1], 0x48
	s_lshr_b32 s12, ttmp7, 16
	s_wait_kmcnt 0x0
	s_cmp_ge_u32 s12, s3
	s_cbranch_scc1 .LBB74_25
; %bb.1:
	s_clause 0x2
	s_load_b256 s[4:11], s[0:1], 0x28
	s_load_b64 s[14:15], s[0:1], 0x0
	s_load_b32 s16, s[0:1], 0x10
	v_lshl_or_b32 v0, ttmp9, 6, v0
	s_load_b64 s[20:21], s[0:1], 0x20
	s_mov_b32 s13, 0
	s_add_nc_u64 s[0:1], s[0:1], 0x50
	s_delay_alu instid0(VALU_DEP_1) | instskip(NEXT) | instid1(VALU_DEP_1)
	v_ashrrev_i32_e32 v1, 31, v0
	v_lshlrev_b64_e32 v[2:3], 2, v[0:1]
	s_wait_kmcnt 0x0
	s_lshl_b64 s[4:5], s[4:5], 2
	s_cmp_eq_f32 s15, 0
	v_mul_lo_u32 v6, s6, v1
	v_mul_lo_u32 v7, s7, v0
	v_mad_co_u64_u32 v[4:5], null, s6, v0, 0
	s_cselect_b32 s17, -1, 0
	s_cmp_neq_f32 s15, 0
	v_cmp_gt_i32_e64 s2, s14, v0
	v_add_co_u32 v0, vcc_lo, s10, v2
	s_cselect_b32 s18, -1, 0
	s_cmp_neq_f32 s16, 1.0
	v_add3_u32 v5, v5, v6, v7
	v_add_co_ci_u32_e64 v1, null, s11, v3, vcc_lo
	s_cselect_b32 s7, -1, 0
	s_add_nc_u64 s[4:5], s[20:21], s[4:5]
	s_wait_alu 0xfffe
	s_or_b32 s18, s18, s7
	s_cmp_neq_f32 s16, 0
	v_lshlrev_b64_e32 v[2:3], 2, v[4:5]
	s_mov_b32 s6, s14
	s_cselect_b32 s19, -1, 0
	s_cmp_eq_f32 s16, 0
	s_cselect_b32 s20, -1, 0
	s_ashr_i32 s7, s14, 31
	s_cmp_gt_i32 ttmp9, -1
	s_cselect_b32 s14, -1, 0
	s_add_co_i32 s21, ttmp9, 1
	s_wait_alu 0xfffe
	s_lshl_b64 s[6:7], s[6:7], 2
	s_branch .LBB74_4
.LBB74_2:                               ;   in Loop: Header=BB74_4 Depth=1
	s_or_b32 exec_lo, exec_lo, s23
.LBB74_3:                               ;   in Loop: Header=BB74_4 Depth=1
	s_add_co_i32 s12, s12, 0x10000
	s_wait_alu 0xfffe
	s_cmp_lt_u32 s12, s3
	s_cbranch_scc0 .LBB74_25
.LBB74_4:                               ; =>This Loop Header: Depth=1
                                        ;     Child Loop BB74_16 Depth 2
	s_and_not1_b32 vcc_lo, exec_lo, s18
	s_wait_alu 0xfffe
	s_cbranch_vccnz .LBB74_3
; %bb.5:                                ;   in Loop: Header=BB74_4 Depth=1
	s_mul_u64 s[10:11], s[8:9], s[12:13]
	s_and_not1_b32 vcc_lo, exec_lo, s17
	s_wait_alu 0xfffe
	s_lshl_b64 s[10:11], s[10:11], 2
	s_wait_alu 0xfffe
	s_add_nc_u64 s[10:11], s[4:5], s[10:11]
	s_cbranch_vccnz .LBB74_9
; %bb.6:                                ;   in Loop: Header=BB74_4 Depth=1
	s_mov_b32 s23, 0
	s_mov_b32 s22, 0
                                        ; implicit-def: $vgpr4
	s_and_saveexec_b32 s24, s2
	s_cbranch_execz .LBB74_10
; %bb.7:                                ;   in Loop: Header=BB74_4 Depth=1
	s_and_not1_b32 vcc_lo, exec_lo, s19
	s_wait_alu 0xfffe
	s_cbranch_vccnz .LBB74_11
; %bb.8:                                ;   in Loop: Header=BB74_4 Depth=1
	v_add_co_u32 v4, vcc_lo, s10, v2
	s_wait_alu 0xfffd
	v_add_co_ci_u32_e64 v5, null, s11, v3, vcc_lo
	global_load_b32 v4, v[4:5], off
	s_wait_loadcnt 0x0
	v_mul_f32_e32 v4, s16, v4
	s_branch .LBB74_12
.LBB74_9:                               ;   in Loop: Header=BB74_4 Depth=1
	s_mov_b32 s22, 0
                                        ; implicit-def: $vgpr4
	s_cbranch_execnz .LBB74_13
	s_branch .LBB74_23
.LBB74_10:                              ;   in Loop: Header=BB74_4 Depth=1
	s_wait_alu 0xfffe
	s_or_b32 exec_lo, exec_lo, s24
	s_delay_alu instid0(SALU_CYCLE_1)
	s_and_b32 vcc_lo, exec_lo, s23
	s_wait_alu 0xfffe
	s_cbranch_vccnz .LBB74_13
	s_branch .LBB74_23
.LBB74_11:                              ;   in Loop: Header=BB74_4 Depth=1
	v_mov_b32_e32 v4, 0
.LBB74_12:                              ;   in Loop: Header=BB74_4 Depth=1
	s_mov_b32 s22, exec_lo
	s_or_b32 exec_lo, exec_lo, s24
	s_delay_alu instid0(SALU_CYCLE_1)
	s_and_b32 vcc_lo, exec_lo, s23
	s_wait_alu 0xfffe
	s_cbranch_vccz .LBB74_23
.LBB74_13:                              ;   in Loop: Header=BB74_4 Depth=1
                                        ; implicit-def: $vgpr4
	s_and_saveexec_b32 s23, s2
	s_cbranch_execz .LBB74_22
; %bb.14:                               ;   in Loop: Header=BB74_4 Depth=1
	v_mov_b32_e32 v6, 0
	s_and_not1_b32 vcc_lo, exec_lo, s14
	s_wait_alu 0xfffe
	s_cbranch_vccnz .LBB74_17
; %bb.15:                               ;   in Loop: Header=BB74_4 Depth=1
	s_load_b32 s24, s[0:1], 0x0
	s_mov_b32 s25, s13
	s_wait_kmcnt 0x0
	s_wait_alu 0xfffe
	s_mul_u64 s[24:25], s[6:7], s[24:25]
	s_wait_alu 0xfffe
	v_mad_co_u64_u32 v[4:5], null, s24, s12, v[0:1]
	s_mov_b32 s24, s21
	v_mad_co_u64_u32 v[5:6], null, s25, s12, v[5:6]
	v_mov_b32_e32 v6, 0
.LBB74_16:                              ;   Parent Loop BB74_4 Depth=1
                                        ; =>  This Inner Loop Header: Depth=2
	global_load_b32 v7, v[4:5], off
	v_add_co_u32 v4, vcc_lo, v4, s6
	s_wait_alu 0xfffd
	v_add_co_ci_u32_e64 v5, null, s7, v5, vcc_lo
	s_wait_alu 0xfffe
	s_add_co_i32 s24, s24, -1
	s_wait_alu 0xfffe
	s_cmp_eq_u32 s24, 0
	s_wait_loadcnt 0x0
	v_add_f32_e32 v6, v6, v7
	s_cbranch_scc0 .LBB74_16
.LBB74_17:                              ;   in Loop: Header=BB74_4 Depth=1
	s_and_b32 vcc_lo, exec_lo, s20
	s_mov_b32 s24, -1
                                        ; implicit-def: $vgpr4
	s_wait_alu 0xfffe
	s_cbranch_vccz .LBB74_19
; %bb.18:                               ;   in Loop: Header=BB74_4 Depth=1
	v_mul_f32_e32 v4, s15, v6
	s_mov_b32 s24, 0
.LBB74_19:                              ;   in Loop: Header=BB74_4 Depth=1
	s_wait_alu 0xfffe
	s_and_not1_b32 vcc_lo, exec_lo, s24
	s_wait_alu 0xfffe
	s_cbranch_vccnz .LBB74_21
; %bb.20:                               ;   in Loop: Header=BB74_4 Depth=1
	v_add_co_u32 v4, vcc_lo, s10, v2
	s_wait_alu 0xfffd
	v_add_co_ci_u32_e64 v5, null, s11, v3, vcc_lo
	global_load_b32 v4, v[4:5], off
	s_wait_loadcnt 0x0
	v_mul_f32_e32 v4, s16, v4
	s_delay_alu instid0(VALU_DEP_1)
	v_fmac_f32_e32 v4, s15, v6
.LBB74_21:                              ;   in Loop: Header=BB74_4 Depth=1
	s_or_b32 s22, s22, exec_lo
.LBB74_22:                              ;   in Loop: Header=BB74_4 Depth=1
	s_or_b32 exec_lo, exec_lo, s23
.LBB74_23:                              ;   in Loop: Header=BB74_4 Depth=1
	s_and_saveexec_b32 s23, s22
	s_cbranch_execz .LBB74_2
; %bb.24:                               ;   in Loop: Header=BB74_4 Depth=1
	s_wait_alu 0xfffe
	v_add_co_u32 v5, vcc_lo, s10, v2
	s_wait_alu 0xfffd
	v_add_co_ci_u32_e64 v6, null, s11, v3, vcc_lo
	global_store_b32 v[5:6], v4, off
	s_branch .LBB74_2
.LBB74_25:
	s_endpgm
	.section	.rodata,"a",@progbits
	.p2align	6, 0x0
	.amdhsa_kernel _ZL36rocblas_hemvn_kernel_upper_block_sumILi64ElfPffEviT1_lS1_lT2_lT0_lPT3_i
		.amdhsa_group_segment_fixed_size 0
		.amdhsa_private_segment_fixed_size 0
		.amdhsa_kernarg_size 336
		.amdhsa_user_sgpr_count 2
		.amdhsa_user_sgpr_dispatch_ptr 0
		.amdhsa_user_sgpr_queue_ptr 0
		.amdhsa_user_sgpr_kernarg_segment_ptr 1
		.amdhsa_user_sgpr_dispatch_id 0
		.amdhsa_user_sgpr_private_segment_size 0
		.amdhsa_wavefront_size32 1
		.amdhsa_uses_dynamic_stack 0
		.amdhsa_enable_private_segment 0
		.amdhsa_system_sgpr_workgroup_id_x 1
		.amdhsa_system_sgpr_workgroup_id_y 0
		.amdhsa_system_sgpr_workgroup_id_z 1
		.amdhsa_system_sgpr_workgroup_info 0
		.amdhsa_system_vgpr_workitem_id 0
		.amdhsa_next_free_vgpr 8
		.amdhsa_next_free_sgpr 26
		.amdhsa_reserve_vcc 1
		.amdhsa_float_round_mode_32 0
		.amdhsa_float_round_mode_16_64 0
		.amdhsa_float_denorm_mode_32 3
		.amdhsa_float_denorm_mode_16_64 3
		.amdhsa_fp16_overflow 0
		.amdhsa_workgroup_processor_mode 1
		.amdhsa_memory_ordered 1
		.amdhsa_forward_progress 1
		.amdhsa_inst_pref_size 6
		.amdhsa_round_robin_scheduling 0
		.amdhsa_exception_fp_ieee_invalid_op 0
		.amdhsa_exception_fp_denorm_src 0
		.amdhsa_exception_fp_ieee_div_zero 0
		.amdhsa_exception_fp_ieee_overflow 0
		.amdhsa_exception_fp_ieee_underflow 0
		.amdhsa_exception_fp_ieee_inexact 0
		.amdhsa_exception_int_div_zero 0
	.end_amdhsa_kernel
	.section	.text._ZL36rocblas_hemvn_kernel_upper_block_sumILi64ElfPffEviT1_lS1_lT2_lT0_lPT3_i,"axG",@progbits,_ZL36rocblas_hemvn_kernel_upper_block_sumILi64ElfPffEviT1_lS1_lT2_lT0_lPT3_i,comdat
.Lfunc_end74:
	.size	_ZL36rocblas_hemvn_kernel_upper_block_sumILi64ElfPffEviT1_lS1_lT2_lT0_lPT3_i, .Lfunc_end74-_ZL36rocblas_hemvn_kernel_upper_block_sumILi64ElfPffEviT1_lS1_lT2_lT0_lPT3_i
                                        ; -- End function
	.set _ZL36rocblas_hemvn_kernel_upper_block_sumILi64ElfPffEviT1_lS1_lT2_lT0_lPT3_i.num_vgpr, 8
	.set _ZL36rocblas_hemvn_kernel_upper_block_sumILi64ElfPffEviT1_lS1_lT2_lT0_lPT3_i.num_agpr, 0
	.set _ZL36rocblas_hemvn_kernel_upper_block_sumILi64ElfPffEviT1_lS1_lT2_lT0_lPT3_i.numbered_sgpr, 26
	.set _ZL36rocblas_hemvn_kernel_upper_block_sumILi64ElfPffEviT1_lS1_lT2_lT0_lPT3_i.num_named_barrier, 0
	.set _ZL36rocblas_hemvn_kernel_upper_block_sumILi64ElfPffEviT1_lS1_lT2_lT0_lPT3_i.private_seg_size, 0
	.set _ZL36rocblas_hemvn_kernel_upper_block_sumILi64ElfPffEviT1_lS1_lT2_lT0_lPT3_i.uses_vcc, 1
	.set _ZL36rocblas_hemvn_kernel_upper_block_sumILi64ElfPffEviT1_lS1_lT2_lT0_lPT3_i.uses_flat_scratch, 0
	.set _ZL36rocblas_hemvn_kernel_upper_block_sumILi64ElfPffEviT1_lS1_lT2_lT0_lPT3_i.has_dyn_sized_stack, 0
	.set _ZL36rocblas_hemvn_kernel_upper_block_sumILi64ElfPffEviT1_lS1_lT2_lT0_lPT3_i.has_recursion, 0
	.set _ZL36rocblas_hemvn_kernel_upper_block_sumILi64ElfPffEviT1_lS1_lT2_lT0_lPT3_i.has_indirect_call, 0
	.section	.AMDGPU.csdata,"",@progbits
; Kernel info:
; codeLenInByte = 732
; TotalNumSgprs: 28
; NumVgprs: 8
; ScratchSize: 0
; MemoryBound: 0
; FloatMode: 240
; IeeeMode: 1
; LDSByteSize: 0 bytes/workgroup (compile time only)
; SGPRBlocks: 0
; VGPRBlocks: 0
; NumSGPRsForWavesPerEU: 28
; NumVGPRsForWavesPerEU: 8
; Occupancy: 16
; WaveLimiterHint : 0
; COMPUTE_PGM_RSRC2:SCRATCH_EN: 0
; COMPUTE_PGM_RSRC2:USER_SGPR: 2
; COMPUTE_PGM_RSRC2:TRAP_HANDLER: 0
; COMPUTE_PGM_RSRC2:TGID_X_EN: 1
; COMPUTE_PGM_RSRC2:TGID_Y_EN: 0
; COMPUTE_PGM_RSRC2:TGID_Z_EN: 1
; COMPUTE_PGM_RSRC2:TIDIG_COMP_CNT: 0
	.section	.text._ZL26rocblas_hemvn_kernel_upperILb0ELi64ELi4ELi33ELi32ELi16EifPKfPfEviT6_lT7_lT5_lS4_lS5_lS3_lT8_i,"axG",@progbits,_ZL26rocblas_hemvn_kernel_upperILb0ELi64ELi4ELi33ELi32ELi16EifPKfPfEviT6_lT7_lT5_lS4_lS5_lS3_lT8_i,comdat
	.globl	_ZL26rocblas_hemvn_kernel_upperILb0ELi64ELi4ELi33ELi32ELi16EifPKfPfEviT6_lT7_lT5_lS4_lS5_lS3_lT8_i ; -- Begin function _ZL26rocblas_hemvn_kernel_upperILb0ELi64ELi4ELi33ELi32ELi16EifPKfPfEviT6_lT7_lT5_lS4_lS5_lS3_lT8_i
	.p2align	8
	.type	_ZL26rocblas_hemvn_kernel_upperILb0ELi64ELi4ELi33ELi32ELi16EifPKfPfEviT6_lT7_lT5_lS4_lS5_lS3_lT8_i,@function
_ZL26rocblas_hemvn_kernel_upperILb0ELi64ELi4ELi33ELi32ELi16EifPKfPfEviT6_lT7_lT5_lS4_lS5_lS3_lT8_i: ; @_ZL26rocblas_hemvn_kernel_upperILb0ELi64ELi4ELi33ELi32ELi16EifPKfPfEviT6_lT7_lT5_lS4_lS5_lS3_lT8_i
; %bb.0:
	s_clause 0x1
	s_load_b64 s[2:3], s[0:1], 0x7c
	s_load_b32 s19, s[0:1], 0x68
	s_lshr_b32 s28, ttmp7, 16
	s_wait_kmcnt 0x0
	s_lshr_b32 s4, s2, 16
	s_and_b32 s2, s2, 0xffff
	s_and_b32 s3, s3, 0xffff
	s_mul_i32 s2, s4, s2
	s_delay_alu instid0(SALU_CYCLE_1) | instskip(NEXT) | instid1(SALU_CYCLE_1)
	s_mul_i32 s2, s2, s3
	s_cmp_lg_u32 s2, 0x100
	s_cselect_b32 s2, -1, 0
	s_cmp_ge_u32 s28, s19
	s_cselect_b32 s3, -1, 0
	s_delay_alu instid0(SALU_CYCLE_1) | instskip(NEXT) | instid1(SALU_CYCLE_1)
	s_or_b32 s2, s2, s3
	s_and_b32 vcc_lo, exec_lo, s2
	s_cbranch_vccnz .LBB75_129
; %bb.1:
	s_clause 0x4
	s_load_b32 s72, s[0:1], 0x20
	s_load_b96 s[16:18], s[0:1], 0x38
	s_load_b128 s[4:7], s[0:1], 0x10
	s_load_b96 s[24:26], s[0:1], 0x48
	s_load_b64 s[8:9], s[0:1], 0x0
	s_add_nc_u64 s[12:13], s[0:1], 0x70
	s_clause 0x1
	s_load_b128 s[20:23], s[0:1], 0x28
	s_load_b64 s[10:11], s[0:1], 0x60
	s_load_b32 s30, s[12:13], 0x0
	v_and_b32_e32 v16, 0x3ff, v0
	v_bfe_u32 v10, v0, 10, 10
	v_and_b32_e32 v1, 31, v0
	s_mov_b32 s2, ttmp9
	s_mov_b32 s29, 0
	v_lshlrev_b32_e32 v35, 2, v16
	v_lshl_add_u32 v11, v10, 6, v16
	v_lshlrev_b32_e32 v14, 2, v1
	v_lshlrev_b32_e32 v46, 2, v10
	v_mul_u32_u24_e32 v21, 33, v1
	v_cmp_eq_u32_e64 s0, 0, v10
	v_lshrrev_b32_e32 v8, 5, v11
	s_wait_kmcnt 0x0
	s_ashr_i32 s73, s72, 31
	s_lshl_b64 s[12:13], s[16:17], 2
	s_lshl_b64 s[6:7], s[6:7], 2
	s_cmp_neq_f32 s26, 1.0
	v_mad_co_u64_u32 v[2:3], null, s72, v8, v[1:2]
	s_add_nc_u64 s[12:13], s[22:23], s[12:13]
	s_cselect_b32 s1, -1, 0
	s_cmp_neq_f32 s9, 0
	s_add_nc_u64 s[4:5], s[4:5], s[6:7]
	v_lshl_or_b32 v42, v1, 7, v14
	v_lshlrev_b32_e32 v17, 4, v8
	s_cselect_b32 s3, -1, 0
	s_lshl_b32 s40, ttmp9, 6
	s_ashr_i32 s9, s8, 31
	v_add_nc_u32_e32 v4, s40, v16
	s_lshr_b32 s14, s9, 26
	s_add_co_i32 s15, s30, -1
	s_add_co_i32 s14, s8, s14
	s_or_b32 s33, s3, s1
	v_mul_lo_u32 v5, s18, v4
	s_and_not1_b32 s14, s14, 63
	v_ashrrev_i32_e32 v3, 31, v2
	s_sub_co_i32 s84, s8, s14
	s_cmp_eq_u32 ttmp9, s15
	v_cndmask_b32_e64 v36, 0, 1, s3
	s_cselect_b32 s22, s84, 0
	v_lshlrev_b64_e32 v[2:3], 2, v[2:3]
	s_cmp_lg_u32 s22, 0
	v_ashrrev_i32_e32 v6, 31, v5
	s_cselect_b32 s85, -1, 0
	s_cmp_eq_u32 s22, 0
	v_cmp_gt_i32_e32 vcc_lo, s22, v16
	s_cselect_b32 s1, -1, 0
	s_ashr_i32 s3, ttmp9, 31
	v_lshlrev_b64_e32 v[5:6], 2, v[5:6]
	s_wait_alu 0xfffe
	s_mul_u64 s[2:3], s[8:9], s[2:3]
	s_ashr_i32 s41, s40, 31
	s_wait_alu 0xfffe
	s_lshl_b64 s[2:3], s[2:3], 2
	s_or_b32 s86, s1, vcc_lo
	s_wait_alu 0xfffe
	s_add_nc_u64 s[34:35], s[10:11], s[2:3]
	s_lshl_b64 s[2:3], s[40:41], 2
	v_add_co_u32 v37, vcc_lo, s12, v5
	s_wait_alu 0xfffe
	s_add_nc_u64 s[2:3], s[4:5], s[2:3]
	s_mul_i32 s6, s72, s40
	v_add_co_ci_u32_e64 v38, null, s13, v6, vcc_lo
	s_wait_alu 0xfffe
	v_add_co_u32 v5, vcc_lo, s2, v2
	s_ashr_i32 s7, s6, 31
	s_wait_alu 0xfffd
	v_add_co_ci_u32_e64 v6, null, s3, v3, vcc_lo
	s_lshl_b64 s[2:3], s[6:7], 2
	v_add_nc_u32_e32 v9, 16, v8
	v_add_nc_u32_e32 v43, v42, v17
	;; [unrolled: 1-line block ×3, first 2 shown]
	v_or_b32_e32 v17, 32, v1
	s_wait_alu 0xfffe
	v_add_co_u32 v40, vcc_lo, v5, s2
	v_add_nc_u32_e32 v5, 8, v8
	v_add_nc_u32_e32 v12, 24, v8
	s_wait_alu 0xfffd
	v_add_co_ci_u32_e64 v41, null, s3, v6, vcc_lo
	v_sub_co_u32 v6, s2, 0, v1
	s_sub_co_i32 s15, s22, 32
	v_sub_co_ci_u32_e64 v7, null, 0, 0, s2
	v_cmp_gt_i32_e64 s2, s22, v8
	v_mul_u32_u24_e32 v15, 0x84, v8
	v_cmp_gt_i32_e64 s4, s22, v9
	v_lshlrev_b32_e32 v13, 2, v8
	v_mul_u32_u24_e32 v22, 0x210, v8
	v_cmp_gt_i32_e64 s12, s15, v8
	v_cmp_gt_i32_e64 s14, s15, v9
	v_cmp_eq_u32_e64 s16, 1, v8
	v_mul_i32_i24_e32 v24, -12, v8
	v_mad_co_u64_u32 v[8:9], null, s72, v46, v[16:17]
	v_cmp_gt_i32_e64 s5, s22, v12
	v_cmp_gt_i32_e64 s13, s15, v5
	v_cmp_gt_i32_e64 s15, s15, v12
	v_lshrrev_b32_e32 v12, 2, v11
	v_cmp_gt_i32_e64 s3, s22, v5
	v_and_b32_e32 v5, 15, v0
	v_ashrrev_i32_e32 v9, 31, v8
	s_lshl_b32 s56, s72, 5
	v_and_b32_e32 v12, 0x1ffc, v12
	v_sub_co_u32 v72, vcc_lo, 0, v2
	s_ashr_i32 s57, s56, 31
	s_wait_alu 0xfffd
	v_sub_co_ci_u32_e64 v73, null, 0, v3, vcc_lo
	v_mad_u32_u24 v50, 0x10c, v5, v12
	v_add_co_u32 v12, vcc_lo, s56, v8
	v_cmp_gt_u32_e64 s6, v13, v1
	v_or_b32_e32 v18, 1, v13
	v_or_b32_e32 v19, 2, v13
	;; [unrolled: 1-line block ×3, first 2 shown]
	v_cmp_ge_u32_e64 s7, v13, v1
	v_lshl_add_u32 v45, v21, 2, v13
	v_add_nc_u32_e32 v69, v42, v13
	v_add_nc_u32_e32 v70, 0x11c0, v13
	s_wait_alu 0xfffd
	v_add_co_ci_u32_e64 v13, null, s57, v9, vcc_lo
	v_cmp_gt_u32_e64 s10, 32, v11
	v_lshl_add_u32 v48, v10, 4, 0x10c0
	v_mad_u32_u24 v49, 0x430, v10, v35
	v_and_b32_e32 v26, 0x7ff0, v11
	v_cmp_gt_u32_e64 s17, 64, v11
	v_mad_u32_u24 v68, 0x10c, v10, v35
	v_lshlrev_b64_e32 v[10:11], 2, v[8:9]
	v_lshlrev_b64_e32 v[12:13], 2, v[12:13]
	s_lshl_b32 s36, s72, 3
	s_lshl_b32 s74, s72, 4
	s_mul_i32 s38, s72, 24
	s_mul_i32 s40, s18, s40
	s_add_co_i32 s44, ttmp9, 1
	s_ashr_i32 s23, s22, 31
	s_ashr_i32 s37, s36, 31
	;; [unrolled: 1-line block ×4, first 2 shown]
	s_wait_alu 0xfffe
	s_ashr_i32 s41, s40, 31
	s_mov_b32 s31, s29
	s_cmp_lt_u32 s44, s30
	s_mul_u64 s[82:83], s[72:73], 12
	v_sub_co_u32 v74, vcc_lo, v10, v2
	s_mul_u64 s[26:27], s[30:31], s[8:9]
	s_cselect_b32 s31, -1, 0
	s_lshl_b64 s[46:47], s[56:57], 2
	s_wait_alu 0xfffd
	v_sub_co_ci_u32_e64 v75, null, v11, v3, vcc_lo
	v_add_co_u32 v76, vcc_lo, s82, v12
	s_add_nc_u64 s[56:57], s[56:57], s[74:75]
	v_and_b32_e32 v0, 48, v0
	s_wait_alu 0xfffd
	v_add_co_ci_u32_e64 v77, null, s83, v13, vcc_lo
	s_wait_alu 0xfffe
	v_add_co_u32 v2, vcc_lo, s56, v8
	s_add_nc_u64 s[98:99], s[72:73], s[74:75]
	v_cmp_gt_u32_e64 s8, v19, v1
	v_cmp_gt_u32_e64 s9, v20, v1
	s_wait_alu 0xfffd
	v_add_co_ci_u32_e64 v3, null, s57, v9, vcc_lo
	v_mad_co_u64_u32 v[19:20], null, s98, 12, v[12:13]
	v_lshlrev_b32_e32 v0, 2, v0
	s_delay_alu instid0(VALU_DEP_3)
	v_lshlrev_b64_e32 v[2:3], 2, v[2:3]
	v_cmp_gt_i32_e64 s11, s22, v17
	v_mul_u32_u24_e32 v23, 0x84, v18
	s_lshl_b64 s[96:97], s[74:75], 3
	v_mad_u32_u24 v51, 0x10c, v5, v0
	v_mov_b32_e32 v0, v20
	v_add_co_u32 v78, vcc_lo, s82, v2
	s_wait_alu 0xfffd
	v_add_co_ci_u32_e64 v79, null, s83, v3, vcc_lo
	s_delay_alu instid0(VALU_DEP_3)
	v_mad_co_u64_u32 v[2:3], null, s99, 12, v[0:1]
	s_lshl_b32 s50, s72, 1
	s_add_nc_u64 s[82:83], s[82:83], s[96:97]
	s_ashr_i32 s51, s50, 31
	s_mul_i32 s54, s72, 3
	s_lshl_b64 s[76:77], s[72:73], 2
	s_wait_alu 0xfffe
	v_add_co_u32 v80, vcc_lo, s82, v12
	v_mov_b32_e32 v90, v2
	v_or_b32_e32 v17, 60, v35
	s_ashr_i32 s55, s54, 31
	s_lshl_b64 s[92:93], s[50:51], 2
	s_wait_alu 0xfffd
	v_add_co_ci_u32_e64 v81, null, s83, v13, vcc_lo
	v_mad_u32_u24 v52, 0x10c, v5, v17
	v_mad_co_i64_i32 v[17:18], null, s74, 12, v[12:13]
	s_lshl_b32 s88, s18, 6
	v_mul_u32_u24_e32 v25, 0x10c, v5
	v_ashrrev_i32_e32 v5, 31, v4
	s_mul_i32 s18, s18, s44
	s_lshl_b64 s[44:45], s[74:75], 4
	s_lshl_b64 s[80:81], s[72:73], 3
	v_add_co_u32 v82, vcc_lo, v17, s76
	s_lshl_b64 s[94:95], s[54:55], 2
	s_lshl_b64 s[54:55], s[74:75], 2
	s_mul_u64 s[74:75], s[74:75], 12
	s_wait_alu 0xfffd
	v_add_co_ci_u32_e64 v83, null, s77, v18, vcc_lo
	v_add_co_u32 v84, vcc_lo, v17, s92
	s_wait_alu 0xfffd
	v_add_co_ci_u32_e64 v85, null, s93, v18, vcc_lo
	v_add_co_u32 v86, vcc_lo, v17, s94
	s_wait_alu 0xfffe
	s_add_nc_u64 s[74:75], s[74:75], s[80:81]
	s_wait_alu 0xfffd
	v_add_co_ci_u32_e64 v87, null, s95, v18, vcc_lo
	s_wait_alu 0xfffe
	v_add_co_u32 v88, vcc_lo, s74, v12
	v_lshlrev_b64_e32 v[20:21], 2, v[6:7]
	v_add_nc_u32_e32 v92, v14, v22
	v_add_nc_u32_e32 v93, v14, v23
	v_lshlrev_b64_e32 v[22:23], 2, v[4:5]
	v_add_nc_u32_e32 v39, 0x11c0, v35
	v_cmp_gt_i32_e64 s1, s22, v1
	v_add_nc_u32_e32 v47, 0x10c0, v35
	v_or_b32_e32 v53, 1, v46
	v_or_b32_e32 v54, 2, v46
	;; [unrolled: 1-line block ×3, first 2 shown]
	v_add_nc_u32_e32 v56, 16, v46
	v_add_nc_u32_e32 v57, 17, v46
	;; [unrolled: 1-line block ×13, first 2 shown]
	s_wait_alu 0xfffd
	v_add_co_ci_u32_e64 v89, null, s75, v13, vcc_lo
	v_add_nc_u32_e32 v91, v14, v15
	v_lshlrev_b32_e32 v94, 2, v1
	v_add_nc_u32_e32 v95, v43, v24
	v_add_nc_u32_e32 v96, v44, v24
	;; [unrolled: 1-line block ×3, first 2 shown]
	s_sub_nc_u64 s[78:79], 0, s[40:41]
	s_add_nc_u64 s[48:49], s[80:81], s[46:47]
	s_add_nc_u64 s[50:51], s[76:77], s[46:47]
	;; [unrolled: 1-line block ×4, first 2 shown]
	s_add_co_i32 s87, s30, -2
	s_and_b32 s89, s0, s86
	s_sub_nc_u64 s[40:41], 0, s[22:23]
	s_lshl_b64 s[42:43], s[72:73], 5
	s_lshl_b32 s90, s18, 6
	s_add_nc_u64 s[52:53], s[46:47], s[92:93]
	s_add_nc_u64 s[56:57], s[46:47], s[94:95]
	;; [unrolled: 1-line block ×10, first 2 shown]
	s_lshl_b64 s[78:79], s[78:79], 2
	s_branch .LBB75_4
.LBB75_2:                               ;   in Loop: Header=BB75_4 Depth=1
	s_wait_alu 0xfffe
	s_or_b32 exec_lo, exec_lo, s18
.LBB75_3:                               ;   in Loop: Header=BB75_4 Depth=1
	s_add_co_i32 s28, s28, 0x10000
	s_delay_alu instid0(SALU_CYCLE_1)
	s_cmp_lt_u32 s28, s19
	s_cbranch_scc0 .LBB75_129
.LBB75_4:                               ; =>This Loop Header: Depth=1
                                        ;     Child Loop BB75_69 Depth 2
	s_and_not1_b32 vcc_lo, exec_lo, s33
	s_wait_alu 0xfffe
	s_cbranch_vccnz .LBB75_3
; %bb.5:                                ;   in Loop: Header=BB75_4 Depth=1
	v_cmp_ne_u32_e32 vcc_lo, 1, v36
	s_cbranch_vccnz .LBB75_3
; %bb.6:                                ;   in Loop: Header=BB75_4 Depth=1
	s_mul_u64 s[80:81], s[24:25], s[28:29]
	s_wait_alu 0xfffe
	s_lshl_b64 s[80:81], s[80:81], 2
	s_wait_alu 0xfffe
	v_add_co_u32 v4, vcc_lo, v37, s80
	s_wait_alu 0xfffd
	v_add_co_ci_u32_e64 v5, null, s81, v38, vcc_lo
	s_and_saveexec_b32 s18, s0
	s_cbranch_execz .LBB75_10
; %bb.7:                                ;   in Loop: Header=BB75_4 Depth=1
	v_mov_b32_e32 v0, 0
	s_and_saveexec_b32 s80, s86
	s_cbranch_execz .LBB75_9
; %bb.8:                                ;   in Loop: Header=BB75_4 Depth=1
	global_load_b32 v0, v[4:5], off
.LBB75_9:                               ;   in Loop: Header=BB75_4 Depth=1
	s_wait_alu 0xfffe
	s_or_b32 exec_lo, exec_lo, s80
	s_wait_loadcnt 0x0
	ds_store_b32 v39, v0
.LBB75_10:                              ;   in Loop: Header=BB75_4 Depth=1
	s_wait_alu 0xfffe
	s_or_b32 exec_lo, exec_lo, s18
	s_mul_u64 s[80:81], s[20:21], s[28:29]
	s_mov_b32 s18, -1
	s_wait_alu 0xfffe
	s_lshl_b64 s[80:81], s[80:81], 2
                                        ; implicit-def: $vgpr2_vgpr3
	s_wait_alu 0xfffe
	v_add_co_u32 v0, vcc_lo, v40, s80
	s_wait_alu 0xfffd
	v_add_co_ci_u32_e64 v1, null, s81, v41, vcc_lo
	s_and_b32 vcc_lo, exec_lo, s85
	s_wait_alu 0xfffe
	s_cbranch_vccz .LBB75_20
; %bb.11:                               ;   in Loop: Header=BB75_4 Depth=1
	v_add_co_u32 v2, vcc_lo, v0, v20
	s_wait_alu 0xfffd
	v_add_co_ci_u32_e64 v3, null, v1, v21, vcc_lo
	s_lshl_b64 s[80:81], s[22:23], 2
	v_dual_mov_b32 v7, 0 :: v_dual_mov_b32 v6, 0
	s_wait_alu 0xfffe
	v_add_co_u32 v2, vcc_lo, v2, s80
	s_wait_alu 0xfffd
	v_add_co_ci_u32_e64 v3, null, s81, v3, vcc_lo
	s_delay_alu instid0(VALU_DEP_2) | instskip(SKIP_1) | instid1(VALU_DEP_2)
	v_add_co_u32 v2, vcc_lo, v2, -4
	s_wait_alu 0xfffd
	v_add_co_ci_u32_e64 v3, null, -1, v3, vcc_lo
	s_delay_alu instid0(VALU_DEP_2) | instskip(NEXT) | instid1(VALU_DEP_2)
	v_cndmask_b32_e64 v2, v2, v0, s1
	v_cndmask_b32_e64 v3, v3, v1, s1
	s_and_saveexec_b32 s18, s2
	s_cbranch_execz .LBB75_13
; %bb.12:                               ;   in Loop: Header=BB75_4 Depth=1
	global_load_b32 v6, v[2:3], off
.LBB75_13:                              ;   in Loop: Header=BB75_4 Depth=1
	s_wait_alu 0xfffe
	s_or_b32 exec_lo, exec_lo, s18
	s_wait_loadcnt 0x0
	ds_store_b32 v91, v6
	s_and_saveexec_b32 s18, s3
	s_cbranch_execz .LBB75_15
; %bb.14:                               ;   in Loop: Header=BB75_4 Depth=1
	s_lshl_b64 s[80:81], s[36:37], 2
	s_wait_alu 0xfffe
	v_add_co_u32 v6, vcc_lo, v2, s80
	s_wait_alu 0xfffd
	v_add_co_ci_u32_e64 v7, null, s81, v3, vcc_lo
	global_load_b32 v7, v[6:7], off
.LBB75_15:                              ;   in Loop: Header=BB75_4 Depth=1
	s_wait_alu 0xfffe
	s_or_b32 exec_lo, exec_lo, s18
	v_mov_b32_e32 v6, 0
	v_mov_b32_e32 v8, 0
	s_wait_loadcnt 0x0
	ds_store_b32 v91, v7 offset:1056
	s_and_saveexec_b32 s18, s4
	s_cbranch_execz .LBB75_17
; %bb.16:                               ;   in Loop: Header=BB75_4 Depth=1
	v_add_co_u32 v7, vcc_lo, v2, s54
	s_wait_alu 0xfffd
	v_add_co_ci_u32_e64 v8, null, s55, v3, vcc_lo
	global_load_b32 v8, v[7:8], off
.LBB75_17:                              ;   in Loop: Header=BB75_4 Depth=1
	s_wait_alu 0xfffe
	s_or_b32 exec_lo, exec_lo, s18
	s_wait_loadcnt 0x0
	ds_store_b32 v91, v8 offset:2112
	s_and_saveexec_b32 s18, s5
	s_cbranch_execz .LBB75_19
; %bb.18:                               ;   in Loop: Header=BB75_4 Depth=1
	s_lshl_b64 s[80:81], s[38:39], 2
	s_wait_alu 0xfffe
	v_add_co_u32 v6, vcc_lo, v2, s80
	s_wait_alu 0xfffd
	v_add_co_ci_u32_e64 v7, null, s81, v3, vcc_lo
	global_load_b32 v6, v[6:7], off
.LBB75_19:                              ;   in Loop: Header=BB75_4 Depth=1
	s_wait_alu 0xfffe
	s_or_b32 exec_lo, exec_lo, s18
	v_add_co_u32 v2, vcc_lo, v2, v94
	s_wait_alu 0xfffd
	v_add_co_ci_u32_e64 v3, null, 0, v3, vcc_lo
	s_lshl_b64 s[80:81], s[40:41], 2
	s_mov_b32 s18, 0
	s_wait_alu 0xfffe
	v_add_co_u32 v2, vcc_lo, v2, s80
	s_wait_alu 0xfffd
	v_add_co_ci_u32_e64 v3, null, s81, v3, vcc_lo
	s_wait_loadcnt 0x0
	ds_store_b32 v91, v6 offset:3168
	v_add_co_u32 v2, vcc_lo, v2, 4
	s_wait_alu 0xfffd
	v_add_co_ci_u32_e64 v3, null, 0, v3, vcc_lo
	s_delay_alu instid0(VALU_DEP_2) | instskip(NEXT) | instid1(VALU_DEP_2)
	v_cndmask_b32_e64 v2, v2, v0, s1
	v_cndmask_b32_e64 v3, v3, v1, s1
.LBB75_20:                              ;   in Loop: Header=BB75_4 Depth=1
	s_and_b32 vcc_lo, exec_lo, s18
	s_wait_alu 0xfffe
	s_cbranch_vccz .LBB75_22
; %bb.21:                               ;   in Loop: Header=BB75_4 Depth=1
	s_lshl_b64 s[80:81], s[36:37], 2
	s_wait_alu 0xfffe
	v_add_co_u32 v2, vcc_lo, v0, s80
	s_wait_alu 0xfffd
	v_add_co_ci_u32_e64 v3, null, s81, v1, vcc_lo
	s_delay_alu instid0(VALU_DEP_2) | instskip(SKIP_1) | instid1(VALU_DEP_2)
	v_add_co_u32 v6, vcc_lo, v2, s42
	s_wait_alu 0xfffd
	v_add_co_ci_u32_e64 v7, null, s43, v3, vcc_lo
	s_delay_alu instid0(VALU_DEP_2) | instskip(SKIP_1) | instid1(VALU_DEP_2)
	v_add_co_u32 v8, vcc_lo, v6, s42
	s_wait_alu 0xfffd
	v_add_co_ci_u32_e64 v9, null, s43, v7, vcc_lo
	s_clause 0x3
	global_load_b32 v10, v[0:1], off
	global_load_b32 v11, v[2:3], off
	;; [unrolled: 1-line block ×4, first 2 shown]
	v_dual_mov_b32 v3, v1 :: v_dual_mov_b32 v2, v0
	s_wait_loadcnt 0x3
	ds_store_b32 v91, v10
	s_wait_loadcnt 0x2
	ds_store_b32 v91, v11 offset:1056
	s_wait_loadcnt 0x1
	ds_store_b32 v91, v6 offset:2112
	;; [unrolled: 2-line block ×3, first 2 shown]
.LBB75_22:                              ;   in Loop: Header=BB75_4 Depth=1
	s_wait_dscnt 0x0
	s_barrier_signal -1
	s_barrier_wait -1
	global_inv scope:SCOPE_SE
	s_and_saveexec_b32 s18, s6
	s_cbranch_execnz .LBB75_123
; %bb.23:                               ;   in Loop: Header=BB75_4 Depth=1
	s_wait_alu 0xfffe
	s_or_b32 exec_lo, exec_lo, s18
	s_and_saveexec_b32 s18, s7
	s_cbranch_execnz .LBB75_124
.LBB75_24:                              ;   in Loop: Header=BB75_4 Depth=1
	s_wait_alu 0xfffe
	s_or_b32 exec_lo, exec_lo, s18
	s_and_saveexec_b32 s18, s8
	s_cbranch_execnz .LBB75_125
.LBB75_25:                              ;   in Loop: Header=BB75_4 Depth=1
	s_wait_alu 0xfffe
	s_or_b32 exec_lo, exec_lo, s18
	s_and_saveexec_b32 s18, s9
	s_cbranch_execz .LBB75_27
.LBB75_26:                              ;   in Loop: Header=BB75_4 Depth=1
	ds_load_b32 v0, v93 offset:264
	s_wait_dscnt 0x0
	ds_store_b32 v43, v0 offset:12
.LBB75_27:                              ;   in Loop: Header=BB75_4 Depth=1
	s_wait_alu 0xfffe
	s_or_b32 exec_lo, exec_lo, s18
	s_wait_loadcnt_dscnt 0x0
	s_barrier_signal -1
	s_barrier_wait -1
	global_inv scope:SCOPE_SE
	ds_load_b32 v10, v92
	ds_load_b32 v11, v93 offset:264
	ds_load_b128 v[6:9], v44
	ds_load_2addr_b32 v[0:1], v93 offset1:33
	v_mov_b32_e32 v98, 0
	s_wait_loadcnt_dscnt 0x0
	s_barrier_signal -1
	s_barrier_wait -1
	global_inv scope:SCOPE_SE
	v_fma_f32 v6, v10, v6, 0
	s_delay_alu instid0(VALU_DEP_1) | instskip(NEXT) | instid1(VALU_DEP_1)
	v_fmac_f32_e32 v6, v0, v7
	v_fmac_f32_e32 v6, v1, v8
	s_delay_alu instid0(VALU_DEP_1)
	v_fmac_f32_e32 v6, v11, v9
	ds_store_b32 v45, v6
	s_wait_loadcnt_dscnt 0x0
	s_barrier_signal -1
	s_barrier_wait -1
	global_inv scope:SCOPE_SE
	s_and_saveexec_b32 s18, s10
	s_cbranch_execz .LBB75_29
; %bb.28:                               ;   in Loop: Header=BB75_4 Depth=1
	ds_load_2addr_b32 v[0:1], v42 offset1:1
	ds_load_2addr_b32 v[6:7], v42 offset0:2 offset1:3
	ds_load_2addr_b32 v[8:9], v42 offset0:4 offset1:5
	;; [unrolled: 1-line block ×3, first 2 shown]
	s_wait_dscnt 0x3
	v_add_f32_e32 v0, v0, v1
	s_wait_dscnt 0x2
	s_delay_alu instid0(VALU_DEP_1) | instskip(NEXT) | instid1(VALU_DEP_1)
	v_add_f32_e32 v0, v0, v6
	v_add_f32_e32 v0, v0, v7
	s_wait_dscnt 0x1
	s_delay_alu instid0(VALU_DEP_1) | instskip(NEXT) | instid1(VALU_DEP_1)
	v_add_f32_e32 v0, v0, v8
	;; [unrolled: 4-line block ×3, first 2 shown]
	v_add_f32_e32 v98, v0, v11
.LBB75_29:                              ;   in Loop: Header=BB75_4 Depth=1
	s_wait_alu 0xfffe
	s_or_b32 exec_lo, exec_lo, s18
	v_add_co_u32 v6, vcc_lo, v2, s46
	s_wait_alu 0xfffd
	v_add_co_ci_u32_e64 v7, null, s47, v3, vcc_lo
	s_mov_b32 s18, -1
	v_add_co_u32 v2, vcc_lo, 0x80, v6
	s_wait_alu 0xfffd
	v_add_co_ci_u32_e64 v3, null, 0, v7, vcc_lo
	s_and_b32 vcc_lo, exec_lo, s85
	s_wait_loadcnt 0x0
	s_barrier_signal -1
	s_barrier_wait -1
	global_inv scope:SCOPE_SE
                                        ; implicit-def: $vgpr0_vgpr1
	s_wait_alu 0xfffe
	s_cbranch_vccz .LBB75_39
; %bb.30:                               ;   in Loop: Header=BB75_4 Depth=1
	v_add_co_u32 v0, vcc_lo, v6, v20
	s_wait_alu 0xfffd
	v_add_co_ci_u32_e64 v1, null, v7, v21, vcc_lo
	s_lshl_b64 s[80:81], s[22:23], 2
	v_dual_mov_b32 v9, 0 :: v_dual_mov_b32 v8, 0
	s_wait_alu 0xfffe
	v_add_co_u32 v0, vcc_lo, v0, s80
	s_wait_alu 0xfffd
	v_add_co_ci_u32_e64 v1, null, s81, v1, vcc_lo
	s_delay_alu instid0(VALU_DEP_2) | instskip(SKIP_1) | instid1(VALU_DEP_2)
	v_add_co_u32 v0, vcc_lo, v0, -4
	s_wait_alu 0xfffd
	v_add_co_ci_u32_e64 v1, null, -1, v1, vcc_lo
	s_delay_alu instid0(VALU_DEP_2) | instskip(NEXT) | instid1(VALU_DEP_2)
	v_cndmask_b32_e64 v0, v0, v2, s11
	v_cndmask_b32_e64 v1, v1, v3, s11
	s_and_saveexec_b32 s18, s12
	s_cbranch_execz .LBB75_32
; %bb.31:                               ;   in Loop: Header=BB75_4 Depth=1
	global_load_b32 v8, v[0:1], off
.LBB75_32:                              ;   in Loop: Header=BB75_4 Depth=1
	s_wait_alu 0xfffe
	s_or_b32 exec_lo, exec_lo, s18
	s_wait_loadcnt 0x0
	ds_store_b32 v91, v8
	s_and_saveexec_b32 s18, s13
	s_cbranch_execz .LBB75_34
; %bb.33:                               ;   in Loop: Header=BB75_4 Depth=1
	s_lshl_b64 s[80:81], s[36:37], 2
	s_wait_alu 0xfffe
	v_add_co_u32 v8, vcc_lo, v0, s80
	s_wait_alu 0xfffd
	v_add_co_ci_u32_e64 v9, null, s81, v1, vcc_lo
	global_load_b32 v9, v[8:9], off
.LBB75_34:                              ;   in Loop: Header=BB75_4 Depth=1
	s_wait_alu 0xfffe
	s_or_b32 exec_lo, exec_lo, s18
	v_mov_b32_e32 v8, 0
	v_mov_b32_e32 v10, 0
	s_wait_loadcnt 0x0
	ds_store_b32 v91, v9 offset:1056
	s_and_saveexec_b32 s18, s14
	s_cbranch_execz .LBB75_36
; %bb.35:                               ;   in Loop: Header=BB75_4 Depth=1
	v_add_co_u32 v9, vcc_lo, v0, s54
	s_wait_alu 0xfffd
	v_add_co_ci_u32_e64 v10, null, s55, v1, vcc_lo
	global_load_b32 v10, v[9:10], off
.LBB75_36:                              ;   in Loop: Header=BB75_4 Depth=1
	s_wait_alu 0xfffe
	s_or_b32 exec_lo, exec_lo, s18
	s_wait_loadcnt 0x0
	ds_store_b32 v91, v10 offset:2112
	s_and_saveexec_b32 s18, s15
	s_cbranch_execz .LBB75_38
; %bb.37:                               ;   in Loop: Header=BB75_4 Depth=1
	s_lshl_b64 s[80:81], s[38:39], 2
	s_wait_alu 0xfffe
	v_add_co_u32 v8, vcc_lo, v0, s80
	s_wait_alu 0xfffd
	v_add_co_ci_u32_e64 v9, null, s81, v1, vcc_lo
	global_load_b32 v8, v[8:9], off
.LBB75_38:                              ;   in Loop: Header=BB75_4 Depth=1
	s_wait_alu 0xfffe
	s_or_b32 exec_lo, exec_lo, s18
	v_add_co_u32 v0, vcc_lo, v0, v94
	s_wait_alu 0xfffd
	v_add_co_ci_u32_e64 v1, null, 0, v1, vcc_lo
	s_lshl_b64 s[80:81], s[40:41], 2
	s_mov_b32 s18, 0
	s_wait_alu 0xfffe
	v_add_co_u32 v0, vcc_lo, v0, s80
	s_wait_alu 0xfffd
	v_add_co_ci_u32_e64 v1, null, s81, v1, vcc_lo
	s_wait_loadcnt 0x0
	ds_store_b32 v91, v8 offset:3168
	v_add_co_u32 v0, vcc_lo, 0x84, v0
	s_wait_alu 0xfffd
	v_add_co_ci_u32_e64 v1, null, 0, v1, vcc_lo
	s_delay_alu instid0(VALU_DEP_2) | instskip(NEXT) | instid1(VALU_DEP_2)
	v_cndmask_b32_e64 v0, v0, v2, s11
	v_cndmask_b32_e64 v1, v1, v3, s11
.LBB75_39:                              ;   in Loop: Header=BB75_4 Depth=1
	s_and_b32 vcc_lo, exec_lo, s18
	s_wait_alu 0xfffe
	s_cbranch_vccz .LBB75_41
; %bb.40:                               ;   in Loop: Header=BB75_4 Depth=1
	s_lshl_b64 s[80:81], s[36:37], 2
	s_wait_alu 0xfffe
	v_add_co_u32 v0, vcc_lo, v6, s80
	s_wait_alu 0xfffd
	v_add_co_ci_u32_e64 v1, null, s81, v7, vcc_lo
	s_delay_alu instid0(VALU_DEP_2) | instskip(SKIP_1) | instid1(VALU_DEP_2)
	v_add_co_u32 v8, vcc_lo, v0, s42
	s_wait_alu 0xfffd
	v_add_co_ci_u32_e64 v9, null, s43, v1, vcc_lo
	s_delay_alu instid0(VALU_DEP_2) | instskip(SKIP_1) | instid1(VALU_DEP_2)
	v_add_co_u32 v10, vcc_lo, v8, s42
	s_wait_alu 0xfffd
	v_add_co_ci_u32_e64 v11, null, s43, v9, vcc_lo
	s_clause 0x3
	global_load_b32 v6, v[6:7], off offset:128
	global_load_b32 v7, v[0:1], off offset:128
	;; [unrolled: 1-line block ×4, first 2 shown]
	v_dual_mov_b32 v0, v2 :: v_dual_mov_b32 v1, v3
	s_wait_loadcnt 0x3
	ds_store_b32 v91, v6
	s_wait_loadcnt 0x2
	ds_store_b32 v91, v7 offset:1056
	s_wait_loadcnt 0x1
	ds_store_b32 v91, v8 offset:2112
	;; [unrolled: 2-line block ×3, first 2 shown]
.LBB75_41:                              ;   in Loop: Header=BB75_4 Depth=1
	s_wait_loadcnt_dscnt 0x0
	s_barrier_signal -1
	s_barrier_wait -1
	global_inv scope:SCOPE_SE
	s_and_saveexec_b32 s18, s6
	s_cbranch_execnz .LBB75_126
; %bb.42:                               ;   in Loop: Header=BB75_4 Depth=1
	s_wait_alu 0xfffe
	s_or_b32 exec_lo, exec_lo, s18
	s_and_saveexec_b32 s18, s7
	s_cbranch_execnz .LBB75_127
.LBB75_43:                              ;   in Loop: Header=BB75_4 Depth=1
	s_wait_alu 0xfffe
	s_or_b32 exec_lo, exec_lo, s18
	s_and_saveexec_b32 s18, s8
	s_cbranch_execnz .LBB75_128
.LBB75_44:                              ;   in Loop: Header=BB75_4 Depth=1
	s_wait_alu 0xfffe
	s_or_b32 exec_lo, exec_lo, s18
	s_and_saveexec_b32 s18, s9
	s_cbranch_execz .LBB75_46
.LBB75_45:                              ;   in Loop: Header=BB75_4 Depth=1
	ds_load_b32 v2, v93 offset:264
	s_wait_dscnt 0x0
	ds_store_b32 v43, v2 offset:12
.LBB75_46:                              ;   in Loop: Header=BB75_4 Depth=1
	s_wait_alu 0xfffe
	s_or_b32 exec_lo, exec_lo, s18
	s_wait_loadcnt_dscnt 0x0
	s_barrier_signal -1
	s_barrier_wait -1
	global_inv scope:SCOPE_SE
	ds_load_b32 v10, v92
	ds_load_b32 v11, v93 offset:264
	ds_load_b128 v[6:9], v44 offset:128
	ds_load_2addr_b32 v[2:3], v93 offset1:33
	s_wait_loadcnt_dscnt 0x0
	s_barrier_signal -1
	s_barrier_wait -1
	global_inv scope:SCOPE_SE
	v_fma_f32 v6, v10, v6, 0
	s_delay_alu instid0(VALU_DEP_1) | instskip(NEXT) | instid1(VALU_DEP_1)
	v_fmac_f32_e32 v6, v2, v7
	v_fmac_f32_e32 v6, v3, v8
	s_delay_alu instid0(VALU_DEP_1)
	v_fmac_f32_e32 v6, v11, v9
	ds_store_b32 v45, v6
	s_wait_loadcnt_dscnt 0x0
	s_barrier_signal -1
	s_barrier_wait -1
	global_inv scope:SCOPE_SE
	s_and_saveexec_b32 s18, s16
	s_cbranch_execz .LBB75_48
; %bb.47:                               ;   in Loop: Header=BB75_4 Depth=1
	ds_load_2addr_b32 v[2:3], v42 offset1:1
	ds_load_2addr_b32 v[6:7], v42 offset0:2 offset1:3
	ds_load_2addr_b32 v[8:9], v42 offset0:4 offset1:5
	;; [unrolled: 1-line block ×3, first 2 shown]
	s_wait_dscnt 0x3
	v_add_f32_e32 v2, v2, v3
	s_wait_dscnt 0x2
	s_delay_alu instid0(VALU_DEP_1) | instskip(NEXT) | instid1(VALU_DEP_1)
	v_add_f32_e32 v2, v2, v6
	v_add_f32_e32 v2, v2, v7
	s_wait_dscnt 0x1
	s_delay_alu instid0(VALU_DEP_1) | instskip(NEXT) | instid1(VALU_DEP_1)
	v_add_f32_e32 v2, v2, v8
	;; [unrolled: 4-line block ×3, first 2 shown]
	v_add_f32_e32 v98, v2, v11
.LBB75_48:                              ;   in Loop: Header=BB75_4 Depth=1
	s_wait_alu 0xfffe
	s_or_b32 exec_lo, exec_lo, s18
	v_add_co_u32 v2, vcc_lo, 0xffffff80, v0
	s_wait_alu 0xfffd
	v_add_co_ci_u32_e64 v3, null, -1, v1, vcc_lo
	s_and_b32 vcc_lo, exec_lo, s85
	s_mov_b32 s18, -1
	s_wait_loadcnt 0x0
	s_barrier_signal -1
	s_barrier_wait -1
	global_inv scope:SCOPE_SE
                                        ; implicit-def: $vgpr6_vgpr7
	s_wait_alu 0xfffe
	s_cbranch_vccz .LBB75_58
; %bb.49:                               ;   in Loop: Header=BB75_4 Depth=1
	v_add_co_u32 v6, vcc_lo, v0, v20
	s_wait_alu 0xfffd
	v_add_co_ci_u32_e64 v7, null, v1, v21, vcc_lo
	s_lshl_b64 s[80:81], s[22:23], 2
	v_dual_mov_b32 v9, 0 :: v_dual_mov_b32 v8, 0
	s_wait_alu 0xfffe
	v_add_co_u32 v6, vcc_lo, v6, s80
	s_wait_alu 0xfffd
	v_add_co_ci_u32_e64 v7, null, s81, v7, vcc_lo
	s_delay_alu instid0(VALU_DEP_2) | instskip(SKIP_1) | instid1(VALU_DEP_2)
	v_add_co_u32 v6, vcc_lo, 0xffffff7c, v6
	s_wait_alu 0xfffd
	v_add_co_ci_u32_e64 v7, null, -1, v7, vcc_lo
	s_delay_alu instid0(VALU_DEP_2) | instskip(NEXT) | instid1(VALU_DEP_2)
	v_cndmask_b32_e64 v6, v6, v2, s1
	v_cndmask_b32_e64 v7, v7, v3, s1
	s_and_saveexec_b32 s18, s12
	s_cbranch_execz .LBB75_51
; %bb.50:                               ;   in Loop: Header=BB75_4 Depth=1
	global_load_b32 v8, v[6:7], off
.LBB75_51:                              ;   in Loop: Header=BB75_4 Depth=1
	s_wait_alu 0xfffe
	s_or_b32 exec_lo, exec_lo, s18
	s_wait_loadcnt 0x0
	ds_store_b32 v91, v8
	s_and_saveexec_b32 s18, s13
	s_cbranch_execz .LBB75_53
; %bb.52:                               ;   in Loop: Header=BB75_4 Depth=1
	s_lshl_b64 s[80:81], s[36:37], 2
	s_wait_alu 0xfffe
	v_add_co_u32 v8, vcc_lo, v6, s80
	s_wait_alu 0xfffd
	v_add_co_ci_u32_e64 v9, null, s81, v7, vcc_lo
	global_load_b32 v9, v[8:9], off
.LBB75_53:                              ;   in Loop: Header=BB75_4 Depth=1
	s_wait_alu 0xfffe
	s_or_b32 exec_lo, exec_lo, s18
	v_mov_b32_e32 v8, 0
	v_mov_b32_e32 v10, 0
	s_wait_loadcnt 0x0
	ds_store_b32 v91, v9 offset:1056
	s_and_saveexec_b32 s18, s14
	s_cbranch_execz .LBB75_55
; %bb.54:                               ;   in Loop: Header=BB75_4 Depth=1
	v_add_co_u32 v9, vcc_lo, v6, s54
	s_wait_alu 0xfffd
	v_add_co_ci_u32_e64 v10, null, s55, v7, vcc_lo
	global_load_b32 v10, v[9:10], off
.LBB75_55:                              ;   in Loop: Header=BB75_4 Depth=1
	s_wait_alu 0xfffe
	s_or_b32 exec_lo, exec_lo, s18
	s_wait_loadcnt 0x0
	ds_store_b32 v91, v10 offset:2112
	s_and_saveexec_b32 s18, s15
	s_cbranch_execz .LBB75_57
; %bb.56:                               ;   in Loop: Header=BB75_4 Depth=1
	s_lshl_b64 s[80:81], s[38:39], 2
	s_wait_alu 0xfffe
	v_add_co_u32 v8, vcc_lo, v6, s80
	s_wait_alu 0xfffd
	v_add_co_ci_u32_e64 v9, null, s81, v7, vcc_lo
	global_load_b32 v8, v[8:9], off
.LBB75_57:                              ;   in Loop: Header=BB75_4 Depth=1
	s_wait_alu 0xfffe
	s_or_b32 exec_lo, exec_lo, s18
	v_add_co_u32 v6, vcc_lo, v6, v94
	s_wait_alu 0xfffd
	v_add_co_ci_u32_e64 v7, null, 0, v7, vcc_lo
	s_lshl_b64 s[80:81], s[40:41], 2
	s_mov_b32 s18, 0
	s_wait_alu 0xfffe
	v_add_co_u32 v6, vcc_lo, v6, s80
	s_wait_alu 0xfffd
	v_add_co_ci_u32_e64 v7, null, s81, v7, vcc_lo
	s_wait_loadcnt 0x0
	ds_store_b32 v91, v8 offset:3168
	v_add_co_u32 v6, vcc_lo, v6, 4
	s_wait_alu 0xfffd
	v_add_co_ci_u32_e64 v7, null, 0, v7, vcc_lo
	s_delay_alu instid0(VALU_DEP_2) | instskip(NEXT) | instid1(VALU_DEP_2)
	v_cndmask_b32_e64 v6, v6, v2, s1
	v_cndmask_b32_e64 v7, v7, v3, s1
.LBB75_58:                              ;   in Loop: Header=BB75_4 Depth=1
	s_and_b32 vcc_lo, exec_lo, s18
	s_wait_alu 0xfffe
	s_cbranch_vccz .LBB75_60
; %bb.59:                               ;   in Loop: Header=BB75_4 Depth=1
	s_lshl_b64 s[80:81], s[36:37], 2
	s_wait_alu 0xfffe
	v_add_co_u32 v6, vcc_lo, v0, s80
	s_wait_alu 0xfffd
	v_add_co_ci_u32_e64 v7, null, s81, v1, vcc_lo
	s_delay_alu instid0(VALU_DEP_2) | instskip(SKIP_1) | instid1(VALU_DEP_2)
	v_add_co_u32 v8, vcc_lo, v6, s42
	s_wait_alu 0xfffd
	v_add_co_ci_u32_e64 v9, null, s43, v7, vcc_lo
	s_delay_alu instid0(VALU_DEP_2) | instskip(SKIP_1) | instid1(VALU_DEP_2)
	v_add_co_u32 v10, vcc_lo, v8, s42
	s_wait_alu 0xfffd
	v_add_co_ci_u32_e64 v11, null, s43, v9, vcc_lo
	s_clause 0x3
	global_load_b32 v0, v[0:1], off offset:-128
	global_load_b32 v1, v[6:7], off offset:-128
	;; [unrolled: 1-line block ×4, first 2 shown]
	v_dual_mov_b32 v7, v3 :: v_dual_mov_b32 v6, v2
	s_wait_loadcnt 0x3
	ds_store_b32 v91, v0
	s_wait_loadcnt 0x2
	ds_store_b32 v91, v1 offset:1056
	s_wait_loadcnt 0x1
	ds_store_b32 v91, v8 offset:2112
	;; [unrolled: 2-line block ×3, first 2 shown]
.LBB75_60:                              ;   in Loop: Header=BB75_4 Depth=1
	s_wait_loadcnt_dscnt 0x0
	s_barrier_signal -1
	s_barrier_wait -1
	global_inv scope:SCOPE_SE
	ds_load_b32 v0, v95
	ds_load_b32 v1, v96
	ds_load_2addr_b32 v[12:13], v69 offset0:8 offset1:16
	ds_load_2addr_b32 v[14:15], v70 offset0:8 offset1:16
	ds_load_b32 v24, v69 offset:96
	ds_load_b32 v25, v70 offset:96
	;; [unrolled: 1-line block ×3, first 2 shown]
	s_wait_dscnt 0x5
	v_fma_f32 v26, v0, v1, 0
	ds_load_b32 v11, v92
	ds_load_b128 v[0:3], v44 offset:128
	ds_load_2addr_b32 v[8:9], v93 offset1:33
	s_wait_loadcnt_dscnt 0x0
	s_barrier_signal -1
	s_barrier_wait -1
	v_fmac_f32_e32 v26, v12, v14
	global_inv scope:SCOPE_SE
	v_fmac_f32_e32 v26, v13, v15
	s_delay_alu instid0(VALU_DEP_1)
	v_fmac_f32_e32 v26, v24, v25
	ds_store_b32 v45, v26
	s_wait_loadcnt_dscnt 0x0
	s_barrier_signal -1
	s_barrier_wait -1
	global_inv scope:SCOPE_SE
	s_and_saveexec_b32 s18, s16
	s_cbranch_execz .LBB75_62
; %bb.61:                               ;   in Loop: Header=BB75_4 Depth=1
	ds_load_2addr_b32 v[12:13], v42 offset1:1
	ds_load_2addr_b32 v[14:15], v42 offset0:2 offset1:3
	ds_load_2addr_b32 v[24:25], v42 offset0:4 offset1:5
	;; [unrolled: 1-line block ×3, first 2 shown]
	s_wait_dscnt 0x3
	v_add_f32_e32 v12, v98, v12
	s_delay_alu instid0(VALU_DEP_1) | instskip(SKIP_1) | instid1(VALU_DEP_1)
	v_add_f32_e32 v12, v12, v13
	s_wait_dscnt 0x2
	v_add_f32_e32 v12, v12, v14
	s_delay_alu instid0(VALU_DEP_1) | instskip(SKIP_1) | instid1(VALU_DEP_1)
	v_add_f32_e32 v12, v12, v15
	;; [unrolled: 4-line block ×3, first 2 shown]
	s_wait_dscnt 0x0
	v_add_f32_e32 v12, v12, v26
	s_delay_alu instid0(VALU_DEP_1)
	v_add_f32_e32 v98, v12, v27
.LBB75_62:                              ;   in Loop: Header=BB75_4 Depth=1
	s_wait_alu 0xfffe
	s_or_b32 exec_lo, exec_lo, s18
	v_fma_f32 v0, v11, v0, 0
	s_wait_loadcnt 0x0
	s_barrier_signal -1
	s_barrier_wait -1
	global_inv scope:SCOPE_SE
	v_fmac_f32_e32 v0, v8, v1
	s_delay_alu instid0(VALU_DEP_1) | instskip(NEXT) | instid1(VALU_DEP_1)
	v_fmac_f32_e32 v0, v9, v2
	v_fmac_f32_e32 v0, v10, v3
	ds_store_b32 v45, v0
	s_wait_loadcnt_dscnt 0x0
	s_barrier_signal -1
	s_barrier_wait -1
	global_inv scope:SCOPE_SE
	s_and_saveexec_b32 s18, s10
	s_cbranch_execz .LBB75_64
; %bb.63:                               ;   in Loop: Header=BB75_4 Depth=1
	ds_load_2addr_b32 v[0:1], v42 offset1:1
	ds_load_2addr_b32 v[2:3], v42 offset0:2 offset1:3
	ds_load_2addr_b32 v[8:9], v42 offset0:4 offset1:5
	;; [unrolled: 1-line block ×3, first 2 shown]
	s_wait_dscnt 0x3
	v_add_f32_e32 v0, v98, v0
	s_delay_alu instid0(VALU_DEP_1) | instskip(SKIP_1) | instid1(VALU_DEP_1)
	v_add_f32_e32 v0, v0, v1
	s_wait_dscnt 0x2
	v_add_f32_e32 v0, v0, v2
	s_delay_alu instid0(VALU_DEP_1) | instskip(SKIP_1) | instid1(VALU_DEP_1)
	v_add_f32_e32 v0, v0, v3
	;; [unrolled: 4-line block ×3, first 2 shown]
	s_wait_dscnt 0x0
	v_add_f32_e32 v0, v0, v10
	s_delay_alu instid0(VALU_DEP_1)
	v_add_f32_e32 v98, v0, v11
.LBB75_64:                              ;   in Loop: Header=BB75_4 Depth=1
	s_wait_alu 0xfffe
	s_or_b32 exec_lo, exec_lo, s18
	s_mul_u64 s[80:81], s[26:27], s[28:29]
	s_and_not1_b32 vcc_lo, exec_lo, s31
	s_wait_alu 0xfffe
	s_lshl_b64 s[80:81], s[80:81], 2
	s_wait_loadcnt 0x0
	s_wait_alu 0xfffe
	s_add_nc_u64 s[80:81], s[34:35], s[80:81]
	s_barrier_signal -1
	s_barrier_wait -1
	global_inv scope:SCOPE_SE
	s_cbranch_vccnz .LBB75_121
; %bb.65:                               ;   in Loop: Header=BB75_4 Depth=1
	v_add_co_u32 v99, vcc_lo, v4, s78
	s_wait_alu 0xfffd
	v_add_co_ci_u32_e64 v100, null, s79, v5, vcc_lo
	v_add_co_u32 v101, vcc_lo, v6, s46
	s_wait_alu 0xfffd
	v_add_co_ci_u32_e64 v102, null, s47, v7, vcc_lo
	;; [unrolled: 3-line block ×25, first 2 shown]
	v_mov_b32_e32 v24, v71
	s_mov_b32 s91, ttmp9
	s_mov_b32 s82, s90
	s_cmp_eq_u32 s87, s91
	s_cselect_b32 s92, s84, 0
	s_and_saveexec_b32 s18, s0
	s_cbranch_execz .LBB75_69
.LBB75_66:                              ;   in Loop: Header=BB75_4 Depth=1
	s_wait_alu 0xfffe
	v_cmp_gt_i32_e32 vcc_lo, s92, v16
	s_cmp_eq_u32 s92, 0
	v_mov_b32_e32 v0, 0
	s_cselect_b32 s83, -1, 0
	s_wait_alu 0xfffe
	s_or_b32 s83, s83, vcc_lo
	s_wait_alu 0xfffe
	s_and_saveexec_b32 s93, s83
	s_cbranch_execz .LBB75_68
; %bb.67:                               ;   in Loop: Header=BB75_4 Depth=1
	s_ashr_i32 s83, s82, 31
	s_wait_alu 0xfffe
	s_lshl_b64 s[94:95], s[82:83], 2
	s_wait_alu 0xfffe
	v_add_co_u32 v0, vcc_lo, v99, s94
	s_wait_alu 0xfffd
	v_add_co_ci_u32_e64 v1, null, s95, v100, vcc_lo
	global_load_b32 v0, v[0:1], off
.LBB75_68:                              ;   in Loop: Header=BB75_4 Depth=1
	s_wait_alu 0xfffe
	s_or_b32 exec_lo, exec_lo, s93
	s_wait_loadcnt 0x0
	ds_store_b32 v47, v0
.LBB75_69:                              ;   Parent Loop BB75_4 Depth=1
                                        ; =>  This Inner Loop Header: Depth=2
	s_wait_alu 0xfffe
	s_or_b32 exec_lo, exec_lo, s18
	s_cmp_eq_u32 s92, 0
	v_add_co_u32 v0, vcc_lo, v101, v74
	s_cselect_b32 s83, -1, 0
	s_cmp_lg_u32 s92, 0
	s_wait_alu 0xfffd
	v_add_co_ci_u32_e64 v1, null, v102, v75, vcc_lo
	s_cselect_b32 s18, -1, 0
	s_mov_b32 s93, -1
	s_wait_alu 0xfffe
	s_and_b32 vcc_lo, exec_lo, s18
	s_wait_loadcnt_dscnt 0x0
	s_barrier_signal -1
	s_barrier_wait -1
	global_inv scope:SCOPE_SE
                                        ; implicit-def: $vgpr150
                                        ; implicit-def: $vgpr151
                                        ; implicit-def: $vgpr149
                                        ; implicit-def: $vgpr152
	s_wait_alu 0xfffe
	s_cbranch_vccz .LBB75_79
; %bb.70:                               ;   in Loop: Header=BB75_69 Depth=2
	v_dual_mov_b32 v149, 0 :: v_dual_mov_b32 v152, 0
	s_mov_b32 s93, exec_lo
	v_cmpx_gt_i32_e64 s92, v46
	s_cbranch_execz .LBB75_72
; %bb.71:                               ;   in Loop: Header=BB75_69 Depth=2
	global_load_b32 v152, v[0:1], off
.LBB75_72:                              ;   in Loop: Header=BB75_69 Depth=2
	s_wait_alu 0xfffe
	s_or_b32 exec_lo, exec_lo, s93
	s_delay_alu instid0(SALU_CYCLE_1)
	s_mov_b32 s93, exec_lo
	v_cmpx_gt_i32_e64 s92, v53
	s_cbranch_execz .LBB75_74
; %bb.73:                               ;   in Loop: Header=BB75_69 Depth=2
	v_add_co_u32 v2, vcc_lo, v107, v74
	s_wait_alu 0xfffd
	v_add_co_ci_u32_e64 v3, null, v108, v75, vcc_lo
	global_load_b32 v149, v[2:3], off
.LBB75_74:                              ;   in Loop: Header=BB75_69 Depth=2
	s_wait_alu 0xfffe
	s_or_b32 exec_lo, exec_lo, s93
	v_dual_mov_b32 v150, 0 :: v_dual_mov_b32 v151, 0
	s_mov_b32 s93, exec_lo
	v_cmpx_gt_i32_e64 s92, v54
	s_cbranch_execz .LBB75_76
; %bb.75:                               ;   in Loop: Header=BB75_69 Depth=2
	v_add_co_u32 v2, vcc_lo, v109, v74
	s_wait_alu 0xfffd
	v_add_co_ci_u32_e64 v3, null, v110, v75, vcc_lo
	global_load_b32 v151, v[2:3], off
.LBB75_76:                              ;   in Loop: Header=BB75_69 Depth=2
	s_wait_alu 0xfffe
	s_or_b32 exec_lo, exec_lo, s93
	s_delay_alu instid0(SALU_CYCLE_1)
	s_mov_b32 s93, exec_lo
	v_cmpx_gt_i32_e64 s92, v55
	s_cbranch_execz .LBB75_78
; %bb.77:                               ;   in Loop: Header=BB75_69 Depth=2
	v_add_co_u32 v2, vcc_lo, v111, v74
	s_wait_alu 0xfffd
	v_add_co_ci_u32_e64 v3, null, v112, v75, vcc_lo
	global_load_b32 v150, v[2:3], off
.LBB75_78:                              ;   in Loop: Header=BB75_69 Depth=2
	s_wait_alu 0xfffe
	s_or_b32 exec_lo, exec_lo, s93
	s_mov_b32 s93, 0
.LBB75_79:                              ;   in Loop: Header=BB75_69 Depth=2
	s_wait_alu 0xfffe
	s_and_b32 vcc_lo, exec_lo, s93
	s_wait_alu 0xfffe
	s_cbranch_vccz .LBB75_81
; %bb.80:                               ;   in Loop: Header=BB75_69 Depth=2
	v_add_co_u32 v2, vcc_lo, v107, v74
	s_wait_alu 0xfffd
	v_add_co_ci_u32_e64 v3, null, v108, v75, vcc_lo
	v_add_co_u32 v4, vcc_lo, v103, v74
	s_wait_alu 0xfffd
	v_add_co_ci_u32_e64 v5, null, v104, v75, vcc_lo
	;; [unrolled: 3-line block ×3, first 2 shown]
	s_wait_loadcnt 0x0
	global_load_b32 v152, v[0:1], off
	global_load_b32 v149, v[2:3], off
	;; [unrolled: 1-line block ×4, first 2 shown]
.LBB75_81:                              ;   in Loop: Header=BB75_69 Depth=2
	ds_load_b32 v4, v39
	ds_load_b128 v[0:3], v48
	v_cndmask_b32_e64 v33, 0, 1, s18
                                        ; implicit-def: $vgpr155
                                        ; implicit-def: $vgpr156
                                        ; implicit-def: $vgpr153
                                        ; implicit-def: $vgpr154
	s_wait_loadcnt_dscnt 0x1
	v_mul_f32_e32 v5, v152, v4
	v_mul_f32_e32 v6, v149, v4
	;; [unrolled: 1-line block ×4, first 2 shown]
	ds_store_2addr_b32 v49, v5, v6 offset1:67
	ds_store_2addr_b32 v49, v7, v4 offset0:134 offset1:201
	s_wait_dscnt 0x0
	s_barrier_signal -1
	s_barrier_wait -1
	global_inv scope:SCOPE_SE
	ds_load_2addr_b32 v[14:15], v97 offset1:1
	ds_load_2addr_b32 v[12:13], v97 offset0:2 offset1:3
	v_add_co_u32 v4, vcc_lo, v113, v74
	s_wait_alu 0xfffd
	v_add_co_ci_u32_e64 v5, null, v114, v75, vcc_lo
	s_and_not1_b32 vcc_lo, exec_lo, s18
	s_mov_b32 s18, -1
	s_wait_loadcnt_dscnt 0x0
	s_barrier_signal -1
	s_barrier_wait -1
	global_inv scope:SCOPE_SE
	s_wait_alu 0xfffe
	s_cbranch_vccnz .LBB75_91
; %bb.82:                               ;   in Loop: Header=BB75_69 Depth=2
	v_dual_mov_b32 v153, 0 :: v_dual_mov_b32 v154, 0
	s_mov_b32 s18, exec_lo
	v_cmpx_gt_i32_e64 s92, v56
	s_cbranch_execz .LBB75_84
; %bb.83:                               ;   in Loop: Header=BB75_69 Depth=2
	global_load_b32 v154, v[4:5], off
.LBB75_84:                              ;   in Loop: Header=BB75_69 Depth=2
	s_wait_alu 0xfffe
	s_or_b32 exec_lo, exec_lo, s18
	s_delay_alu instid0(SALU_CYCLE_1)
	s_mov_b32 s18, exec_lo
	v_cmpx_gt_i32_e64 s92, v57
	s_cbranch_execz .LBB75_86
; %bb.85:                               ;   in Loop: Header=BB75_69 Depth=2
	v_add_co_u32 v6, vcc_lo, v115, v74
	s_wait_alu 0xfffd
	v_add_co_ci_u32_e64 v7, null, v116, v75, vcc_lo
	global_load_b32 v153, v[6:7], off
.LBB75_86:                              ;   in Loop: Header=BB75_69 Depth=2
	s_wait_alu 0xfffe
	s_or_b32 exec_lo, exec_lo, s18
	v_dual_mov_b32 v155, 0 :: v_dual_mov_b32 v156, 0
	s_mov_b32 s18, exec_lo
	v_cmpx_gt_i32_e64 s92, v58
	s_cbranch_execz .LBB75_88
; %bb.87:                               ;   in Loop: Header=BB75_69 Depth=2
	v_add_co_u32 v6, vcc_lo, v117, v74
	s_wait_alu 0xfffd
	v_add_co_ci_u32_e64 v7, null, v118, v75, vcc_lo
	global_load_b32 v156, v[6:7], off
.LBB75_88:                              ;   in Loop: Header=BB75_69 Depth=2
	s_wait_alu 0xfffe
	s_or_b32 exec_lo, exec_lo, s18
	s_delay_alu instid0(SALU_CYCLE_1)
	s_mov_b32 s18, exec_lo
	v_cmpx_gt_i32_e64 s92, v59
	s_cbranch_execz .LBB75_90
; %bb.89:                               ;   in Loop: Header=BB75_69 Depth=2
	v_add_co_u32 v6, vcc_lo, v119, v74
	s_wait_alu 0xfffd
	v_add_co_ci_u32_e64 v7, null, v120, v75, vcc_lo
	global_load_b32 v155, v[6:7], off
.LBB75_90:                              ;   in Loop: Header=BB75_69 Depth=2
	s_wait_alu 0xfffe
	s_or_b32 exec_lo, exec_lo, s18
	s_mov_b32 s18, 0
.LBB75_91:                              ;   in Loop: Header=BB75_69 Depth=2
	s_wait_alu 0xfffe
	s_and_b32 vcc_lo, exec_lo, s18
	s_wait_alu 0xfffe
	s_cbranch_vccz .LBB75_93
; %bb.92:                               ;   in Loop: Header=BB75_69 Depth=2
	v_add_co_u32 v6, vcc_lo, v115, v74
	s_wait_alu 0xfffd
	v_add_co_ci_u32_e64 v7, null, v116, v75, vcc_lo
	v_add_co_u32 v8, vcc_lo, v121, v74
	s_wait_alu 0xfffd
	v_add_co_ci_u32_e64 v9, null, v122, v75, vcc_lo
	;; [unrolled: 3-line block ×3, first 2 shown]
	s_wait_loadcnt 0x0
	global_load_b32 v154, v[4:5], off
	global_load_b32 v153, v[6:7], off
	;; [unrolled: 1-line block ×4, first 2 shown]
.LBB75_93:                              ;   in Loop: Header=BB75_69 Depth=2
	ds_load_b32 v8, v39
	ds_load_b128 v[4:7], v48 offset:64
	v_cmp_ne_u32_e32 vcc_lo, 1, v33
                                        ; implicit-def: $vgpr159
                                        ; implicit-def: $vgpr160
                                        ; implicit-def: $vgpr157
                                        ; implicit-def: $vgpr158
	s_and_b32 vcc_lo, exec_lo, vcc_lo
	s_wait_loadcnt_dscnt 0x1
	v_mul_f32_e32 v9, v154, v8
	v_mul_f32_e32 v10, v153, v8
	;; [unrolled: 1-line block ×4, first 2 shown]
	ds_store_2addr_b32 v49, v9, v10 offset1:67
	ds_store_2addr_b32 v49, v11, v8 offset0:134 offset1:201
	s_wait_dscnt 0x0
	s_barrier_signal -1
	s_barrier_wait -1
	global_inv scope:SCOPE_SE
	ds_load_2addr_b32 v[27:28], v97 offset1:1
	ds_load_2addr_b32 v[25:26], v97 offset0:2 offset1:3
	v_add_co_u32 v8, s18, v125, v74
	s_wait_alu 0xf1ff
	v_add_co_ci_u32_e64 v9, null, v126, v75, s18
	s_mov_b32 s18, -1
	s_wait_loadcnt_dscnt 0x0
	s_barrier_signal -1
	s_barrier_wait -1
	global_inv scope:SCOPE_SE
	s_wait_alu 0xfffe
	s_cbranch_vccnz .LBB75_103
; %bb.94:                               ;   in Loop: Header=BB75_69 Depth=2
	v_dual_mov_b32 v157, 0 :: v_dual_mov_b32 v158, 0
	s_mov_b32 s18, exec_lo
	v_cmpx_gt_i32_e64 s92, v60
	s_cbranch_execz .LBB75_96
; %bb.95:                               ;   in Loop: Header=BB75_69 Depth=2
	global_load_b32 v158, v[8:9], off
.LBB75_96:                              ;   in Loop: Header=BB75_69 Depth=2
	s_wait_alu 0xfffe
	s_or_b32 exec_lo, exec_lo, s18
	s_delay_alu instid0(SALU_CYCLE_1)
	s_mov_b32 s18, exec_lo
	v_cmpx_gt_i32_e64 s92, v61
	s_cbranch_execz .LBB75_98
; %bb.97:                               ;   in Loop: Header=BB75_69 Depth=2
	v_add_co_u32 v10, vcc_lo, v127, v74
	s_wait_alu 0xfffd
	v_add_co_ci_u32_e64 v11, null, v128, v75, vcc_lo
	global_load_b32 v157, v[10:11], off
.LBB75_98:                              ;   in Loop: Header=BB75_69 Depth=2
	s_wait_alu 0xfffe
	s_or_b32 exec_lo, exec_lo, s18
	v_dual_mov_b32 v159, 0 :: v_dual_mov_b32 v160, 0
	s_mov_b32 s18, exec_lo
	v_cmpx_gt_i32_e64 s92, v62
	s_cbranch_execz .LBB75_100
; %bb.99:                               ;   in Loop: Header=BB75_69 Depth=2
	v_add_co_u32 v10, vcc_lo, v129, v74
	s_wait_alu 0xfffd
	v_add_co_ci_u32_e64 v11, null, v130, v75, vcc_lo
	global_load_b32 v160, v[10:11], off
.LBB75_100:                             ;   in Loop: Header=BB75_69 Depth=2
	s_wait_alu 0xfffe
	s_or_b32 exec_lo, exec_lo, s18
	s_delay_alu instid0(SALU_CYCLE_1)
	s_mov_b32 s18, exec_lo
	v_cmpx_gt_i32_e64 s92, v63
	s_cbranch_execz .LBB75_102
; %bb.101:                              ;   in Loop: Header=BB75_69 Depth=2
	v_add_co_u32 v10, vcc_lo, v131, v74
	s_wait_alu 0xfffd
	v_add_co_ci_u32_e64 v11, null, v132, v75, vcc_lo
	global_load_b32 v159, v[10:11], off
.LBB75_102:                             ;   in Loop: Header=BB75_69 Depth=2
	s_wait_alu 0xfffe
	s_or_b32 exec_lo, exec_lo, s18
	s_mov_b32 s18, 0
.LBB75_103:                             ;   in Loop: Header=BB75_69 Depth=2
	s_wait_alu 0xfffe
	s_and_b32 vcc_lo, exec_lo, s18
	s_wait_alu 0xfffe
	s_cbranch_vccz .LBB75_105
; %bb.104:                              ;   in Loop: Header=BB75_69 Depth=2
	v_add_co_u32 v10, vcc_lo, v127, v74
	s_wait_alu 0xfffd
	v_add_co_ci_u32_e64 v11, null, v128, v75, vcc_lo
	v_add_co_u32 v29, vcc_lo, v133, v74
	s_wait_alu 0xfffd
	v_add_co_ci_u32_e64 v30, null, v134, v75, vcc_lo
	;; [unrolled: 3-line block ×3, first 2 shown]
	s_wait_loadcnt 0x0
	global_load_b32 v158, v[8:9], off
	global_load_b32 v157, v[10:11], off
	;; [unrolled: 1-line block ×4, first 2 shown]
.LBB75_105:                             ;   in Loop: Header=BB75_69 Depth=2
	ds_load_b32 v29, v39
	ds_load_b128 v[8:11], v48 offset:128
	v_cmp_ne_u32_e32 vcc_lo, 1, v33
	v_add_co_u32 v33, s18, v137, v72
	s_wait_alu 0xf1ff
	v_add_co_ci_u32_e64 v34, null, v138, v73, s18
	s_and_b32 vcc_lo, exec_lo, vcc_lo
	s_mov_b32 s18, -1
                                        ; implicit-def: $vgpr164
                                        ; implicit-def: $vgpr163
                                        ; implicit-def: $vgpr162
                                        ; implicit-def: $vgpr161
	s_wait_loadcnt_dscnt 0x1
	v_mul_f32_e32 v30, v158, v29
	v_mul_f32_e32 v31, v157, v29
	;; [unrolled: 1-line block ×4, first 2 shown]
	ds_store_2addr_b32 v49, v30, v31 offset1:67
	ds_store_2addr_b32 v49, v32, v29 offset0:134 offset1:201
	s_wait_dscnt 0x0
	s_barrier_signal -1
	s_barrier_wait -1
	global_inv scope:SCOPE_SE
	ds_load_2addr_b32 v[31:32], v97 offset1:1
	ds_load_2addr_b32 v[29:30], v97 offset0:2 offset1:3
	s_wait_loadcnt_dscnt 0x0
	s_barrier_signal -1
	s_barrier_wait -1
	global_inv scope:SCOPE_SE
	s_wait_alu 0xfffe
	s_cbranch_vccnz .LBB75_115
; %bb.106:                              ;   in Loop: Header=BB75_69 Depth=2
	v_dual_mov_b32 v162, 0 :: v_dual_mov_b32 v161, 0
	s_mov_b32 s18, exec_lo
	v_cmpx_gt_i32_e64 s92, v64
	s_cbranch_execz .LBB75_108
; %bb.107:                              ;   in Loop: Header=BB75_69 Depth=2
	global_load_b32 v161, v[33:34], off
.LBB75_108:                             ;   in Loop: Header=BB75_69 Depth=2
	s_wait_alu 0xfffe
	s_or_b32 exec_lo, exec_lo, s18
	s_delay_alu instid0(SALU_CYCLE_1)
	s_mov_b32 s18, exec_lo
	v_cmpx_gt_i32_e64 s92, v65
	s_cbranch_execz .LBB75_110
; %bb.109:                              ;   in Loop: Header=BB75_69 Depth=2
	v_add_co_u32 v162, vcc_lo, v139, v72
	s_wait_alu 0xfffd
	v_add_co_ci_u32_e64 v163, null, v140, v73, vcc_lo
	global_load_b32 v162, v[162:163], off
.LBB75_110:                             ;   in Loop: Header=BB75_69 Depth=2
	s_wait_alu 0xfffe
	s_or_b32 exec_lo, exec_lo, s18
	v_dual_mov_b32 v164, 0 :: v_dual_mov_b32 v163, 0
	s_mov_b32 s18, exec_lo
	v_cmpx_gt_i32_e64 s92, v66
	s_cbranch_execz .LBB75_112
; %bb.111:                              ;   in Loop: Header=BB75_69 Depth=2
	v_add_co_u32 v165, vcc_lo, v141, v72
	s_wait_alu 0xfffd
	v_add_co_ci_u32_e64 v166, null, v142, v73, vcc_lo
	global_load_b32 v163, v[165:166], off
.LBB75_112:                             ;   in Loop: Header=BB75_69 Depth=2
	s_wait_alu 0xfffe
	s_or_b32 exec_lo, exec_lo, s18
	s_delay_alu instid0(SALU_CYCLE_1)
	s_mov_b32 s18, exec_lo
	v_cmpx_gt_i32_e64 s92, v67
	s_cbranch_execz .LBB75_114
; %bb.113:                              ;   in Loop: Header=BB75_69 Depth=2
	v_add_co_u32 v164, vcc_lo, v143, v72
	s_wait_alu 0xfffd
	v_add_co_ci_u32_e64 v165, null, v144, v73, vcc_lo
	global_load_b32 v164, v[164:165], off
.LBB75_114:                             ;   in Loop: Header=BB75_69 Depth=2
	s_wait_alu 0xfffe
	s_or_b32 exec_lo, exec_lo, s18
	s_mov_b32 s18, 0
.LBB75_115:                             ;   in Loop: Header=BB75_69 Depth=2
	s_wait_alu 0xfffe
	s_and_b32 vcc_lo, exec_lo, s18
	s_wait_alu 0xfffe
	s_cbranch_vccz .LBB75_117
; %bb.116:                              ;   in Loop: Header=BB75_69 Depth=2
	s_wait_loadcnt 0x0
	global_load_b32 v161, v[33:34], off
	v_add_co_u32 v33, vcc_lo, v139, v72
	s_wait_alu 0xfffd
	v_add_co_ci_u32_e64 v34, null, v140, v73, vcc_lo
	global_load_b32 v162, v[33:34], off
	v_add_co_u32 v33, vcc_lo, v145, v72
	s_wait_alu 0xfffd
	v_add_co_ci_u32_e64 v34, null, v146, v73, vcc_lo
	;; [unrolled: 4-line block ×3, first 2 shown]
	global_load_b32 v164, v[33:34], off
.LBB75_117:                             ;   in Loop: Header=BB75_69 Depth=2
	v_dual_add_f32 v31, 0, v31 :: v_dual_add_f32 v14, 0, v14
	v_add_f32_e32 v27, 0, v27
	v_cmp_gt_i32_e32 vcc_lo, s92, v16
	s_delay_alu instid0(VALU_DEP_3) | instskip(NEXT) | instid1(VALU_DEP_3)
	v_dual_add_f32 v31, v31, v32 :: v_dual_add_f32 v14, v14, v15
	v_add_f32_e32 v27, v27, v28
	s_or_b32 s18, s83, vcc_lo
	s_wait_alu 0xfffe
	s_and_b32 s83, s17, s18
	v_dual_add_f32 v29, v31, v29 :: v_dual_add_f32 v12, v14, v12
	v_add_f32_e32 v25, v27, v25
	s_delay_alu instid0(VALU_DEP_2) | instskip(NEXT) | instid1(VALU_DEP_2)
	v_dual_add_f32 v29, v29, v30 :: v_dual_add_f32 v28, v12, v13
	v_add_f32_e32 v27, v25, v26
	ds_load_b32 v25, v39
	ds_load_b128 v[12:15], v48 offset:192
	s_wait_loadcnt_dscnt 0x1
	v_mul_f32_e32 v26, v161, v25
	v_mul_f32_e32 v30, v162, v25
	ds_store_2addr_b32 v49, v26, v30 offset1:67
	v_mul_f32_e32 v26, v163, v25
	v_mul_f32_e32 v25, v164, v25
	ds_store_2addr_b32 v49, v26, v25 offset0:134 offset1:201
	s_wait_dscnt 0x0
	s_barrier_signal -1
	s_barrier_wait -1
	global_inv scope:SCOPE_SE
	ds_load_2addr_b32 v[25:26], v97 offset1:1
	s_wait_dscnt 0x0
	v_add_f32_e32 v25, 0, v25
	s_delay_alu instid0(VALU_DEP_1)
	v_add_f32_e32 v30, v25, v26
	ds_load_2addr_b32 v[25:26], v97 offset0:2 offset1:3
	s_wait_loadcnt_dscnt 0x0
	s_barrier_signal -1
	s_barrier_wait -1
	global_inv scope:SCOPE_SE
	v_add_f32_e32 v25, v30, v25
	s_delay_alu instid0(VALU_DEP_1)
	v_add_f32_e32 v25, v25, v26
	ds_store_2addr_b32 v50, v28, v27 offset1:16
	ds_store_2addr_b32 v50, v29, v25 offset0:32 offset1:48
	s_wait_loadcnt_dscnt 0x0
	s_barrier_signal -1
	s_barrier_wait -1
	global_inv scope:SCOPE_SE
	s_wait_alu 0xfffe
	s_and_saveexec_b32 s18, s83
	s_cbranch_execz .LBB75_119
; %bb.118:                              ;   in Loop: Header=BB75_69 Depth=2
	ds_load_2addr_b32 v[25:26], v51 offset1:1
	ds_load_2addr_b32 v[27:28], v51 offset0:2 offset1:3
	ds_load_2addr_b32 v[29:30], v51 offset0:4 offset1:5
	;; [unrolled: 1-line block ×3, first 2 shown]
	s_wait_dscnt 0x3
	v_add_f32_e32 v25, v25, v26
	s_wait_dscnt 0x2
	s_delay_alu instid0(VALU_DEP_1) | instskip(NEXT) | instid1(VALU_DEP_1)
	v_add_f32_e32 v25, v25, v27
	v_add_f32_e32 v27, v25, v28
	ds_load_2addr_b32 v[25:26], v51 offset0:8 offset1:9
	s_wait_dscnt 0x2
	v_add_f32_e32 v27, v27, v29
	s_delay_alu instid0(VALU_DEP_1) | instskip(SKIP_3) | instid1(VALU_DEP_1)
	v_add_f32_e32 v29, v27, v30
	ds_load_2addr_b32 v[27:28], v51 offset0:10 offset1:11
	s_wait_dscnt 0x2
	v_add_f32_e32 v29, v29, v31
	v_add_f32_e32 v31, v29, v32
	ds_load_2addr_b32 v[29:30], v51 offset0:12 offset1:13
	ds_load_b32 v32, v51 offset:56
	s_wait_dscnt 0x3
	v_add_f32_e32 v25, v31, v25
	s_delay_alu instid0(VALU_DEP_1) | instskip(SKIP_1) | instid1(VALU_DEP_1)
	v_add_f32_e32 v25, v25, v26
	s_wait_dscnt 0x2
	v_add_f32_e32 v25, v25, v27
	ds_load_b32 v27, v52
	v_add_f32_e32 v25, v25, v28
	s_wait_dscnt 0x2
	s_delay_alu instid0(VALU_DEP_1) | instskip(NEXT) | instid1(VALU_DEP_1)
	v_add_f32_e32 v25, v25, v29
	v_add_f32_e32 v26, v25, v30
	v_ashrrev_i32_e32 v25, 31, v24
	s_wait_dscnt 0x1
	s_delay_alu instid0(VALU_DEP_2) | instskip(NEXT) | instid1(VALU_DEP_2)
	v_add_f32_e32 v28, v26, v32
	v_lshlrev_b64_e32 v[25:26], 2, v[24:25]
	s_wait_dscnt 0x0
	s_delay_alu instid0(VALU_DEP_2) | instskip(NEXT) | instid1(VALU_DEP_2)
	v_add_f32_e32 v27, v28, v27
	v_add_co_u32 v25, vcc_lo, s80, v25
	s_wait_alu 0xfffd
	s_delay_alu instid0(VALU_DEP_3)
	v_add_co_ci_u32_e64 v26, null, s81, v26, vcc_lo
	global_store_b32 v[25:26], v27, off
.LBB75_119:                             ;   in Loop: Header=BB75_69 Depth=2
	s_wait_alu 0xfffe
	s_or_b32 exec_lo, exec_lo, s18
	v_fmac_f32_e32 v98, v152, v0
	v_add_co_u32 v101, vcc_lo, v101, s44
	s_wait_alu 0xfffd
	v_add_co_ci_u32_e64 v102, null, s45, v102, vcc_lo
	s_delay_alu instid0(VALU_DEP_3) | instskip(SKIP_3) | instid1(VALU_DEP_3)
	v_fmac_f32_e32 v98, v149, v1
	v_add_co_u32 v103, vcc_lo, v103, s44
	s_wait_alu 0xfffd
	v_add_co_ci_u32_e64 v104, null, s45, v104, vcc_lo
	v_fmac_f32_e32 v98, v151, v2
	v_add_co_u32 v105, vcc_lo, v105, s44
	s_wait_alu 0xfffd
	v_add_co_ci_u32_e64 v106, null, s45, v106, vcc_lo
	s_delay_alu instid0(VALU_DEP_3) | instskip(SKIP_3) | instid1(VALU_DEP_3)
	v_fmac_f32_e32 v98, v150, v3
	v_add_co_u32 v107, vcc_lo, v107, s44
	s_wait_alu 0xfffd
	v_add_co_ci_u32_e64 v108, null, s45, v108, vcc_lo
	;; [unrolled: 9-line block ×4, first 2 shown]
	v_fmac_f32_e32 v98, v158, v8
	v_add_co_u32 v117, vcc_lo, v117, s44
	s_wait_alu 0xfffd
	v_add_co_ci_u32_e64 v118, null, s45, v118, vcc_lo
	s_delay_alu instid0(VALU_DEP_3)
	v_fmac_f32_e32 v98, v157, v9
	v_add_co_u32 v119, vcc_lo, v119, s44
	s_wait_alu 0xfffd
	v_add_co_ci_u32_e64 v120, null, s45, v120, vcc_lo
	v_add_co_u32 v121, vcc_lo, v121, s44
	s_wait_alu 0xfffd
	v_add_co_ci_u32_e64 v122, null, s45, v122, vcc_lo
	v_add_co_u32 v123, vcc_lo, v123, s44
	v_fmac_f32_e32 v98, v160, v10
	s_wait_alu 0xfffd
	v_add_co_ci_u32_e64 v124, null, s45, v124, vcc_lo
	v_add_co_u32 v125, vcc_lo, v125, s44
	s_wait_alu 0xfffd
	v_add_co_ci_u32_e64 v126, null, s45, v126, vcc_lo
	v_add_co_u32 v127, vcc_lo, v127, s44
	v_fmac_f32_e32 v98, v159, v11
	s_wait_alu 0xfffd
	v_add_co_ci_u32_e64 v128, null, s45, v128, vcc_lo
	v_add_co_u32 v129, vcc_lo, v129, s44
	s_wait_alu 0xfffd
	v_add_co_ci_u32_e64 v130, null, s45, v130, vcc_lo
	v_add_co_u32 v131, vcc_lo, v131, s44
	;; [unrolled: 3-line block ×3, first 2 shown]
	v_fmac_f32_e32 v98, v161, v12
	s_wait_alu 0xfffd
	v_add_co_ci_u32_e64 v134, null, s45, v134, vcc_lo
	v_add_co_u32 v135, vcc_lo, v135, s44
	s_wait_alu 0xfffd
	v_add_co_ci_u32_e64 v136, null, s45, v136, vcc_lo
	v_add_co_u32 v137, vcc_lo, v137, s44
	v_fmac_f32_e32 v98, v162, v13
	s_wait_alu 0xfffd
	v_add_co_ci_u32_e64 v138, null, s45, v138, vcc_lo
	v_add_co_u32 v139, vcc_lo, v139, s44
	s_wait_alu 0xfffd
	v_add_co_ci_u32_e64 v140, null, s45, v140, vcc_lo
	v_add_co_u32 v141, vcc_lo, v141, s44
	;; [unrolled: 3-line block ×3, first 2 shown]
	v_fmac_f32_e32 v98, v163, v14
	s_wait_alu 0xfffd
	v_add_co_ci_u32_e64 v144, null, s45, v144, vcc_lo
	v_add_co_u32 v145, vcc_lo, v145, s44
	s_wait_alu 0xfffd
	v_add_co_ci_u32_e64 v146, null, s45, v146, vcc_lo
	v_add_co_u32 v147, vcc_lo, v147, s44
	v_add_nc_u32_e32 v24, 64, v24
	v_fmac_f32_e32 v98, v164, v15
	s_wait_alu 0xfffd
	v_add_co_ci_u32_e64 v148, null, s45, v148, vcc_lo
	s_add_co_i32 s83, s91, 2
	s_add_co_i32 s18, s91, 1
	;; [unrolled: 1-line block ×3, first 2 shown]
	s_wait_alu 0xfffe
	s_cmp_ge_u32 s83, s30
	s_wait_loadcnt 0x0
	s_wait_storecnt 0x0
	s_barrier_signal -1
	s_barrier_wait -1
	global_inv scope:SCOPE_SE
	s_cbranch_scc1 .LBB75_121
; %bb.120:                              ;   in Loop: Header=BB75_69 Depth=2
	s_mov_b32 s91, s18
	s_delay_alu instid0(SALU_CYCLE_1)
	s_cmp_eq_u32 s87, s91
	s_cselect_b32 s92, s84, 0
	s_and_saveexec_b32 s18, s0
	s_cbranch_execnz .LBB75_66
	s_branch .LBB75_69
.LBB75_121:                             ;   in Loop: Header=BB75_4 Depth=1
	ds_store_b32 v68, v98
	s_wait_loadcnt_dscnt 0x0
	s_barrier_signal -1
	s_barrier_wait -1
	global_inv scope:SCOPE_SE
	s_and_saveexec_b32 s18, s89
	s_cbranch_execz .LBB75_2
; %bb.122:                              ;   in Loop: Header=BB75_4 Depth=1
	ds_load_2addr_b32 v[0:1], v35 offset1:67
	ds_load_2addr_b32 v[2:3], v35 offset0:134 offset1:201
	s_wait_dscnt 0x1
	v_add_f32_e32 v0, v0, v1
	s_wait_dscnt 0x0
	s_delay_alu instid0(VALU_DEP_1) | instskip(NEXT) | instid1(VALU_DEP_1)
	v_add_f32_e32 v0, v0, v2
	v_add_f32_e32 v2, v0, v3
	s_wait_alu 0xfffe
	v_add_co_u32 v0, vcc_lo, s80, v22
	s_wait_alu 0xfffd
	v_add_co_ci_u32_e64 v1, null, s81, v23, vcc_lo
	global_store_b32 v[0:1], v2, off
	s_branch .LBB75_2
.LBB75_123:                             ;   in Loop: Header=BB75_4 Depth=1
	ds_load_b32 v0, v92
	s_wait_dscnt 0x0
	ds_store_b32 v43, v0
	s_wait_alu 0xfffe
	s_or_b32 exec_lo, exec_lo, s18
	s_and_saveexec_b32 s18, s7
	s_cbranch_execz .LBB75_24
.LBB75_124:                             ;   in Loop: Header=BB75_4 Depth=1
	ds_load_b32 v0, v93
	s_wait_dscnt 0x0
	ds_store_b32 v43, v0 offset:4
	s_wait_alu 0xfffe
	s_or_b32 exec_lo, exec_lo, s18
	s_and_saveexec_b32 s18, s8
	s_cbranch_execz .LBB75_25
.LBB75_125:                             ;   in Loop: Header=BB75_4 Depth=1
	ds_load_b32 v0, v93 offset:132
	s_wait_dscnt 0x0
	ds_store_b32 v43, v0 offset:8
	s_wait_alu 0xfffe
	s_or_b32 exec_lo, exec_lo, s18
	s_and_saveexec_b32 s18, s9
	s_cbranch_execnz .LBB75_26
	s_branch .LBB75_27
.LBB75_126:                             ;   in Loop: Header=BB75_4 Depth=1
	ds_load_b32 v2, v92
	s_wait_dscnt 0x0
	ds_store_b32 v43, v2
	s_wait_alu 0xfffe
	s_or_b32 exec_lo, exec_lo, s18
	s_and_saveexec_b32 s18, s7
	s_cbranch_execz .LBB75_43
.LBB75_127:                             ;   in Loop: Header=BB75_4 Depth=1
	ds_load_b32 v2, v93
	s_wait_dscnt 0x0
	ds_store_b32 v43, v2 offset:4
	s_wait_alu 0xfffe
	s_or_b32 exec_lo, exec_lo, s18
	s_and_saveexec_b32 s18, s8
	s_cbranch_execz .LBB75_44
.LBB75_128:                             ;   in Loop: Header=BB75_4 Depth=1
	ds_load_b32 v2, v93 offset:132
	s_wait_dscnt 0x0
	ds_store_b32 v43, v2 offset:8
	s_wait_alu 0xfffe
	s_or_b32 exec_lo, exec_lo, s18
	s_and_saveexec_b32 s18, s9
	s_cbranch_execnz .LBB75_45
	s_branch .LBB75_46
.LBB75_129:
	s_nop 0
	s_sendmsg sendmsg(MSG_DEALLOC_VGPRS)
	s_endpgm
	.section	.rodata,"a",@progbits
	.p2align	6, 0x0
	.amdhsa_kernel _ZL26rocblas_hemvn_kernel_upperILb0ELi64ELi4ELi33ELi32ELi16EifPKfPfEviT6_lT7_lT5_lS4_lS5_lS3_lT8_i
		.amdhsa_group_segment_fixed_size 4800
		.amdhsa_private_segment_fixed_size 0
		.amdhsa_kernarg_size 368
		.amdhsa_user_sgpr_count 2
		.amdhsa_user_sgpr_dispatch_ptr 0
		.amdhsa_user_sgpr_queue_ptr 0
		.amdhsa_user_sgpr_kernarg_segment_ptr 1
		.amdhsa_user_sgpr_dispatch_id 0
		.amdhsa_user_sgpr_private_segment_size 0
		.amdhsa_wavefront_size32 1
		.amdhsa_uses_dynamic_stack 0
		.amdhsa_enable_private_segment 0
		.amdhsa_system_sgpr_workgroup_id_x 1
		.amdhsa_system_sgpr_workgroup_id_y 0
		.amdhsa_system_sgpr_workgroup_id_z 1
		.amdhsa_system_sgpr_workgroup_info 0
		.amdhsa_system_vgpr_workitem_id 1
		.amdhsa_next_free_vgpr 167
		.amdhsa_next_free_sgpr 100
		.amdhsa_reserve_vcc 1
		.amdhsa_float_round_mode_32 0
		.amdhsa_float_round_mode_16_64 0
		.amdhsa_float_denorm_mode_32 3
		.amdhsa_float_denorm_mode_16_64 3
		.amdhsa_fp16_overflow 0
		.amdhsa_workgroup_processor_mode 1
		.amdhsa_memory_ordered 1
		.amdhsa_forward_progress 1
		.amdhsa_inst_pref_size 72
		.amdhsa_round_robin_scheduling 0
		.amdhsa_exception_fp_ieee_invalid_op 0
		.amdhsa_exception_fp_denorm_src 0
		.amdhsa_exception_fp_ieee_div_zero 0
		.amdhsa_exception_fp_ieee_overflow 0
		.amdhsa_exception_fp_ieee_underflow 0
		.amdhsa_exception_fp_ieee_inexact 0
		.amdhsa_exception_int_div_zero 0
	.end_amdhsa_kernel
	.section	.text._ZL26rocblas_hemvn_kernel_upperILb0ELi64ELi4ELi33ELi32ELi16EifPKfPfEviT6_lT7_lT5_lS4_lS5_lS3_lT8_i,"axG",@progbits,_ZL26rocblas_hemvn_kernel_upperILb0ELi64ELi4ELi33ELi32ELi16EifPKfPfEviT6_lT7_lT5_lS4_lS5_lS3_lT8_i,comdat
.Lfunc_end75:
	.size	_ZL26rocblas_hemvn_kernel_upperILb0ELi64ELi4ELi33ELi32ELi16EifPKfPfEviT6_lT7_lT5_lS4_lS5_lS3_lT8_i, .Lfunc_end75-_ZL26rocblas_hemvn_kernel_upperILb0ELi64ELi4ELi33ELi32ELi16EifPKfPfEviT6_lT7_lT5_lS4_lS5_lS3_lT8_i
                                        ; -- End function
	.set _ZL26rocblas_hemvn_kernel_upperILb0ELi64ELi4ELi33ELi32ELi16EifPKfPfEviT6_lT7_lT5_lS4_lS5_lS3_lT8_i.num_vgpr, 167
	.set _ZL26rocblas_hemvn_kernel_upperILb0ELi64ELi4ELi33ELi32ELi16EifPKfPfEviT6_lT7_lT5_lS4_lS5_lS3_lT8_i.num_agpr, 0
	.set _ZL26rocblas_hemvn_kernel_upperILb0ELi64ELi4ELi33ELi32ELi16EifPKfPfEviT6_lT7_lT5_lS4_lS5_lS3_lT8_i.numbered_sgpr, 100
	.set _ZL26rocblas_hemvn_kernel_upperILb0ELi64ELi4ELi33ELi32ELi16EifPKfPfEviT6_lT7_lT5_lS4_lS5_lS3_lT8_i.num_named_barrier, 0
	.set _ZL26rocblas_hemvn_kernel_upperILb0ELi64ELi4ELi33ELi32ELi16EifPKfPfEviT6_lT7_lT5_lS4_lS5_lS3_lT8_i.private_seg_size, 0
	.set _ZL26rocblas_hemvn_kernel_upperILb0ELi64ELi4ELi33ELi32ELi16EifPKfPfEviT6_lT7_lT5_lS4_lS5_lS3_lT8_i.uses_vcc, 1
	.set _ZL26rocblas_hemvn_kernel_upperILb0ELi64ELi4ELi33ELi32ELi16EifPKfPfEviT6_lT7_lT5_lS4_lS5_lS3_lT8_i.uses_flat_scratch, 0
	.set _ZL26rocblas_hemvn_kernel_upperILb0ELi64ELi4ELi33ELi32ELi16EifPKfPfEviT6_lT7_lT5_lS4_lS5_lS3_lT8_i.has_dyn_sized_stack, 0
	.set _ZL26rocblas_hemvn_kernel_upperILb0ELi64ELi4ELi33ELi32ELi16EifPKfPfEviT6_lT7_lT5_lS4_lS5_lS3_lT8_i.has_recursion, 0
	.set _ZL26rocblas_hemvn_kernel_upperILb0ELi64ELi4ELi33ELi32ELi16EifPKfPfEviT6_lT7_lT5_lS4_lS5_lS3_lT8_i.has_indirect_call, 0
	.section	.AMDGPU.csdata,"",@progbits
; Kernel info:
; codeLenInByte = 9192
; TotalNumSgprs: 102
; NumVgprs: 167
; ScratchSize: 0
; MemoryBound: 0
; FloatMode: 240
; IeeeMode: 1
; LDSByteSize: 4800 bytes/workgroup (compile time only)
; SGPRBlocks: 0
; VGPRBlocks: 20
; NumSGPRsForWavesPerEU: 102
; NumVGPRsForWavesPerEU: 167
; Occupancy: 9
; WaveLimiterHint : 0
; COMPUTE_PGM_RSRC2:SCRATCH_EN: 0
; COMPUTE_PGM_RSRC2:USER_SGPR: 2
; COMPUTE_PGM_RSRC2:TRAP_HANDLER: 0
; COMPUTE_PGM_RSRC2:TGID_X_EN: 1
; COMPUTE_PGM_RSRC2:TGID_Y_EN: 0
; COMPUTE_PGM_RSRC2:TGID_Z_EN: 1
; COMPUTE_PGM_RSRC2:TIDIG_COMP_CNT: 1
	.section	.text._ZL36rocblas_hemvn_kernel_upper_block_sumILi64EifPffEviT1_lS1_lT2_lT0_lPT3_i,"axG",@progbits,_ZL36rocblas_hemvn_kernel_upper_block_sumILi64EifPffEviT1_lS1_lT2_lT0_lPT3_i,comdat
	.globl	_ZL36rocblas_hemvn_kernel_upper_block_sumILi64EifPffEviT1_lS1_lT2_lT0_lPT3_i ; -- Begin function _ZL36rocblas_hemvn_kernel_upper_block_sumILi64EifPffEviT1_lS1_lT2_lT0_lPT3_i
	.p2align	8
	.type	_ZL36rocblas_hemvn_kernel_upper_block_sumILi64EifPffEviT1_lS1_lT2_lT0_lPT3_i,@function
_ZL36rocblas_hemvn_kernel_upper_block_sumILi64EifPffEviT1_lS1_lT2_lT0_lPT3_i: ; @_ZL36rocblas_hemvn_kernel_upper_block_sumILi64EifPffEviT1_lS1_lT2_lT0_lPT3_i
; %bb.0:
	s_load_b32 s3, s[0:1], 0x48
	s_lshr_b32 s12, ttmp7, 16
	s_wait_kmcnt 0x0
	s_cmp_ge_u32 s12, s3
	s_cbranch_scc1 .LBB76_25
; %bb.1:
	s_clause 0x4
	s_load_b128 s[8:11], s[0:1], 0x20
	s_load_b64 s[14:15], s[0:1], 0x0
	s_load_b32 s16, s[0:1], 0x10
	s_load_b32 s18, s[0:1], 0x30
	s_load_b128 s[4:7], s[0:1], 0x38
	v_lshl_or_b32 v0, ttmp9, 6, v0
	s_mov_b32 s13, 0
	s_add_nc_u64 s[0:1], s[0:1], 0x50
	s_delay_alu instid0(VALU_DEP_1) | instskip(NEXT) | instid1(VALU_DEP_1)
	v_ashrrev_i32_e32 v1, 31, v0
	v_lshlrev_b64_e32 v[1:2], 2, v[0:1]
	s_wait_kmcnt 0x0
	s_lshl_b64 s[10:11], s[10:11], 2
	s_cmp_eq_f32 s15, 0
	v_cmp_gt_i32_e64 s2, s14, v0
	v_mul_lo_u32 v3, s18, v0
	v_add_co_u32 v0, vcc_lo, s6, v1
	s_cselect_b32 s17, -1, 0
	s_cmp_neq_f32 s15, 0
	v_add_co_ci_u32_e64 v1, null, s7, v2, vcc_lo
	s_mov_b32 s22, s14
	s_cselect_b32 s19, -1, 0
	s_cmp_neq_f32 s16, 1.0
	v_ashrrev_i32_e32 v4, 31, v3
	s_add_nc_u64 s[6:7], s[8:9], s[10:11]
	s_cselect_b32 s18, -1, 0
	s_wait_alu 0xfffe
	s_or_b32 s18, s19, s18
	s_cmp_neq_f32 s16, 0
	v_lshlrev_b64_e32 v[2:3], 2, v[3:4]
	s_cselect_b32 s19, -1, 0
	s_cmp_eq_f32 s16, 0
	s_cselect_b32 s20, -1, 0
	s_ashr_i32 s23, s14, 31
	s_cmp_gt_i32 ttmp9, -1
	s_cselect_b32 s14, -1, 0
	s_add_co_i32 s21, ttmp9, 1
	s_lshl_b64 s[8:9], s[22:23], 2
	s_branch .LBB76_4
.LBB76_2:                               ;   in Loop: Header=BB76_4 Depth=1
	s_or_b32 exec_lo, exec_lo, s23
.LBB76_3:                               ;   in Loop: Header=BB76_4 Depth=1
	s_add_co_i32 s12, s12, 0x10000
	s_wait_alu 0xfffe
	s_cmp_lt_u32 s12, s3
	s_cbranch_scc0 .LBB76_25
.LBB76_4:                               ; =>This Loop Header: Depth=1
                                        ;     Child Loop BB76_16 Depth 2
	s_wait_alu 0xfffe
	s_and_not1_b32 vcc_lo, exec_lo, s18
	s_wait_alu 0xfffe
	s_cbranch_vccnz .LBB76_3
; %bb.5:                                ;   in Loop: Header=BB76_4 Depth=1
	s_mul_u64 s[10:11], s[4:5], s[12:13]
	s_and_not1_b32 vcc_lo, exec_lo, s17
	s_wait_alu 0xfffe
	s_lshl_b64 s[10:11], s[10:11], 2
	s_wait_alu 0xfffe
	s_add_nc_u64 s[10:11], s[6:7], s[10:11]
	s_cbranch_vccnz .LBB76_9
; %bb.6:                                ;   in Loop: Header=BB76_4 Depth=1
	s_mov_b32 s23, 0
	s_mov_b32 s22, 0
                                        ; implicit-def: $vgpr4
	s_and_saveexec_b32 s24, s2
	s_cbranch_execz .LBB76_10
; %bb.7:                                ;   in Loop: Header=BB76_4 Depth=1
	s_and_not1_b32 vcc_lo, exec_lo, s19
	s_wait_alu 0xfffe
	s_cbranch_vccnz .LBB76_11
; %bb.8:                                ;   in Loop: Header=BB76_4 Depth=1
	v_add_co_u32 v4, vcc_lo, s10, v2
	s_wait_alu 0xfffd
	v_add_co_ci_u32_e64 v5, null, s11, v3, vcc_lo
	global_load_b32 v4, v[4:5], off
	s_wait_loadcnt 0x0
	v_mul_f32_e32 v4, s16, v4
	s_branch .LBB76_12
.LBB76_9:                               ;   in Loop: Header=BB76_4 Depth=1
	s_mov_b32 s22, 0
                                        ; implicit-def: $vgpr4
	s_cbranch_execnz .LBB76_13
	s_branch .LBB76_23
.LBB76_10:                              ;   in Loop: Header=BB76_4 Depth=1
	s_wait_alu 0xfffe
	s_or_b32 exec_lo, exec_lo, s24
	s_delay_alu instid0(SALU_CYCLE_1)
	s_and_b32 vcc_lo, exec_lo, s23
	s_wait_alu 0xfffe
	s_cbranch_vccnz .LBB76_13
	s_branch .LBB76_23
.LBB76_11:                              ;   in Loop: Header=BB76_4 Depth=1
	v_mov_b32_e32 v4, 0
.LBB76_12:                              ;   in Loop: Header=BB76_4 Depth=1
	s_mov_b32 s22, exec_lo
	s_or_b32 exec_lo, exec_lo, s24
	s_delay_alu instid0(SALU_CYCLE_1)
	s_and_b32 vcc_lo, exec_lo, s23
	s_wait_alu 0xfffe
	s_cbranch_vccz .LBB76_23
.LBB76_13:                              ;   in Loop: Header=BB76_4 Depth=1
                                        ; implicit-def: $vgpr4
	s_and_saveexec_b32 s23, s2
	s_cbranch_execz .LBB76_22
; %bb.14:                               ;   in Loop: Header=BB76_4 Depth=1
	v_mov_b32_e32 v6, 0
	s_and_not1_b32 vcc_lo, exec_lo, s14
	s_wait_alu 0xfffe
	s_cbranch_vccnz .LBB76_17
; %bb.15:                               ;   in Loop: Header=BB76_4 Depth=1
	s_load_b32 s24, s[0:1], 0x0
	s_mov_b32 s25, s13
	s_wait_kmcnt 0x0
	s_wait_alu 0xfffe
	s_mul_u64 s[24:25], s[8:9], s[24:25]
	s_wait_alu 0xfffe
	v_mad_co_u64_u32 v[4:5], null, s24, s12, v[0:1]
	s_mov_b32 s24, s21
	v_mad_co_u64_u32 v[5:6], null, s25, s12, v[5:6]
	v_mov_b32_e32 v6, 0
.LBB76_16:                              ;   Parent Loop BB76_4 Depth=1
                                        ; =>  This Inner Loop Header: Depth=2
	global_load_b32 v7, v[4:5], off
	v_add_co_u32 v4, vcc_lo, v4, s8
	s_wait_alu 0xfffd
	v_add_co_ci_u32_e64 v5, null, s9, v5, vcc_lo
	s_wait_alu 0xfffe
	s_add_co_i32 s24, s24, -1
	s_wait_alu 0xfffe
	s_cmp_eq_u32 s24, 0
	s_wait_loadcnt 0x0
	v_add_f32_e32 v6, v6, v7
	s_cbranch_scc0 .LBB76_16
.LBB76_17:                              ;   in Loop: Header=BB76_4 Depth=1
	s_and_b32 vcc_lo, exec_lo, s20
	s_mov_b32 s24, -1
                                        ; implicit-def: $vgpr4
	s_wait_alu 0xfffe
	s_cbranch_vccz .LBB76_19
; %bb.18:                               ;   in Loop: Header=BB76_4 Depth=1
	v_mul_f32_e32 v4, s15, v6
	s_mov_b32 s24, 0
.LBB76_19:                              ;   in Loop: Header=BB76_4 Depth=1
	s_wait_alu 0xfffe
	s_and_not1_b32 vcc_lo, exec_lo, s24
	s_wait_alu 0xfffe
	s_cbranch_vccnz .LBB76_21
; %bb.20:                               ;   in Loop: Header=BB76_4 Depth=1
	v_add_co_u32 v4, vcc_lo, s10, v2
	s_wait_alu 0xfffd
	v_add_co_ci_u32_e64 v5, null, s11, v3, vcc_lo
	global_load_b32 v4, v[4:5], off
	s_wait_loadcnt 0x0
	v_mul_f32_e32 v4, s16, v4
	s_delay_alu instid0(VALU_DEP_1)
	v_fmac_f32_e32 v4, s15, v6
.LBB76_21:                              ;   in Loop: Header=BB76_4 Depth=1
	s_or_b32 s22, s22, exec_lo
.LBB76_22:                              ;   in Loop: Header=BB76_4 Depth=1
	s_or_b32 exec_lo, exec_lo, s23
.LBB76_23:                              ;   in Loop: Header=BB76_4 Depth=1
	s_and_saveexec_b32 s23, s22
	s_cbranch_execz .LBB76_2
; %bb.24:                               ;   in Loop: Header=BB76_4 Depth=1
	s_wait_alu 0xfffe
	v_add_co_u32 v5, vcc_lo, s10, v2
	s_wait_alu 0xfffd
	v_add_co_ci_u32_e64 v6, null, s11, v3, vcc_lo
	global_store_b32 v[5:6], v4, off
	s_branch .LBB76_2
.LBB76_25:
	s_endpgm
	.section	.rodata,"a",@progbits
	.p2align	6, 0x0
	.amdhsa_kernel _ZL36rocblas_hemvn_kernel_upper_block_sumILi64EifPffEviT1_lS1_lT2_lT0_lPT3_i
		.amdhsa_group_segment_fixed_size 0
		.amdhsa_private_segment_fixed_size 0
		.amdhsa_kernarg_size 336
		.amdhsa_user_sgpr_count 2
		.amdhsa_user_sgpr_dispatch_ptr 0
		.amdhsa_user_sgpr_queue_ptr 0
		.amdhsa_user_sgpr_kernarg_segment_ptr 1
		.amdhsa_user_sgpr_dispatch_id 0
		.amdhsa_user_sgpr_private_segment_size 0
		.amdhsa_wavefront_size32 1
		.amdhsa_uses_dynamic_stack 0
		.amdhsa_enable_private_segment 0
		.amdhsa_system_sgpr_workgroup_id_x 1
		.amdhsa_system_sgpr_workgroup_id_y 0
		.amdhsa_system_sgpr_workgroup_id_z 1
		.amdhsa_system_sgpr_workgroup_info 0
		.amdhsa_system_vgpr_workitem_id 0
		.amdhsa_next_free_vgpr 8
		.amdhsa_next_free_sgpr 26
		.amdhsa_reserve_vcc 1
		.amdhsa_float_round_mode_32 0
		.amdhsa_float_round_mode_16_64 0
		.amdhsa_float_denorm_mode_32 3
		.amdhsa_float_denorm_mode_16_64 3
		.amdhsa_fp16_overflow 0
		.amdhsa_workgroup_processor_mode 1
		.amdhsa_memory_ordered 1
		.amdhsa_forward_progress 1
		.amdhsa_inst_pref_size 6
		.amdhsa_round_robin_scheduling 0
		.amdhsa_exception_fp_ieee_invalid_op 0
		.amdhsa_exception_fp_denorm_src 0
		.amdhsa_exception_fp_ieee_div_zero 0
		.amdhsa_exception_fp_ieee_overflow 0
		.amdhsa_exception_fp_ieee_underflow 0
		.amdhsa_exception_fp_ieee_inexact 0
		.amdhsa_exception_int_div_zero 0
	.end_amdhsa_kernel
	.section	.text._ZL36rocblas_hemvn_kernel_upper_block_sumILi64EifPffEviT1_lS1_lT2_lT0_lPT3_i,"axG",@progbits,_ZL36rocblas_hemvn_kernel_upper_block_sumILi64EifPffEviT1_lS1_lT2_lT0_lPT3_i,comdat
.Lfunc_end76:
	.size	_ZL36rocblas_hemvn_kernel_upper_block_sumILi64EifPffEviT1_lS1_lT2_lT0_lPT3_i, .Lfunc_end76-_ZL36rocblas_hemvn_kernel_upper_block_sumILi64EifPffEviT1_lS1_lT2_lT0_lPT3_i
                                        ; -- End function
	.set _ZL36rocblas_hemvn_kernel_upper_block_sumILi64EifPffEviT1_lS1_lT2_lT0_lPT3_i.num_vgpr, 8
	.set _ZL36rocblas_hemvn_kernel_upper_block_sumILi64EifPffEviT1_lS1_lT2_lT0_lPT3_i.num_agpr, 0
	.set _ZL36rocblas_hemvn_kernel_upper_block_sumILi64EifPffEviT1_lS1_lT2_lT0_lPT3_i.numbered_sgpr, 26
	.set _ZL36rocblas_hemvn_kernel_upper_block_sumILi64EifPffEviT1_lS1_lT2_lT0_lPT3_i.num_named_barrier, 0
	.set _ZL36rocblas_hemvn_kernel_upper_block_sumILi64EifPffEviT1_lS1_lT2_lT0_lPT3_i.private_seg_size, 0
	.set _ZL36rocblas_hemvn_kernel_upper_block_sumILi64EifPffEviT1_lS1_lT2_lT0_lPT3_i.uses_vcc, 1
	.set _ZL36rocblas_hemvn_kernel_upper_block_sumILi64EifPffEviT1_lS1_lT2_lT0_lPT3_i.uses_flat_scratch, 0
	.set _ZL36rocblas_hemvn_kernel_upper_block_sumILi64EifPffEviT1_lS1_lT2_lT0_lPT3_i.has_dyn_sized_stack, 0
	.set _ZL36rocblas_hemvn_kernel_upper_block_sumILi64EifPffEviT1_lS1_lT2_lT0_lPT3_i.has_recursion, 0
	.set _ZL36rocblas_hemvn_kernel_upper_block_sumILi64EifPffEviT1_lS1_lT2_lT0_lPT3_i.has_indirect_call, 0
	.section	.AMDGPU.csdata,"",@progbits
; Kernel info:
; codeLenInByte = 720
; TotalNumSgprs: 28
; NumVgprs: 8
; ScratchSize: 0
; MemoryBound: 0
; FloatMode: 240
; IeeeMode: 1
; LDSByteSize: 0 bytes/workgroup (compile time only)
; SGPRBlocks: 0
; VGPRBlocks: 0
; NumSGPRsForWavesPerEU: 28
; NumVGPRsForWavesPerEU: 8
; Occupancy: 16
; WaveLimiterHint : 0
; COMPUTE_PGM_RSRC2:SCRATCH_EN: 0
; COMPUTE_PGM_RSRC2:USER_SGPR: 2
; COMPUTE_PGM_RSRC2:TRAP_HANDLER: 0
; COMPUTE_PGM_RSRC2:TGID_X_EN: 1
; COMPUTE_PGM_RSRC2:TGID_Y_EN: 0
; COMPUTE_PGM_RSRC2:TGID_Z_EN: 1
; COMPUTE_PGM_RSRC2:TIDIG_COMP_CNT: 0
	.section	.text._ZL50rocblas_symv_kernel_lower_double_buffered_diagonalILi32ELi4E24rocblas_internal_val_ptrIfEPKfPfEvbiT1_lT2_lllS6_lllS5_lT3_llli,"axG",@progbits,_ZL50rocblas_symv_kernel_lower_double_buffered_diagonalILi32ELi4E24rocblas_internal_val_ptrIfEPKfPfEvbiT1_lT2_lllS6_lllS5_lT3_llli,comdat
	.globl	_ZL50rocblas_symv_kernel_lower_double_buffered_diagonalILi32ELi4E24rocblas_internal_val_ptrIfEPKfPfEvbiT1_lT2_lllS6_lllS5_lT3_llli ; -- Begin function _ZL50rocblas_symv_kernel_lower_double_buffered_diagonalILi32ELi4E24rocblas_internal_val_ptrIfEPKfPfEvbiT1_lT2_lllS6_lllS5_lT3_llli
	.p2align	8
	.type	_ZL50rocblas_symv_kernel_lower_double_buffered_diagonalILi32ELi4E24rocblas_internal_val_ptrIfEPKfPfEvbiT1_lT2_lllS6_lllS5_lT3_llli,@function
_ZL50rocblas_symv_kernel_lower_double_buffered_diagonalILi32ELi4E24rocblas_internal_val_ptrIfEPKfPfEvbiT1_lT2_lllS6_lllS5_lT3_llli: ; @_ZL50rocblas_symv_kernel_lower_double_buffered_diagonalILi32ELi4E24rocblas_internal_val_ptrIfEPKfPfEvbiT1_lT2_lllS6_lllS5_lT3_llli
; %bb.0:
	s_load_b64 s[0:1], s[0:1], 0x4
	s_clause 0x1
	s_load_b512 s[8:23], s[2:3], 0x8
	s_load_b256 s[24:31], s[2:3], 0x48
	v_bfe_u32 v2, v0, 10, 10
	s_load_b32 s33, s[2:3], 0x88
	v_and_b32_e32 v1, 0x3ff, v0
	v_bfe_u32 v0, v0, 20, 10
	s_wait_kmcnt 0x0
	v_mul_u32_u24_e32 v3, s1, v2
	s_lshr_b32 s0, s0, 16
	v_mov_b32_e32 v4, s9
	s_wait_alu 0xfffe
	s_mul_i32 s0, s0, s1
	v_mov_b32_e32 v5, s28
	s_wait_alu 0xfffe
	v_mad_u32_u24 v3, s0, v1, v3
	s_lshr_b32 s28, ttmp7, 16
	v_mov_b32_e32 v6, s29
	s_wait_alu 0xfffe
	s_cmp_ge_u32 s28, s33
	v_add_lshl_u32 v0, v3, v0, 3
	v_mov_b32_e32 v3, s8
	s_delay_alu instid0(VALU_DEP_2)
	v_add_nc_u32_e32 v7, 0x80, v0
	ds_store_2addr_stride64_b64 v7, v[5:6], v[3:4] offset0:10 offset1:12
	s_cbranch_scc1 .LBB77_42
; %bb.1:
	s_clause 0x3
	s_load_b128 s[4:7], s[2:3], 0x70
	s_load_b64 s[8:9], s[2:3], 0x68
	s_load_b64 s[34:35], s[2:3], 0x80
	s_load_b32 s1, s[2:3], 0x0
	v_mad_co_u64_u32 v[6:7], null, s16, v2, 0
	v_add_nc_u32_e32 v4, 0x1880, v0
	v_mad_co_u64_u32 v[8:9], null, s24, v1, 0
	v_add_nc_u32_e32 v5, 0x1480, v0
	s_add_nc_u64 s[2:3], s[16:17], 1
	v_lshl_add_u32 v14, v2, 5, v1
	v_mov_b32_e32 v3, v7
	v_cmp_eq_u32_e64 s0, 0, v2
	v_mul_u32_u24_e32 v13, 0x7c, v1
	v_mov_b32_e32 v0, v9
	v_lshl_add_u32 v14, v14, 2, 0x1000
	v_mad_co_u64_u32 v[10:11], null, s17, v2, v[3:4]
	s_mov_b32 s29, 0
	s_wait_kmcnt 0x0
	v_mad_co_u64_u32 v[16:17], null, s6, v1, 0
	s_bitcmp1_b32 s1, 0
	v_mov_b32_e32 v7, v10
	s_cselect_b32 s1, -1, 0
	s_lshl_b32 s38, ttmp9, 5
	v_mov_b32_e32 v3, v17
	s_ashr_i32 s39, s38, 31
	s_lshl_b64 s[14:15], s[14:15], 2
	s_mul_u64 s[2:3], s[2:3], s[38:39]
	v_lshlrev_b64_e32 v[6:7], 2, v[6:7]
	v_mad_co_u64_u32 v[9:10], null, s7, v1, v[3:4]
	s_add_nc_u64 s[14:15], s[12:13], s[14:15]
	s_lshl_b64 s[2:3], s[2:3], 2
	v_lshlrev_b32_e32 v3, 2, v1
	s_add_nc_u64 s[2:3], s[14:15], s[2:3]
	s_lshl_b64 s[36:37], s[22:23], 2
	v_sub_co_u32 v11, s23, v1, v2
	v_mov_b32_e32 v17, v9
	v_mad_co_u64_u32 v[9:10], null, s25, v1, v[0:1]
	v_add_co_u32 v0, vcc_lo, s2, v6
	s_delay_alu instid0(VALU_DEP_1) | instskip(SKIP_1) | instid1(VALU_DEP_3)
	v_add_co_ci_u32_e64 v7, null, s3, v7, vcc_lo
	v_sub_nc_u32_e32 v12, 0, v11
	v_add_co_u32 v6, vcc_lo, v0, v3
	v_lshlrev_b32_e32 v0, 7, v2
	v_lshlrev_b32_e32 v2, 2, v2
	s_mul_u64 s[2:3], s[24:25], s[38:39]
	v_lshlrev_b64_e32 v[8:9], 2, v[8:9]
	s_add_nc_u64 s[20:21], s[20:21], s[36:37]
	s_wait_alu 0xfffe
	s_lshl_b64 s[2:3], s[2:3], 2
	v_add_nc_u32_e32 v18, 0x200, v0
	v_add_nc_u32_e32 v19, 0x400, v0
	v_max_i32_e32 v15, v11, v12
	v_add_nc_u32_e32 v20, 0x600, v0
	v_add3_u32 v12, v3, v13, v2
	v_add_nc_u32_e32 v21, 0xe00, v0
	v_add_nc_u32_e32 v13, 0x1400, v2
	;; [unrolled: 1-line block ×5, first 2 shown]
	s_lshl_b64 s[4:5], s[4:5], 2
	s_mul_u64 s[6:7], s[6:7], s[38:39]
	s_wait_alu 0xfffe
	s_add_nc_u64 s[2:3], s[20:21], s[2:3]
	s_add_nc_u64 s[4:5], s[8:9], s[4:5]
	s_lshl_b64 s[6:7], s[6:7], 2
	s_wait_alu 0xfffd
	v_add_co_ci_u32_e64 v7, null, 0, v7, vcc_lo
	s_wait_alu 0xfffe
	v_add_co_u32 v8, vcc_lo, s2, v8
	s_xor_b32 s22, s1, -1
	v_add_nc_u32_e32 v10, 0x1400, v3
	v_cmp_lt_u32_e64 s1, 15, v1
	v_add_nc_u32_e32 v11, v3, v0
	v_lshlrev_b64_e32 v[0:1], 2, v[16:17]
	s_add_nc_u64 s[12:13], s[4:5], s[6:7]
	s_wait_alu 0xfffd
	v_add_co_ci_u32_e64 v9, null, s3, v9, vcc_lo
	v_cmp_gt_u32_e64 s2, 4, v15
	v_cmp_gt_u32_e64 s3, 8, v15
	;; [unrolled: 1-line block ×7, first 2 shown]
	v_or_b32_e32 v15, 0x1000, v3
	v_add_nc_u32_e32 v16, v3, v18
	v_add_nc_u32_e32 v17, v3, v19
	;; [unrolled: 1-line block ×7, first 2 shown]
	s_lshl_b64 s[20:21], s[16:17], 2
	s_lshl_b64 s[14:15], s[16:17], 4
	;; [unrolled: 1-line block ×3, first 2 shown]
	s_branch .LBB77_4
.LBB77_2:                               ;   in Loop: Header=BB77_4 Depth=1
	s_wait_alu 0xfffe
	s_or_b32 exec_lo, exec_lo, s24
.LBB77_3:                               ;   in Loop: Header=BB77_4 Depth=1
	s_wait_alu 0xfffe
	s_or_b32 exec_lo, exec_lo, s9
	s_add_co_i32 s28, s28, 0x10000
	s_wait_alu 0xfffe
	s_cmp_lt_u32 s28, s33
	s_cbranch_scc0 .LBB77_42
.LBB77_4:                               ; =>This Inner Loop Header: Depth=1
	s_and_b32 vcc_lo, exec_lo, s22
	s_mov_b32 s9, -1
                                        ; implicit-def: $vgpr23
	s_wait_alu 0xfffe
	s_cbranch_vccnz .LBB77_32
; %bb.5:                                ;   in Loop: Header=BB77_4 Depth=1
	s_and_not1_b32 vcc_lo, exec_lo, s9
	s_wait_alu 0xfffe
	s_cbranch_vccz .LBB77_33
.LBB77_6:                               ;   in Loop: Header=BB77_4 Depth=1
	s_and_b32 vcc_lo, exec_lo, s22
	s_mov_b32 s9, -1
                                        ; implicit-def: $vgpr24
	s_wait_alu 0xfffe
	s_cbranch_vccnz .LBB77_34
.LBB77_7:                               ;   in Loop: Header=BB77_4 Depth=1
	s_and_not1_b32 vcc_lo, exec_lo, s9
	s_wait_alu 0xfffe
	s_cbranch_vccnz .LBB77_9
.LBB77_8:                               ;   in Loop: Header=BB77_4 Depth=1
	s_wait_loadcnt_dscnt 0x0
	ds_load_b32 v24, v5
.LBB77_9:                               ;   in Loop: Header=BB77_4 Depth=1
	s_wait_loadcnt_dscnt 0x0
	v_cmp_neq_f32_e32 vcc_lo, 0, v23
	v_cmp_neq_f32_e64 s9, 1.0, v24
	s_or_b32 s20, vcc_lo, s9
	s_wait_alu 0xfffe
	s_and_saveexec_b32 s9, s20
	s_cbranch_execz .LBB77_3
; %bb.10:                               ;   in Loop: Header=BB77_4 Depth=1
	s_mul_u64 s[20:21], s[34:35], s[28:29]
	s_mov_b32 s24, exec_lo
	s_wait_alu 0xfffe
	s_lshl_b64 s[20:21], s[20:21], 2
	s_wait_alu 0xfffe
	s_add_nc_u64 s[20:21], s[12:13], s[20:21]
	v_cmpx_eq_f32_e32 0, v23
	s_xor_b32 s24, exec_lo, s24
	s_cbranch_execz .LBB77_14
; %bb.11:                               ;   in Loop: Header=BB77_4 Depth=1
	s_and_saveexec_b32 s25, s0
	s_cbranch_execz .LBB77_13
; %bb.12:                               ;   in Loop: Header=BB77_4 Depth=1
	s_wait_alu 0xfffe
	v_add_co_u32 v2, vcc_lo, s20, v0
	s_wait_alu 0xfffd
	v_add_co_ci_u32_e64 v3, null, s21, v1, vcc_lo
	global_load_b32 v23, v[2:3], off
	s_wait_loadcnt 0x0
	v_mul_f32_e32 v23, v24, v23
	global_store_b32 v[2:3], v23, off
.LBB77_13:                              ;   in Loop: Header=BB77_4 Depth=1
	s_wait_alu 0xfffe
	s_or_b32 exec_lo, exec_lo, s25
                                        ; implicit-def: $vgpr23
                                        ; implicit-def: $vgpr24
.LBB77_14:                              ;   in Loop: Header=BB77_4 Depth=1
	s_wait_alu 0xfffe
	s_and_not1_saveexec_b32 s24, s24
	s_cbranch_execz .LBB77_3
; %bb.15:                               ;   in Loop: Header=BB77_4 Depth=1
	v_mov_b32_e32 v25, 0
	s_and_saveexec_b32 s24, s0
	s_cbranch_execz .LBB77_19
; %bb.16:                               ;   in Loop: Header=BB77_4 Depth=1
	v_mov_b32_e32 v25, 0
	s_mov_b32 s25, exec_lo
	v_cmpx_neq_f32_e32 0, v24
	s_cbranch_execz .LBB77_18
; %bb.17:                               ;   in Loop: Header=BB77_4 Depth=1
	v_add_co_u32 v2, vcc_lo, s20, v0
	s_wait_alu 0xfffd
	v_add_co_ci_u32_e64 v3, null, s21, v1, vcc_lo
	global_load_b32 v2, v[2:3], off
	s_wait_loadcnt 0x0
	v_mul_f32_e32 v25, v24, v2
.LBB77_18:                              ;   in Loop: Header=BB77_4 Depth=1
	s_wait_alu 0xfffe
	s_or_b32 exec_lo, exec_lo, s25
	s_mul_u64 s[36:37], s[26:27], s[28:29]
	s_wait_alu 0xfffe
	s_lshl_b64 s[36:37], s[36:37], 2
	s_wait_alu 0xfffe
	v_add_co_u32 v2, vcc_lo, v8, s36
	s_wait_alu 0xfffd
	v_add_co_ci_u32_e64 v3, null, s37, v9, vcc_lo
	global_load_b32 v2, v[2:3], off
	s_wait_loadcnt 0x0
	ds_store_b32 v10, v2
.LBB77_19:                              ;   in Loop: Header=BB77_4 Depth=1
	s_wait_alu 0xfffe
	s_or_b32 exec_lo, exec_lo, s24
	s_mul_u64 s[24:25], s[18:19], s[28:29]
	s_wait_alu 0xfffe
	s_lshl_b64 s[24:25], s[24:25], 2
	s_wait_alu 0xfffe
	v_add_co_u32 v26, vcc_lo, v6, s24
	s_wait_alu 0xfffd
	v_add_co_ci_u32_e64 v27, null, s25, v7, vcc_lo
	s_delay_alu instid0(VALU_DEP_2) | instskip(SKIP_1) | instid1(VALU_DEP_2)
	v_add_co_u32 v28, vcc_lo, v26, s16
	s_wait_alu 0xfffd
	v_add_co_ci_u32_e64 v29, null, s17, v27, vcc_lo
	s_delay_alu instid0(VALU_DEP_2) | instskip(SKIP_1) | instid1(VALU_DEP_2)
	;; [unrolled: 4-line block ×3, first 2 shown]
	v_add_co_u32 v2, vcc_lo, v30, s14
	s_wait_alu 0xfffd
	v_add_co_ci_u32_e64 v3, null, s15, v31, vcc_lo
	s_clause 0x3
	global_load_b32 v26, v[26:27], off
	global_load_b32 v27, v[28:29], off
	;; [unrolled: 1-line block ×4, first 2 shown]
	s_wait_loadcnt 0x3
	ds_store_b32 v11, v26
	s_wait_loadcnt 0x2
	ds_store_b32 v16, v27
	;; [unrolled: 2-line block ×4, first 2 shown]
	s_and_saveexec_b32 s24, s1
	s_cbranch_execz .LBB77_21
; %bb.20:                               ;   in Loop: Header=BB77_4 Depth=1
	v_add_co_u32 v2, vcc_lo, v2, s14
	s_wait_alu 0xfffd
	v_add_co_ci_u32_e64 v3, null, s15, v3, vcc_lo
	s_delay_alu instid0(VALU_DEP_2) | instskip(SKIP_1) | instid1(VALU_DEP_2)
	v_add_co_u32 v26, vcc_lo, v2, s16
	s_wait_alu 0xfffd
	v_add_co_ci_u32_e64 v27, null, s17, v3, vcc_lo
	s_delay_alu instid0(VALU_DEP_2) | instskip(SKIP_1) | instid1(VALU_DEP_2)
	;; [unrolled: 4-line block ×3, first 2 shown]
	v_add_co_u32 v30, vcc_lo, v28, s14
	s_wait_alu 0xfffd
	v_add_co_ci_u32_e64 v31, null, s15, v29, vcc_lo
	s_clause 0x1
	global_load_b32 v2, v[2:3], off
	global_load_b32 v3, v[26:27], off
	;; [unrolled: 1-line block ×4, first 2 shown]
	s_wait_loadcnt 0x2
	ds_store_2addr_stride64_b32 v11, v2, v3 offset0:8 offset1:10
	s_wait_loadcnt 0x0
	ds_store_2addr_stride64_b32 v11, v26, v27 offset0:12 offset1:14
.LBB77_21:                              ;   in Loop: Header=BB77_4 Depth=1
	s_wait_alu 0xfffe
	s_or_b32 exec_lo, exec_lo, s24
	s_wait_storecnt_dscnt 0x0
	s_barrier_signal -1
	s_barrier_wait -1
	global_inv scope:SCOPE_SE
	s_and_saveexec_b32 s24, s23
	s_cbranch_execnz .LBB77_35
; %bb.22:                               ;   in Loop: Header=BB77_4 Depth=1
	s_wait_alu 0xfffe
	s_or_b32 exec_lo, exec_lo, s24
	s_and_saveexec_b32 s24, s2
	s_cbranch_execnz .LBB77_36
.LBB77_23:                              ;   in Loop: Header=BB77_4 Depth=1
	s_wait_alu 0xfffe
	s_or_b32 exec_lo, exec_lo, s24
	s_and_saveexec_b32 s24, s3
	s_cbranch_execnz .LBB77_37
.LBB77_24:                              ;   in Loop: Header=BB77_4 Depth=1
	s_wait_alu 0xfffe
	s_or_b32 exec_lo, exec_lo, s24
	s_and_saveexec_b32 s24, s4
	s_cbranch_execnz .LBB77_38
.LBB77_25:                              ;   in Loop: Header=BB77_4 Depth=1
	s_wait_alu 0xfffe
	s_or_b32 exec_lo, exec_lo, s24
	s_and_saveexec_b32 s24, s5
	s_cbranch_execnz .LBB77_39
.LBB77_26:                              ;   in Loop: Header=BB77_4 Depth=1
	s_wait_alu 0xfffe
	s_or_b32 exec_lo, exec_lo, s24
	s_and_saveexec_b32 s24, s6
	s_cbranch_execnz .LBB77_40
.LBB77_27:                              ;   in Loop: Header=BB77_4 Depth=1
	s_wait_alu 0xfffe
	s_or_b32 exec_lo, exec_lo, s24
	s_and_saveexec_b32 s24, s7
	s_cbranch_execnz .LBB77_41
.LBB77_28:                              ;   in Loop: Header=BB77_4 Depth=1
	s_wait_alu 0xfffe
	s_or_b32 exec_lo, exec_lo, s24
	s_and_saveexec_b32 s24, s8
	s_cbranch_execz .LBB77_30
.LBB77_29:                              ;   in Loop: Header=BB77_4 Depth=1
	ds_load_b32 v2, v12 offset:112
	s_wait_dscnt 0x0
	ds_store_b32 v19, v2
.LBB77_30:                              ;   in Loop: Header=BB77_4 Depth=1
	s_wait_alu 0xfffe
	s_or_b32 exec_lo, exec_lo, s24
	s_wait_loadcnt_dscnt 0x0
	s_barrier_signal -1
	s_barrier_wait -1
	global_inv scope:SCOPE_SE
	ds_load_2addr_b32 v[2:3], v13 offset1:4
	ds_load_b32 v30, v11
	ds_load_b32 v31, v16
	ds_load_2addr_b32 v[26:27], v13 offset0:8 offset1:12
	ds_load_b32 v32, v17
	ds_load_2addr_b32 v[28:29], v13 offset0:16 offset1:20
	ds_load_b32 v33, v18
	ds_load_b32 v34, v20
	;; [unrolled: 1-line block ×5, first 2 shown]
	s_wait_dscnt 0x9
	v_fma_f32 v30, v30, v2, 0
	s_wait_dscnt 0x8
	s_delay_alu instid0(VALU_DEP_1) | instskip(SKIP_4) | instid1(VALU_DEP_1)
	v_fmac_f32_e32 v30, v31, v3
	ds_load_2addr_b32 v[2:3], v13 offset0:24 offset1:28
	s_wait_dscnt 0x7
	v_fmac_f32_e32 v30, v32, v26
	s_wait_dscnt 0x5
	v_fmac_f32_e32 v30, v33, v27
	s_wait_dscnt 0x4
	s_delay_alu instid0(VALU_DEP_1) | instskip(SKIP_1) | instid1(VALU_DEP_1)
	v_fmac_f32_e32 v30, v34, v28
	s_wait_dscnt 0x3
	v_fmac_f32_e32 v30, v35, v29
	s_wait_dscnt 0x0
	s_delay_alu instid0(VALU_DEP_1) | instskip(NEXT) | instid1(VALU_DEP_1)
	v_fmac_f32_e32 v30, v36, v2
	v_fmac_f32_e32 v30, v37, v3
	ds_store_b32 v14, v30
	s_wait_loadcnt_dscnt 0x0
	s_barrier_signal -1
	s_barrier_wait -1
	global_inv scope:SCOPE_SE
	s_and_saveexec_b32 s24, s0
	s_cbranch_execz .LBB77_2
; %bb.31:                               ;   in Loop: Header=BB77_4 Depth=1
	ds_load_2addr_b32 v[2:3], v15 offset1:32
	ds_load_2addr_b32 v[26:27], v15 offset0:64 offset1:96
	v_cmp_neq_f32_e32 vcc_lo, 0, v24
	s_wait_dscnt 0x1
	v_add_f32_e32 v2, 0, v2
	s_delay_alu instid0(VALU_DEP_1) | instskip(SKIP_1) | instid1(VALU_DEP_1)
	v_add_f32_e32 v2, v2, v3
	s_wait_dscnt 0x0
	v_add_f32_e32 v2, v2, v26
	s_delay_alu instid0(VALU_DEP_1) | instskip(NEXT) | instid1(VALU_DEP_1)
	v_add_f32_e32 v2, v2, v27
	v_mul_f32_e32 v3, v23, v2
	v_fmac_f32_e32 v25, v23, v2
	s_wait_alu 0xfffd
	s_delay_alu instid0(VALU_DEP_1)
	v_cndmask_b32_e32 v23, v3, v25, vcc_lo
	v_add_co_u32 v2, vcc_lo, s20, v0
	s_wait_alu 0xfffd
	v_add_co_ci_u32_e64 v3, null, s21, v1, vcc_lo
	global_store_b32 v[2:3], v23, off
	s_branch .LBB77_2
.LBB77_32:                              ;   in Loop: Header=BB77_4 Depth=1
	ds_load_b64 v[2:3], v4
	s_mul_u64 s[20:21], s[10:11], s[28:29]
	s_wait_alu 0xfffe
	s_lshl_b64 s[20:21], s[20:21], 2
	s_wait_dscnt 0x0
	s_wait_alu 0xfffe
	v_add_co_u32 v2, vcc_lo, v2, s20
	s_wait_alu 0xfffd
	v_add_co_ci_u32_e64 v3, null, s21, v3, vcc_lo
	flat_load_b32 v23, v[2:3]
	s_cbranch_execnz .LBB77_6
.LBB77_33:                              ;   in Loop: Header=BB77_4 Depth=1
	s_wait_loadcnt_dscnt 0x0
	ds_load_b32 v23, v4
	s_and_b32 vcc_lo, exec_lo, s22
	s_mov_b32 s9, -1
                                        ; implicit-def: $vgpr24
	s_wait_alu 0xfffe
	s_cbranch_vccz .LBB77_7
.LBB77_34:                              ;   in Loop: Header=BB77_4 Depth=1
	ds_load_b64 v[2:3], v5
	s_mul_u64 s[20:21], s[30:31], s[28:29]
	s_wait_alu 0xfffe
	s_lshl_b64 s[20:21], s[20:21], 2
	s_wait_dscnt 0x0
	s_wait_alu 0xfffe
	v_add_co_u32 v2, vcc_lo, v2, s20
	s_wait_alu 0xfffd
	v_add_co_ci_u32_e64 v3, null, s21, v3, vcc_lo
	flat_load_b32 v24, v[2:3]
	s_cbranch_execz .LBB77_8
	s_branch .LBB77_9
.LBB77_35:                              ;   in Loop: Header=BB77_4 Depth=1
	ds_load_b32 v2, v12
	s_wait_dscnt 0x0
	ds_store_b32 v11, v2
	s_wait_alu 0xfffe
	s_or_b32 exec_lo, exec_lo, s24
	s_and_saveexec_b32 s24, s2
	s_cbranch_execz .LBB77_23
.LBB77_36:                              ;   in Loop: Header=BB77_4 Depth=1
	ds_load_b32 v2, v12 offset:16
	s_wait_dscnt 0x0
	ds_store_b32 v16, v2
	s_wait_alu 0xfffe
	s_or_b32 exec_lo, exec_lo, s24
	s_and_saveexec_b32 s24, s3
	s_cbranch_execz .LBB77_24
.LBB77_37:                              ;   in Loop: Header=BB77_4 Depth=1
	ds_load_b32 v2, v12 offset:32
	s_wait_dscnt 0x0
	ds_store_b32 v17, v2
	s_wait_alu 0xfffe
	s_or_b32 exec_lo, exec_lo, s24
	s_and_saveexec_b32 s24, s4
	s_cbranch_execz .LBB77_25
.LBB77_38:                              ;   in Loop: Header=BB77_4 Depth=1
	ds_load_b32 v2, v12 offset:48
	s_wait_dscnt 0x0
	ds_store_b32 v18, v2
	s_wait_alu 0xfffe
	s_or_b32 exec_lo, exec_lo, s24
	s_and_saveexec_b32 s24, s5
	s_cbranch_execz .LBB77_26
.LBB77_39:                              ;   in Loop: Header=BB77_4 Depth=1
	ds_load_b32 v2, v12 offset:64
	s_wait_dscnt 0x0
	ds_store_b32 v11, v2 offset:2048
	s_wait_alu 0xfffe
	s_or_b32 exec_lo, exec_lo, s24
	s_and_saveexec_b32 s24, s6
	s_cbranch_execz .LBB77_27
.LBB77_40:                              ;   in Loop: Header=BB77_4 Depth=1
	ds_load_b32 v2, v12 offset:80
	s_wait_dscnt 0x0
	ds_store_b32 v11, v2 offset:2560
	s_wait_alu 0xfffe
	s_or_b32 exec_lo, exec_lo, s24
	s_and_saveexec_b32 s24, s7
	s_cbranch_execz .LBB77_28
.LBB77_41:                              ;   in Loop: Header=BB77_4 Depth=1
	ds_load_b32 v2, v12 offset:96
	s_wait_dscnt 0x0
	ds_store_b32 v11, v2 offset:3072
	s_wait_alu 0xfffe
	s_or_b32 exec_lo, exec_lo, s24
	s_and_saveexec_b32 s24, s8
	s_cbranch_execnz .LBB77_29
	s_branch .LBB77_30
.LBB77_42:
	s_endpgm
	.section	.rodata,"a",@progbits
	.p2align	6, 0x0
	.amdhsa_kernel _ZL50rocblas_symv_kernel_lower_double_buffered_diagonalILi32ELi4E24rocblas_internal_val_ptrIfEPKfPfEvbiT1_lT2_lllS6_lllS5_lT3_llli
		.amdhsa_group_segment_fixed_size 7296
		.amdhsa_private_segment_fixed_size 0
		.amdhsa_kernarg_size 140
		.amdhsa_user_sgpr_count 4
		.amdhsa_user_sgpr_dispatch_ptr 1
		.amdhsa_user_sgpr_queue_ptr 0
		.amdhsa_user_sgpr_kernarg_segment_ptr 1
		.amdhsa_user_sgpr_dispatch_id 0
		.amdhsa_user_sgpr_private_segment_size 0
		.amdhsa_wavefront_size32 1
		.amdhsa_uses_dynamic_stack 0
		.amdhsa_enable_private_segment 0
		.amdhsa_system_sgpr_workgroup_id_x 1
		.amdhsa_system_sgpr_workgroup_id_y 0
		.amdhsa_system_sgpr_workgroup_id_z 1
		.amdhsa_system_sgpr_workgroup_info 0
		.amdhsa_system_vgpr_workitem_id 2
		.amdhsa_next_free_vgpr 38
		.amdhsa_next_free_sgpr 40
		.amdhsa_reserve_vcc 1
		.amdhsa_float_round_mode_32 0
		.amdhsa_float_round_mode_16_64 0
		.amdhsa_float_denorm_mode_32 3
		.amdhsa_float_denorm_mode_16_64 3
		.amdhsa_fp16_overflow 0
		.amdhsa_workgroup_processor_mode 1
		.amdhsa_memory_ordered 1
		.amdhsa_forward_progress 1
		.amdhsa_inst_pref_size 20
		.amdhsa_round_robin_scheduling 0
		.amdhsa_exception_fp_ieee_invalid_op 0
		.amdhsa_exception_fp_denorm_src 0
		.amdhsa_exception_fp_ieee_div_zero 0
		.amdhsa_exception_fp_ieee_overflow 0
		.amdhsa_exception_fp_ieee_underflow 0
		.amdhsa_exception_fp_ieee_inexact 0
		.amdhsa_exception_int_div_zero 0
	.end_amdhsa_kernel
	.section	.text._ZL50rocblas_symv_kernel_lower_double_buffered_diagonalILi32ELi4E24rocblas_internal_val_ptrIfEPKfPfEvbiT1_lT2_lllS6_lllS5_lT3_llli,"axG",@progbits,_ZL50rocblas_symv_kernel_lower_double_buffered_diagonalILi32ELi4E24rocblas_internal_val_ptrIfEPKfPfEvbiT1_lT2_lllS6_lllS5_lT3_llli,comdat
.Lfunc_end77:
	.size	_ZL50rocblas_symv_kernel_lower_double_buffered_diagonalILi32ELi4E24rocblas_internal_val_ptrIfEPKfPfEvbiT1_lT2_lllS6_lllS5_lT3_llli, .Lfunc_end77-_ZL50rocblas_symv_kernel_lower_double_buffered_diagonalILi32ELi4E24rocblas_internal_val_ptrIfEPKfPfEvbiT1_lT2_lllS6_lllS5_lT3_llli
                                        ; -- End function
	.set _ZL50rocblas_symv_kernel_lower_double_buffered_diagonalILi32ELi4E24rocblas_internal_val_ptrIfEPKfPfEvbiT1_lT2_lllS6_lllS5_lT3_llli.num_vgpr, 38
	.set _ZL50rocblas_symv_kernel_lower_double_buffered_diagonalILi32ELi4E24rocblas_internal_val_ptrIfEPKfPfEvbiT1_lT2_lllS6_lllS5_lT3_llli.num_agpr, 0
	.set _ZL50rocblas_symv_kernel_lower_double_buffered_diagonalILi32ELi4E24rocblas_internal_val_ptrIfEPKfPfEvbiT1_lT2_lllS6_lllS5_lT3_llli.numbered_sgpr, 40
	.set _ZL50rocblas_symv_kernel_lower_double_buffered_diagonalILi32ELi4E24rocblas_internal_val_ptrIfEPKfPfEvbiT1_lT2_lllS6_lllS5_lT3_llli.num_named_barrier, 0
	.set _ZL50rocblas_symv_kernel_lower_double_buffered_diagonalILi32ELi4E24rocblas_internal_val_ptrIfEPKfPfEvbiT1_lT2_lllS6_lllS5_lT3_llli.private_seg_size, 0
	.set _ZL50rocblas_symv_kernel_lower_double_buffered_diagonalILi32ELi4E24rocblas_internal_val_ptrIfEPKfPfEvbiT1_lT2_lllS6_lllS5_lT3_llli.uses_vcc, 1
	.set _ZL50rocblas_symv_kernel_lower_double_buffered_diagonalILi32ELi4E24rocblas_internal_val_ptrIfEPKfPfEvbiT1_lT2_lllS6_lllS5_lT3_llli.uses_flat_scratch, 0
	.set _ZL50rocblas_symv_kernel_lower_double_buffered_diagonalILi32ELi4E24rocblas_internal_val_ptrIfEPKfPfEvbiT1_lT2_lllS6_lllS5_lT3_llli.has_dyn_sized_stack, 0
	.set _ZL50rocblas_symv_kernel_lower_double_buffered_diagonalILi32ELi4E24rocblas_internal_val_ptrIfEPKfPfEvbiT1_lT2_lllS6_lllS5_lT3_llli.has_recursion, 0
	.set _ZL50rocblas_symv_kernel_lower_double_buffered_diagonalILi32ELi4E24rocblas_internal_val_ptrIfEPKfPfEvbiT1_lT2_lllS6_lllS5_lT3_llli.has_indirect_call, 0
	.section	.AMDGPU.csdata,"",@progbits
; Kernel info:
; codeLenInByte = 2440
; TotalNumSgprs: 42
; NumVgprs: 38
; ScratchSize: 0
; MemoryBound: 0
; FloatMode: 240
; IeeeMode: 1
; LDSByteSize: 7296 bytes/workgroup (compile time only)
; SGPRBlocks: 0
; VGPRBlocks: 4
; NumSGPRsForWavesPerEU: 42
; NumVGPRsForWavesPerEU: 38
; Occupancy: 16
; WaveLimiterHint : 1
; COMPUTE_PGM_RSRC2:SCRATCH_EN: 0
; COMPUTE_PGM_RSRC2:USER_SGPR: 4
; COMPUTE_PGM_RSRC2:TRAP_HANDLER: 0
; COMPUTE_PGM_RSRC2:TGID_X_EN: 1
; COMPUTE_PGM_RSRC2:TGID_Y_EN: 0
; COMPUTE_PGM_RSRC2:TGID_Z_EN: 1
; COMPUTE_PGM_RSRC2:TIDIG_COMP_CNT: 2
	.section	.text._ZL54rocblas_symv_kernel_lower_double_buffered_non_diagonalILi32ELi4ELi4E24rocblas_internal_val_ptrIfEPKfPfEvbiT2_lT3_lllS6_lllT4_llli,"axG",@progbits,_ZL54rocblas_symv_kernel_lower_double_buffered_non_diagonalILi32ELi4ELi4E24rocblas_internal_val_ptrIfEPKfPfEvbiT2_lT3_lllS6_lllT4_llli,comdat
	.globl	_ZL54rocblas_symv_kernel_lower_double_buffered_non_diagonalILi32ELi4ELi4E24rocblas_internal_val_ptrIfEPKfPfEvbiT2_lT3_lllS6_lllT4_llli ; -- Begin function _ZL54rocblas_symv_kernel_lower_double_buffered_non_diagonalILi32ELi4ELi4E24rocblas_internal_val_ptrIfEPKfPfEvbiT2_lT3_lllS6_lllT4_llli
	.p2align	8
	.type	_ZL54rocblas_symv_kernel_lower_double_buffered_non_diagonalILi32ELi4ELi4E24rocblas_internal_val_ptrIfEPKfPfEvbiT2_lT3_lllS6_lllT4_llli,@function
_ZL54rocblas_symv_kernel_lower_double_buffered_non_diagonalILi32ELi4ELi4E24rocblas_internal_val_ptrIfEPKfPfEvbiT2_lT3_lllS6_lllT4_llli: ; @_ZL54rocblas_symv_kernel_lower_double_buffered_non_diagonalILi32ELi4ELi4E24rocblas_internal_val_ptrIfEPKfPfEvbiT2_lT3_lllS6_lllT4_llli
; %bb.0:
	s_load_b64 s[20:21], s[0:1], 0x4
	s_clause 0x1
	s_load_b512 s[4:19], s[2:3], 0x8
	s_load_b32 s1, s[2:3], 0x78
	v_bfe_u32 v2, v0, 10, 10
	v_and_b32_e32 v1, 0x3ff, v0
	v_bfe_u32 v0, v0, 20, 10
	s_wait_kmcnt 0x0
	s_delay_alu instid0(VALU_DEP_3)
	v_mul_u32_u24_e32 v3, s21, v2
	s_lshr_b32 s0, s20, 16
	v_mov_b32_e32 v4, s5
	s_mul_i32 s0, s0, s21
	s_delay_alu instid0(VALU_DEP_2) | instid1(SALU_CYCLE_1)
	v_mad_u32_u24 v5, s0, v1, v3
	v_mov_b32_e32 v3, s4
	s_lshr_b32 s4, ttmp7, 16
	s_wait_alu 0xfffe
	s_cmp_ge_u32 s4, s1
	v_add_lshl_u32 v0, v5, v0, 3
	ds_store_b64 v0, v[3:4] offset:3200
	s_cbranch_scc1 .LBB78_29
; %bb.1:
	s_clause 0x3
	s_load_b32 s0, s[2:3], 0x0
	s_load_b128 s[20:23], s[2:3], 0x48
	s_load_b128 s[24:27], s[2:3], 0x60
	s_load_b64 s[30:31], s[2:3], 0x58
	v_lshl_add_u32 v5, v2, 5, v1
	v_dual_mov_b32 v4, 0 :: v_dual_and_b32 v3, 15, v1
	v_lshlrev_b32_e32 v40, 6, v1
	v_add_nc_u32_e32 v30, 7, v1
	s_delay_alu instid0(VALU_DEP_4) | instskip(NEXT) | instid1(VALU_DEP_4)
	v_lshrrev_b32_e32 v16, 4, v5
	v_or_b32_e32 v23, 16, v3
	v_add_nc_u32_e32 v36, 14, v1
	s_load_b64 s[28:29], s[2:3], 0x70
	s_add_nc_u64 s[34:35], s[12:13], 1
	v_lshlrev_b32_e32 v10, 2, v16
	v_lshlrev_b32_e32 v50, 8, v16
	v_and_b32_e32 v39, 15, v36
	s_add_nc_u64 s[2:3], s[2:3], 0x80
	s_mov_b32 s5, 0
	v_lshlrev_b32_e32 v49, 7, v16
	s_wait_kmcnt 0x0
	s_bitcmp1_b32 s0, 0
	v_mad_co_u64_u32 v[6:7], null, s20, v1, 0
	v_add_nc_u32_e32 v21, 0xc80, v0
	v_mad_co_u64_u32 v[11:12], null, s20, v3, 0
	v_mad_co_u64_u32 v[13:14], null, s20, v23, 0
	s_cselect_b32 s0, -1, 0
	v_mov_b32_e32 v0, v7
	s_wait_alu 0xfffe
	s_xor_b32 s61, s0, -1
	v_cmp_eq_u32_e64 s0, 0, v2
	v_lshlrev_b32_e32 v15, 2, v3
	v_mad_co_u64_u32 v[17:18], null, s26, v1, 0
	v_mad_co_u64_u32 v[7:8], null, s21, v1, v[0:1]
	;; [unrolled: 1-line block ×3, first 2 shown]
	v_dual_mov_b32 v2, v14 :: v_dual_lshlrev_b32 v25, 2, v1
	v_lshl_or_b32 v39, v39, 2, v40
	s_lshl_b32 s40, ttmp9, 5
	s_lshl_b64 s[24:25], s[24:25], 2
	s_ashr_i32 s41, s40, 31
	s_delay_alu instid0(VALU_DEP_3) | instskip(SKIP_3) | instid1(VALU_DEP_4)
	v_mov_b32_e32 v0, v9
	v_mad_co_u64_u32 v[23:24], null, s21, v23, v[2:3]
	v_and_b32_e32 v2, 0xfff0, v5
	v_add_nc_u32_e32 v22, 0xc00, v25
	v_mad_co_u64_u32 v[9:10], null, s13, v10, v[0:1]
	v_mov_b32_e32 v0, v12
	v_add_nc_u32_e32 v24, 0x800, v25
	v_or_b32_e32 v25, v40, v15
	v_or_b32_e32 v45, 8, v2
	;; [unrolled: 1-line block ×3, first 2 shown]
	v_mad_co_u64_u32 v[19:20], null, s21, v3, v[0:1]
	v_mov_b32_e32 v0, v18
	v_add_nc_u32_e32 v20, 4, v1
	v_dual_mov_b32 v14, v23 :: v_dual_add_nc_u32 v5, 2, v1
	v_add_nc_u32_e32 v23, 0xc00, v2
	v_xor_b32_e32 v3, 8, v3
	v_mov_b32_e32 v12, v19
	v_mad_co_u64_u32 v[18:19], null, s27, v1, v[0:1]
	v_add_nc_u32_e32 v0, 1, v1
	v_and_b32_e32 v5, 15, v5
	v_add_nc_u32_e32 v19, 3, v1
	v_lshl_or_b32 v33, v3, 2, v40
	v_or_b32_e32 v48, 4, v2
	v_and_b32_e32 v0, 15, v0
	v_lshl_or_b32 v27, v5, 2, v40
	v_and_b32_e32 v5, 15, v19
	v_and_b32_e32 v19, 15, v20
	v_add_nc_u32_e32 v20, 6, v1
	v_lshl_or_b32 v26, v0, 2, v40
	v_add_nc_u32_e32 v0, 5, v1
	v_lshl_or_b32 v28, v5, 2, v40
	v_lshl_or_b32 v29, v19, 2, v40
	v_and_b32_e32 v5, 15, v20
	v_and_b32_e32 v19, 15, v30
	;; [unrolled: 1-line block ×3, first 2 shown]
	v_add_nc_u32_e32 v20, 10, v1
	s_add_nc_u64 s[38:39], s[30:31], s[24:25]
	v_lshl_or_b32 v31, v5, 2, v40
	v_lshl_or_b32 v32, v19, 2, v40
	;; [unrolled: 1-line block ×3, first 2 shown]
	v_add_nc_u32_e32 v0, 9, v1
	v_and_b32_e32 v5, 15, v20
	v_add_nc_u32_e32 v19, 11, v1
	v_add_nc_u32_e32 v20, 12, v1
	s_mul_u64 s[24:25], s[34:35], s[40:41]
	v_and_b32_e32 v0, 15, v0
	v_lshl_or_b32 v35, v5, 2, v40
	v_add_nc_u32_e32 v5, 13, v1
	v_and_b32_e32 v3, 15, v20
	v_add_nc_u32_e32 v1, -1, v1
	v_lshl_or_b32 v34, v0, 2, v40
	v_and_b32_e32 v0, 15, v19
	v_mad_co_u64_u32 v[19:20], null, s12, v16, 0
	v_and_b32_e32 v5, 15, v5
	v_and_b32_e32 v1, 15, v1
	s_delay_alu instid0(VALU_DEP_4)
	v_lshl_or_b32 v36, v0, 2, v40
	v_lshl_or_b32 v37, v3, 2, v40
	s_mul_u64 s[30:31], s[20:21], s[40:41]
	v_lshl_or_b32 v38, v5, 2, v40
	v_mov_b32_e32 v0, v20
	v_lshl_or_b32 v40, v1, 2, v40
	s_mul_u64 s[34:35], s[26:27], s[40:41]
	s_lshl_b64 s[40:41], s[40:41], 2
	v_or_b32_e32 v10, 0x800, v15
	v_mad_co_u64_u32 v[0:1], null, s13, v16, v[0:1]
	v_mov_b32_e32 v16, v4
	v_or_b32_e32 v43, s40, v15
	s_lshl_b64 s[42:43], s[12:13], 2
	s_lshl_b64 s[44:45], s[10:11], 2
	;; [unrolled: 1-line block ×3, first 2 shown]
	v_mad_co_u64_u32 v[2:3], null, s12, v47, v[15:16]
	s_delay_alu instid0(VALU_DEP_4) | instskip(SKIP_2) | instid1(VALU_DEP_3)
	v_mov_b32_e32 v20, v0
	v_mad_co_u64_u32 v[0:1], null, s12, v45, v[15:16]
	v_mad_co_u64_u32 v[4:5], null, s12, v48, v[15:16]
	v_lshlrev_b64_e32 v[19:20], 4, v[19:20]
	v_add_co_u32 v41, s48, 0x80, v43
	v_add_co_u32 v43, s12, 0xc0, v43
	v_mad_co_u64_u32 v[45:46], null, s13, v45, v[1:2]
	v_mad_co_u64_u32 v[46:47], null, s13, v47, v[3:4]
	;; [unrolled: 1-line block ×3, first 2 shown]
	v_add_co_u32 v1, vcc_lo, v19, v15
	s_lshl_b64 s[46:47], s[24:25], 2
	v_lshlrev_b64_e32 v[5:6], 2, v[6:7]
	v_lshlrev_b64_e32 v[7:8], 2, v[8:9]
	v_add_nc_u32_e32 v48, v10, v49
	v_lshlrev_b64_e32 v[9:10], 2, v[17:18]
	v_lshlrev_b64_e32 v[11:12], 2, v[11:12]
	;; [unrolled: 1-line block ×3, first 2 shown]
	v_add_co_ci_u32_e64 v42, null, s41, 0, s48
	s_wait_alu 0xf1ff
	v_add_co_ci_u32_e64 v44, null, s41, 0, s12
	v_add_co_ci_u32_e64 v3, null, 0, v20, vcc_lo
	v_add_nc_u32_e32 v49, v15, v50
	s_and_b32 s33, ttmp7, 0xffff
	s_add_nc_u64 s[36:37], s[8:9], s[44:45]
	s_add_nc_u64 s[10:11], s[16:17], s[10:11]
	s_lshl_b64 s[30:31], s[30:31], 2
	s_lshl_b64 s[34:35], s[34:35], 2
	s_add_nc_u64 s[44:45], s[46:47], s[44:45]
	s_not_b32 s60, ttmp9
	s_add_nc_u64 s[24:25], s[36:37], s[46:47]
	s_lshl_b32 s62, s33, 5
	s_add_nc_u64 s[30:31], s[10:11], s[30:31]
	s_add_nc_u64 s[34:35], s[38:39], s[34:35]
	s_lshl_b64 s[36:37], s[20:21], 7
	s_lshl_b64 s[38:39], s[26:27], 7
	;; [unrolled: 1-line block ×3, first 2 shown]
	s_add_nc_u64 s[8:9], s[8:9], s[44:45]
	s_lshl_b64 s[44:45], s[14:15], 2
	s_branch .LBB78_3
.LBB78_2:                               ;   in Loop: Header=BB78_3 Depth=1
	s_or_b32 exec_lo, exec_lo, s63
	s_add_co_i32 s4, s4, 0x10000
	s_wait_alu 0xfffe
	s_cmp_lt_u32 s4, s1
	s_cbranch_scc0 .LBB78_29
.LBB78_3:                               ; =>This Loop Header: Depth=1
                                        ;     Child Loop BB78_17 Depth 2
	s_and_b32 vcc_lo, exec_lo, s61
	s_mov_b32 s46, -1
                                        ; implicit-def: $vgpr50
	s_wait_alu 0xfffe
	s_cbranch_vccz .LBB78_5
; %bb.4:                                ;   in Loop: Header=BB78_3 Depth=1
	ds_load_b64 v[15:16], v21
	s_mul_u64 s[46:47], s[6:7], s[4:5]
	s_wait_alu 0xfffe
	s_lshl_b64 s[46:47], s[46:47], 2
	s_wait_dscnt 0x0
	s_wait_alu 0xfffe
	v_add_co_u32 v15, vcc_lo, v15, s46
	s_wait_alu 0xfffd
	v_add_co_ci_u32_e64 v16, null, s47, v16, vcc_lo
	s_mov_b32 s46, 0
	flat_load_b32 v50, v[15:16]
.LBB78_5:                               ;   in Loop: Header=BB78_3 Depth=1
	s_wait_alu 0xfffe
	s_and_not1_b32 vcc_lo, exec_lo, s46
	s_wait_alu 0xfffe
	s_cbranch_vccnz .LBB78_7
; %bb.6:                                ;   in Loop: Header=BB78_3 Depth=1
	s_wait_loadcnt_dscnt 0x0
	ds_load_b32 v50, v21
.LBB78_7:                               ;   in Loop: Header=BB78_3 Depth=1
	s_mov_b32 s63, exec_lo
	s_wait_loadcnt_dscnt 0x0
	v_cmpx_neq_f32_e32 0, v50
	s_cbranch_execz .LBB78_2
; %bb.8:                                ;   in Loop: Header=BB78_3 Depth=1
	s_load_b64 s[46:47], s[2:3], 0x0
	s_wait_kmcnt 0x0
	s_add_co_i32 s48, s46, -1
	s_wait_alu 0xfffe
	s_cmp_eq_u32 ttmp9, s48
	s_cbranch_scc1 .LBB78_2
; %bb.9:                                ;   in Loop: Header=BB78_3 Depth=1
	s_mul_u64 s[52:53], s[22:23], s[4:5]
	s_delay_alu instid0(SALU_CYCLE_1)
	s_lshl_b64 s[48:49], s[52:53], 2
	s_wait_alu 0xfffe
	s_add_nc_u64 s[50:51], s[30:31], s[48:49]
	s_and_saveexec_b32 s48, s0
	s_cbranch_execz .LBB78_11
; %bb.10:                               ;   in Loop: Header=BB78_3 Depth=1
	s_wait_alu 0xfffe
	v_add_co_u32 v15, vcc_lo, s50, v5
	s_wait_alu 0xfffd
	v_add_co_ci_u32_e64 v16, null, s51, v6, vcc_lo
	global_load_b32 v15, v[15:16], off
	s_wait_loadcnt 0x0
	ds_store_b32 v22, v15
.LBB78_11:                              ;   in Loop: Header=BB78_3 Depth=1
	s_wait_alu 0xfffe
	s_or_b32 exec_lo, exec_lo, s48
	s_cvt_f32_u32 s48, s47
	s_sub_co_i32 s49, 0, s47
	s_add_co_i32 s46, s46, s60
	s_wait_alu 0xfffe
	v_rcp_iflag_f32_e32 v15, s48
	s_delay_alu instid0(TRANS32_DEP_1) | instskip(SKIP_2) | instid1(SALU_CYCLE_2)
	v_readfirstlane_b32 s48, v15
	s_mul_f32 s48, s48, 0x4f7ffffe
	s_wait_alu 0xfffe
	s_cvt_u32_f32 s48, s48
	s_wait_alu 0xfffe
	s_delay_alu instid0(SALU_CYCLE_2)
	s_mul_i32 s49, s49, s48
	s_wait_alu 0xfffe
	s_mul_hi_u32 s49, s48, s49
	s_wait_alu 0xfffe
	s_add_co_i32 s48, s48, s49
	s_wait_alu 0xfffe
	s_mul_hi_u32 s48, s46, s48
	s_wait_alu 0xfffe
	s_mul_i32 s49, s48, s47
	s_add_co_i32 s54, s48, 1
	s_wait_alu 0xfffe
	s_sub_co_i32 s49, s46, s49
	s_wait_alu 0xfffe
	s_sub_co_i32 s55, s49, s47
	s_cmp_ge_u32 s49, s47
	s_cselect_b32 s48, s54, s48
	s_wait_alu 0xfffe
	s_cselect_b32 s49, s55, s49
	s_add_co_i32 s54, s48, 1
	s_wait_alu 0xfffe
	s_cmp_ge_u32 s49, s47
	s_cselect_b32 s48, s54, s48
	s_add_co_i32 s49, s47, -1
	s_wait_alu 0xfffe
	s_mov_b32 s64, s48
	s_cmp_lg_u32 s33, s49
	s_cbranch_scc1 .LBB78_13
; %bb.12:                               ;   in Loop: Header=BB78_3 Depth=1
	s_mul_i32 s47, s48, s47
	s_wait_alu 0xfffe
	s_sub_co_i32 s46, s46, s47
	s_wait_alu 0xfffe
	s_add_co_i32 s64, s46, s48
.LBB78_13:                              ;   in Loop: Header=BB78_3 Depth=1
	s_delay_alu instid0(SALU_CYCLE_1)
	s_cmp_eq_u32 s64, 0
	s_cbranch_scc1 .LBB78_2
; %bb.14:                               ;   in Loop: Header=BB78_3 Depth=1
	s_mul_u64 s[46:47], s[28:29], s[4:5]
	s_wait_dscnt 0x0
	s_wait_alu 0xfffe
	s_lshl_b64 s[46:47], s[46:47], 2
	s_cmp_lt_i32 s64, 1
	s_wait_alu 0xfffe
	s_add_nc_u64 s[46:47], s[34:35], s[46:47]
	s_barrier_signal -1
	s_barrier_wait -1
	global_inv scope:SCOPE_SE
	s_cbranch_scc1 .LBB78_21
; %bb.15:                               ;   in Loop: Header=BB78_3 Depth=1
	s_mul_u64 s[56:57], s[14:15], s[4:5]
	s_mul_i32 s54, s62, s48
	s_wait_alu 0xfffe
	s_lshl_b64 s[48:49], s[56:57], 2
	s_ashr_i32 s55, s54, 31
	s_wait_alu 0xfffe
	s_add_nc_u64 s[48:49], s[24:25], s[48:49]
	s_lshl_b64 s[56:57], s[54:55], 2
	s_mul_u64 s[58:59], s[26:27], s[54:55]
	s_wait_alu 0xfffe
	s_add_nc_u64 s[48:49], s[48:49], s[56:57]
	s_lshl_b64 s[58:59], s[58:59], 2
	s_wait_alu 0xfffe
	v_add_co_u32 v15, vcc_lo, s48, v7
	s_wait_alu 0xfffd
	v_add_co_ci_u32_e64 v16, null, s49, v8, vcc_lo
	s_add_nc_u64 s[58:59], s[46:47], s[58:59]
	v_add_co_u32 v17, vcc_lo, v15, s42
	s_wait_alu 0xfffd
	v_add_co_ci_u32_e64 v18, null, s43, v16, vcc_lo
	s_cmp_eq_u32 s64, 1
	v_add_co_u32 v19, vcc_lo, v17, s42
	s_wait_alu 0xfffd
	v_add_co_ci_u32_e64 v20, null, s43, v18, vcc_lo
	s_delay_alu instid0(VALU_DEP_2) | instskip(SKIP_1) | instid1(VALU_DEP_2)
	v_add_co_u32 v51, vcc_lo, v19, s42
	s_wait_alu 0xfffd
	v_add_co_ci_u32_e64 v52, null, s43, v20, vcc_lo
	s_clause 0x3
	global_load_b32 v56, v[15:16], off offset:128
	global_load_b32 v55, v[17:18], off offset:128
	;; [unrolled: 1-line block ×4, first 2 shown]
	s_cbranch_scc1 .LBB78_22
; %bb.16:                               ;   in Loop: Header=BB78_3 Depth=1
	v_add_co_u32 v15, vcc_lo, v41, s56
	s_wait_alu 0xfffd
	v_add_co_ci_u32_e64 v16, null, s57, v42, vcc_lo
	v_add_co_u32 v19, vcc_lo, v43, s56
	s_wait_alu 0xfffd
	v_add_co_ci_u32_e64 v20, null, s57, v44, vcc_lo
	v_mul_lo_u32 v52, s21, v15
	v_mul_lo_u32 v16, s20, v16
	v_mad_co_u64_u32 v[17:18], null, s20, v15, 0
	v_mul_lo_u32 v15, s21, v19
	v_mul_lo_u32 v54, s20, v20
	v_mad_co_u64_u32 v[19:20], null, s20, v19, 0
	s_add_nc_u64 s[48:49], s[18:19], s[52:53]
	s_mul_u64 s[52:53], s[12:13], s[4:5]
	s_wait_alu 0xfffe
	s_lshl_b64 s[48:49], s[48:49], 2
	s_mul_u64 s[66:67], s[44:45], s[4:5]
	s_wait_alu 0xfffe
	s_add_nc_u64 s[50:51], s[16:17], s[48:49]
	s_add_nc_u64 s[48:49], s[40:41], s[56:57]
	v_add3_u32 v18, v18, v16, v52
	v_add3_u32 v20, v20, v54, v15
	v_dual_mov_b32 v54, 0 :: v_dual_mov_b32 v15, s58
	v_dual_mov_b32 v16, s59 :: v_dual_mov_b32 v57, 0
	v_mov_b32_e32 v58, 0
	v_mov_b32_e32 v52, 0
	s_add_nc_u64 s[54:55], s[10:11], s[52:53]
	s_wait_alu 0xfffe
	s_mul_u64 s[52:53], s[20:21], s[48:49]
	s_add_nc_u64 s[48:49], s[66:67], s[56:57]
	s_add_co_i32 s56, s64, -1
	s_wait_alu 0xfffe
	s_add_nc_u64 s[48:49], s[8:9], s[48:49]
.LBB78_17:                              ;   Parent Loop BB78_3 Depth=1
                                        ; =>  This Inner Loop Header: Depth=2
	s_wait_alu 0xfffe
	v_add_co_u32 v69, vcc_lo, s48, v1
	s_wait_alu 0xfffd
	v_add_co_ci_u32_e64 v70, null, s49, v3, vcc_lo
	v_add_co_u32 v71, vcc_lo, s48, v4
	s_wait_alu 0xfffd
	v_add_co_ci_u32_e64 v72, null, s49, v47, vcc_lo
	;; [unrolled: 3-line block ×3, first 2 shown]
	s_clause 0x2
	global_load_b32 v63, v[69:70], off offset:192
	global_load_b32 v61, v[71:72], off offset:192
	;; [unrolled: 1-line block ×3, first 2 shown]
	v_add_co_u32 v59, vcc_lo, s48, v2
	s_wait_alu 0xfffd
	v_add_co_ci_u32_e64 v60, null, s49, v46, vcc_lo
	v_add_co_u32 v67, vcc_lo, s54, v17
	s_wait_alu 0xfffd
	v_add_co_ci_u32_e64 v68, null, s55, v18, vcc_lo
	;; [unrolled: 3-line block ×3, first 2 shown]
	global_load_b32 v66, v[59:60], off offset:192
	s_clause 0x1
	global_load_b32 v68, v[67:68], off
	global_load_b32 v67, v[75:76], off
	s_clause 0x3
	global_load_b32 v59, v[59:60], off offset:256
	global_load_b32 v60, v[73:74], off offset:256
	;; [unrolled: 1-line block ×4, first 2 shown]
	ds_load_b128 v[69:72], v23
	s_wait_loadcnt_dscnt 0x0
	s_barrier_signal -1
	s_barrier_wait -1
	global_inv scope:SCOPE_SE
	v_fma_f32 v73, v56, v69, 0
	s_delay_alu instid0(VALU_DEP_1) | instskip(NEXT) | instid1(VALU_DEP_1)
	v_fmac_f32_e32 v73, v55, v70
	v_fmac_f32_e32 v73, v53, v71
	s_delay_alu instid0(VALU_DEP_1) | instskip(SKIP_1) | instid1(VALU_DEP_1)
	v_fmac_f32_e32 v73, v51, v72
	v_fma_f32 v69, v63, v69, 0
	v_fmac_f32_e32 v69, v61, v70
	s_delay_alu instid0(VALU_DEP_1) | instskip(NEXT) | instid1(VALU_DEP_1)
	v_fmac_f32_e32 v69, v64, v71
	v_fmac_f32_e32 v69, v66, v72
	ds_store_2addr_b32 v48, v73, v69 offset1:16
	s_wait_loadcnt_dscnt 0x0
	s_barrier_signal -1
	s_barrier_wait -1
	global_inv scope:SCOPE_SE
	s_and_saveexec_b32 s57, s0
	s_cbranch_execz .LBB78_19
; %bb.18:                               ;   in Loop: Header=BB78_17 Depth=2
	ds_load_2addr_b32 v[69:70], v24 offset1:32
	ds_load_2addr_b32 v[71:72], v24 offset0:64 offset1:96
	ds_load_2addr_b32 v[73:74], v24 offset0:128 offset1:160
	v_add_co_u32 v15, vcc_lo, v15, s38
	s_wait_alu 0xfffd
	v_add_co_ci_u32_e64 v16, null, s39, v16, vcc_lo
	s_wait_dscnt 0x2
	v_add_f32_e32 v69, 0, v69
	s_delay_alu instid0(VALU_DEP_1) | instskip(SKIP_1) | instid1(VALU_DEP_1)
	v_add_f32_e32 v69, v69, v70
	s_wait_dscnt 0x1
	v_add_f32_e32 v71, v69, v71
	ds_load_2addr_b32 v[69:70], v24 offset0:192 offset1:224
	v_add_f32_e32 v71, v71, v72
	s_wait_dscnt 0x1
	s_delay_alu instid0(VALU_DEP_1) | instskip(NEXT) | instid1(VALU_DEP_1)
	v_add_f32_e32 v71, v71, v73
	v_add_f32_e32 v71, v71, v74
	s_wait_dscnt 0x0
	s_delay_alu instid0(VALU_DEP_1) | instskip(NEXT) | instid1(VALU_DEP_1)
	v_add_f32_e32 v69, v71, v69
	v_add_f32_e32 v71, v69, v70
	v_add_co_u32 v69, vcc_lo, v15, v9
	s_wait_alu 0xfffd
	v_add_co_ci_u32_e64 v70, null, v16, v10, vcc_lo
	s_delay_alu instid0(VALU_DEP_3)
	v_mul_f32_e32 v71, v50, v71
	global_atomic_add_f32 v[69:70], v71, off scope:SCOPE_DEV
.LBB78_19:                              ;   in Loop: Header=BB78_17 Depth=2
	s_wait_alu 0xfffe
	s_or_b32 exec_lo, exec_lo, s57
	v_fmac_f32_e32 v54, v68, v56
	v_fmac_f32_e32 v57, v68, v53
	;; [unrolled: 1-line block ×3, first 2 shown]
	s_add_co_i32 s56, s56, -1
	s_add_nc_u64 s[50:51], s[50:51], s[36:37]
	v_fmac_f32_e32 v54, v67, v63
	v_dual_fmac_f32 v58, v68, v55 :: v_dual_fmac_f32 v57, v67, v64
	v_fmac_f32_e32 v52, v67, v66
	s_add_nc_u64 s[54:55], s[54:55], s[36:37]
	s_wait_alu 0xfffe
	s_cmp_eq_u32 s56, 0
	v_fmac_f32_e32 v58, v67, v61
	s_add_nc_u64 s[48:49], s[48:49], 0x80
	s_cbranch_scc1 .LBB78_23
; %bb.20:                               ;   in Loop: Header=BB78_17 Depth=2
	v_dual_mov_b32 v56, v65 :: v_dual_mov_b32 v55, v62
	v_mov_b32_e32 v53, v60
	v_mov_b32_e32 v51, v59
	s_branch .LBB78_17
.LBB78_21:                              ;   in Loop: Header=BB78_3 Depth=1
	v_dual_mov_b32 v52, 0 :: v_dual_mov_b32 v57, 0
	v_mov_b32_e32 v58, 0
	v_mov_b32_e32 v54, 0
	s_branch .LBB78_27
.LBB78_22:                              ;   in Loop: Header=BB78_3 Depth=1
	s_wait_alu 0xfffe
	v_dual_mov_b32 v15, s58 :: v_dual_mov_b32 v16, s59
	v_dual_mov_b32 v52, 0 :: v_dual_mov_b32 v57, 0
	v_mov_b32_e32 v58, 0
	v_mov_b32_e32 v54, 0
	s_mul_u64 s[52:53], s[20:21], s[54:55]
	s_delay_alu instid0(SALU_CYCLE_1)
	s_lshl_b64 s[52:53], s[52:53], 2
	s_branch .LBB78_24
.LBB78_23:                              ;   in Loop: Header=BB78_3 Depth=1
	v_dual_mov_b32 v51, v59 :: v_dual_mov_b32 v56, v65
	v_mov_b32_e32 v53, v60
	v_mov_b32_e32 v55, v62
.LBB78_24:                              ;   in Loop: Header=BB78_3 Depth=1
	s_wait_alu 0xfffe
	v_add_co_u32 v17, vcc_lo, s48, v7
	s_wait_alu 0xfffd
	v_add_co_ci_u32_e64 v18, null, s49, v8, vcc_lo
	s_add_nc_u64 s[50:51], s[50:51], s[52:53]
	v_add_co_u32 v19, vcc_lo, v17, s42
	s_wait_alu 0xfffd
	v_add_co_ci_u32_e64 v20, null, s43, v18, vcc_lo
	global_load_b32 v17, v[17:18], off offset:192
	v_add_co_u32 v59, vcc_lo, v19, s42
	s_wait_alu 0xfffd
	v_add_co_ci_u32_e64 v60, null, s43, v20, vcc_lo
	global_load_b32 v18, v[19:20], off offset:192
	;; [unrolled: 4-line block ×3, first 2 shown]
	s_wait_alu 0xfffe
	s_add_nc_u64 s[48:49], s[50:51], s[36:37]
	global_load_b32 v20, v[61:62], off offset:192
	s_wait_alu 0xfffe
	v_add_co_u32 v59, vcc_lo, s48, v11
	s_wait_alu 0xfffd
	v_add_co_ci_u32_e64 v60, null, s49, v12, vcc_lo
	v_add_co_u32 v61, vcc_lo, s48, v13
	s_wait_alu 0xfffd
	v_add_co_ci_u32_e64 v62, null, s49, v14, vcc_lo
	s_clause 0x1
	global_load_b32 v60, v[59:60], off
	global_load_b32 v59, v[61:62], off
	ds_load_b128 v[61:64], v23
	s_wait_storecnt 0x0
	s_wait_loadcnt_dscnt 0x0
	s_barrier_signal -1
	s_barrier_wait -1
	global_inv scope:SCOPE_SE
	v_fma_f32 v65, v56, v61, 0
	s_delay_alu instid0(VALU_DEP_1) | instskip(NEXT) | instid1(VALU_DEP_1)
	v_fmac_f32_e32 v65, v55, v62
	v_fmac_f32_e32 v65, v53, v63
	s_delay_alu instid0(VALU_DEP_1) | instskip(SKIP_1) | instid1(VALU_DEP_1)
	v_fmac_f32_e32 v65, v51, v64
	v_fma_f32 v61, v17, v61, 0
	v_fmac_f32_e32 v61, v18, v62
	s_delay_alu instid0(VALU_DEP_1) | instskip(NEXT) | instid1(VALU_DEP_1)
	v_fmac_f32_e32 v61, v19, v63
	v_fmac_f32_e32 v61, v20, v64
	ds_store_2addr_b32 v48, v65, v61 offset1:16
	s_wait_loadcnt_dscnt 0x0
	s_barrier_signal -1
	s_barrier_wait -1
	global_inv scope:SCOPE_SE
	s_and_saveexec_b32 s48, s0
	s_cbranch_execz .LBB78_26
; %bb.25:                               ;   in Loop: Header=BB78_3 Depth=1
	ds_load_2addr_b32 v[61:62], v24 offset1:32
	ds_load_2addr_b32 v[63:64], v24 offset0:64 offset1:96
	ds_load_2addr_b32 v[65:66], v24 offset0:128 offset1:160
	v_add_co_u32 v15, vcc_lo, v15, s38
	s_wait_alu 0xfffd
	v_add_co_ci_u32_e64 v16, null, s39, v16, vcc_lo
	s_delay_alu instid0(VALU_DEP_2) | instskip(SKIP_1) | instid1(VALU_DEP_2)
	v_add_co_u32 v15, vcc_lo, v15, v9
	s_wait_alu 0xfffd
	v_add_co_ci_u32_e64 v16, null, v16, v10, vcc_lo
	s_wait_dscnt 0x2
	v_add_f32_e32 v61, 0, v61
	s_delay_alu instid0(VALU_DEP_1) | instskip(SKIP_1) | instid1(VALU_DEP_1)
	v_add_f32_e32 v61, v61, v62
	s_wait_dscnt 0x1
	v_add_f32_e32 v63, v61, v63
	ds_load_2addr_b32 v[61:62], v24 offset0:192 offset1:224
	v_add_f32_e32 v63, v63, v64
	s_wait_dscnt 0x1
	s_delay_alu instid0(VALU_DEP_1) | instskip(NEXT) | instid1(VALU_DEP_1)
	v_add_f32_e32 v63, v63, v65
	v_add_f32_e32 v63, v63, v66
	s_wait_dscnt 0x0
	s_delay_alu instid0(VALU_DEP_1) | instskip(NEXT) | instid1(VALU_DEP_1)
	v_add_f32_e32 v61, v63, v61
	v_add_f32_e32 v61, v61, v62
	s_delay_alu instid0(VALU_DEP_1)
	v_mul_f32_e32 v61, v50, v61
	global_atomic_add_f32 v[15:16], v61, off scope:SCOPE_DEV
.LBB78_26:                              ;   in Loop: Header=BB78_3 Depth=1
	s_wait_alu 0xfffe
	s_or_b32 exec_lo, exec_lo, s48
	v_fmac_f32_e32 v58, v60, v55
	v_fmac_f32_e32 v57, v60, v53
	;; [unrolled: 1-line block ×3, first 2 shown]
	s_delay_alu instid0(VALU_DEP_3) | instskip(NEXT) | instid1(VALU_DEP_3)
	v_fmac_f32_e32 v58, v59, v18
	v_dual_fmac_f32 v54, v60, v56 :: v_dual_fmac_f32 v57, v59, v19
	s_delay_alu instid0(VALU_DEP_3) | instskip(NEXT) | instid1(VALU_DEP_2)
	v_fmac_f32_e32 v52, v59, v20
	v_fmac_f32_e32 v54, v59, v17
.LBB78_27:                              ;   in Loop: Header=BB78_3 Depth=1
	ds_store_2addr_b32 v49, v54, v58 offset1:16
	ds_store_2addr_b32 v49, v57, v52 offset0:32 offset1:48
	s_wait_storecnt 0x0
	s_wait_loadcnt_dscnt 0x0
	s_barrier_signal -1
	s_barrier_wait -1
	global_inv scope:SCOPE_SE
	s_and_b32 exec_lo, exec_lo, s0
	s_cbranch_execz .LBB78_2
; %bb.28:                               ;   in Loop: Header=BB78_3 Depth=1
	ds_load_b32 v15, v25
	ds_load_b32 v16, v26
	;; [unrolled: 1-line block ×8, first 2 shown]
	s_wait_dscnt 0x7
	v_add_f32_e32 v15, 0, v15
	s_wait_dscnt 0x6
	s_delay_alu instid0(VALU_DEP_1)
	v_add_f32_e32 v15, v15, v16
	ds_load_b32 v16, v33
	s_wait_dscnt 0x6
	v_add_f32_e32 v15, v15, v17
	ds_load_b32 v17, v34
	s_wait_dscnt 0x6
	;; [unrolled: 3-line block ×3, first 2 shown]
	v_add_f32_e32 v15, v15, v19
	s_wait_dscnt 0x5
	s_delay_alu instid0(VALU_DEP_1) | instskip(SKIP_1) | instid1(VALU_DEP_1)
	v_add_f32_e32 v15, v15, v20
	s_wait_dscnt 0x4
	v_add_f32_e32 v15, v15, v51
	s_wait_dscnt 0x3
	s_delay_alu instid0(VALU_DEP_1)
	v_add_f32_e32 v15, v15, v52
	ds_load_b32 v19, v36
	ds_load_b32 v20, v37
	;; [unrolled: 1-line block ×5, first 2 shown]
	s_wait_dscnt 0x7
	v_add_f32_e32 v15, v15, v16
	s_wait_dscnt 0x6
	s_delay_alu instid0(VALU_DEP_1) | instskip(SKIP_1) | instid1(VALU_DEP_1)
	v_add_f32_e32 v15, v15, v17
	s_wait_dscnt 0x5
	v_add_f32_e32 v15, v15, v18
	s_wait_dscnt 0x4
	s_delay_alu instid0(VALU_DEP_1) | instskip(SKIP_1) | instid1(VALU_DEP_1)
	v_add_f32_e32 v15, v15, v19
	;; [unrolled: 5-line block ×3, first 2 shown]
	s_wait_dscnt 0x1
	v_add_f32_e32 v15, v15, v52
	s_wait_dscnt 0x0
	s_delay_alu instid0(VALU_DEP_1)
	v_add_f32_e32 v17, v15, v53
	s_wait_alu 0xfffe
	v_add_co_u32 v15, vcc_lo, s46, v9
	s_wait_alu 0xfffd
	v_add_co_ci_u32_e64 v16, null, s47, v10, vcc_lo
	v_mul_f32_e32 v17, v50, v17
	global_atomic_add_f32 v[15:16], v17, off scope:SCOPE_DEV
	s_branch .LBB78_2
.LBB78_29:
	s_endpgm
	.section	.rodata,"a",@progbits
	.p2align	6, 0x0
	.amdhsa_kernel _ZL54rocblas_symv_kernel_lower_double_buffered_non_diagonalILi32ELi4ELi4E24rocblas_internal_val_ptrIfEPKfPfEvbiT2_lT3_lllS6_lllT4_llli
		.amdhsa_group_segment_fixed_size 4224
		.amdhsa_private_segment_fixed_size 0
		.amdhsa_kernarg_size 384
		.amdhsa_user_sgpr_count 4
		.amdhsa_user_sgpr_dispatch_ptr 1
		.amdhsa_user_sgpr_queue_ptr 0
		.amdhsa_user_sgpr_kernarg_segment_ptr 1
		.amdhsa_user_sgpr_dispatch_id 0
		.amdhsa_user_sgpr_private_segment_size 0
		.amdhsa_wavefront_size32 1
		.amdhsa_uses_dynamic_stack 0
		.amdhsa_enable_private_segment 0
		.amdhsa_system_sgpr_workgroup_id_x 1
		.amdhsa_system_sgpr_workgroup_id_y 1
		.amdhsa_system_sgpr_workgroup_id_z 1
		.amdhsa_system_sgpr_workgroup_info 0
		.amdhsa_system_vgpr_workitem_id 2
		.amdhsa_next_free_vgpr 77
		.amdhsa_next_free_sgpr 68
		.amdhsa_reserve_vcc 1
		.amdhsa_float_round_mode_32 0
		.amdhsa_float_round_mode_16_64 0
		.amdhsa_float_denorm_mode_32 3
		.amdhsa_float_denorm_mode_16_64 3
		.amdhsa_fp16_overflow 0
		.amdhsa_workgroup_processor_mode 1
		.amdhsa_memory_ordered 1
		.amdhsa_forward_progress 1
		.amdhsa_inst_pref_size 28
		.amdhsa_round_robin_scheduling 0
		.amdhsa_exception_fp_ieee_invalid_op 0
		.amdhsa_exception_fp_denorm_src 0
		.amdhsa_exception_fp_ieee_div_zero 0
		.amdhsa_exception_fp_ieee_overflow 0
		.amdhsa_exception_fp_ieee_underflow 0
		.amdhsa_exception_fp_ieee_inexact 0
		.amdhsa_exception_int_div_zero 0
	.end_amdhsa_kernel
	.section	.text._ZL54rocblas_symv_kernel_lower_double_buffered_non_diagonalILi32ELi4ELi4E24rocblas_internal_val_ptrIfEPKfPfEvbiT2_lT3_lllS6_lllT4_llli,"axG",@progbits,_ZL54rocblas_symv_kernel_lower_double_buffered_non_diagonalILi32ELi4ELi4E24rocblas_internal_val_ptrIfEPKfPfEvbiT2_lT3_lllS6_lllT4_llli,comdat
.Lfunc_end78:
	.size	_ZL54rocblas_symv_kernel_lower_double_buffered_non_diagonalILi32ELi4ELi4E24rocblas_internal_val_ptrIfEPKfPfEvbiT2_lT3_lllS6_lllT4_llli, .Lfunc_end78-_ZL54rocblas_symv_kernel_lower_double_buffered_non_diagonalILi32ELi4ELi4E24rocblas_internal_val_ptrIfEPKfPfEvbiT2_lT3_lllS6_lllT4_llli
                                        ; -- End function
	.set _ZL54rocblas_symv_kernel_lower_double_buffered_non_diagonalILi32ELi4ELi4E24rocblas_internal_val_ptrIfEPKfPfEvbiT2_lT3_lllS6_lllT4_llli.num_vgpr, 77
	.set _ZL54rocblas_symv_kernel_lower_double_buffered_non_diagonalILi32ELi4ELi4E24rocblas_internal_val_ptrIfEPKfPfEvbiT2_lT3_lllS6_lllT4_llli.num_agpr, 0
	.set _ZL54rocblas_symv_kernel_lower_double_buffered_non_diagonalILi32ELi4ELi4E24rocblas_internal_val_ptrIfEPKfPfEvbiT2_lT3_lllS6_lllT4_llli.numbered_sgpr, 68
	.set _ZL54rocblas_symv_kernel_lower_double_buffered_non_diagonalILi32ELi4ELi4E24rocblas_internal_val_ptrIfEPKfPfEvbiT2_lT3_lllS6_lllT4_llli.num_named_barrier, 0
	.set _ZL54rocblas_symv_kernel_lower_double_buffered_non_diagonalILi32ELi4ELi4E24rocblas_internal_val_ptrIfEPKfPfEvbiT2_lT3_lllS6_lllT4_llli.private_seg_size, 0
	.set _ZL54rocblas_symv_kernel_lower_double_buffered_non_diagonalILi32ELi4ELi4E24rocblas_internal_val_ptrIfEPKfPfEvbiT2_lT3_lllS6_lllT4_llli.uses_vcc, 1
	.set _ZL54rocblas_symv_kernel_lower_double_buffered_non_diagonalILi32ELi4ELi4E24rocblas_internal_val_ptrIfEPKfPfEvbiT2_lT3_lllS6_lllT4_llli.uses_flat_scratch, 0
	.set _ZL54rocblas_symv_kernel_lower_double_buffered_non_diagonalILi32ELi4ELi4E24rocblas_internal_val_ptrIfEPKfPfEvbiT2_lT3_lllS6_lllT4_llli.has_dyn_sized_stack, 0
	.set _ZL54rocblas_symv_kernel_lower_double_buffered_non_diagonalILi32ELi4ELi4E24rocblas_internal_val_ptrIfEPKfPfEvbiT2_lT3_lllS6_lllT4_llli.has_recursion, 0
	.set _ZL54rocblas_symv_kernel_lower_double_buffered_non_diagonalILi32ELi4ELi4E24rocblas_internal_val_ptrIfEPKfPfEvbiT2_lT3_lllS6_lllT4_llli.has_indirect_call, 0
	.section	.AMDGPU.csdata,"",@progbits
; Kernel info:
; codeLenInByte = 3504
; TotalNumSgprs: 70
; NumVgprs: 77
; ScratchSize: 0
; MemoryBound: 0
; FloatMode: 240
; IeeeMode: 1
; LDSByteSize: 4224 bytes/workgroup (compile time only)
; SGPRBlocks: 0
; VGPRBlocks: 9
; NumSGPRsForWavesPerEU: 70
; NumVGPRsForWavesPerEU: 77
; Occupancy: 16
; WaveLimiterHint : 1
; COMPUTE_PGM_RSRC2:SCRATCH_EN: 0
; COMPUTE_PGM_RSRC2:USER_SGPR: 4
; COMPUTE_PGM_RSRC2:TRAP_HANDLER: 0
; COMPUTE_PGM_RSRC2:TGID_X_EN: 1
; COMPUTE_PGM_RSRC2:TGID_Y_EN: 1
; COMPUTE_PGM_RSRC2:TGID_Z_EN: 1
; COMPUTE_PGM_RSRC2:TIDIG_COMP_CNT: 2
	.section	.text._ZL58rocblas_symv_kernel_lower_double_buffered_diagonal_genericILi32ELi4E24rocblas_internal_val_ptrIfEPKfPfEvbiT1_lT2_lllS6_lllS5_lT3_lllii,"axG",@progbits,_ZL58rocblas_symv_kernel_lower_double_buffered_diagonal_genericILi32ELi4E24rocblas_internal_val_ptrIfEPKfPfEvbiT1_lT2_lllS6_lllS5_lT3_lllii,comdat
	.globl	_ZL58rocblas_symv_kernel_lower_double_buffered_diagonal_genericILi32ELi4E24rocblas_internal_val_ptrIfEPKfPfEvbiT1_lT2_lllS6_lllS5_lT3_lllii ; -- Begin function _ZL58rocblas_symv_kernel_lower_double_buffered_diagonal_genericILi32ELi4E24rocblas_internal_val_ptrIfEPKfPfEvbiT1_lT2_lllS6_lllS5_lT3_lllii
	.p2align	8
	.type	_ZL58rocblas_symv_kernel_lower_double_buffered_diagonal_genericILi32ELi4E24rocblas_internal_val_ptrIfEPKfPfEvbiT1_lT2_lllS6_lllS5_lT3_lllii,@function
_ZL58rocblas_symv_kernel_lower_double_buffered_diagonal_genericILi32ELi4E24rocblas_internal_val_ptrIfEPKfPfEvbiT1_lT2_lllS6_lllS5_lT3_lllii: ; @_ZL58rocblas_symv_kernel_lower_double_buffered_diagonal_genericILi32ELi4E24rocblas_internal_val_ptrIfEPKfPfEvbiT1_lT2_lllS6_lllS5_lT3_lllii
; %bb.0:
	s_load_b64 s[0:1], s[0:1], 0x4
	s_clause 0x1
	s_load_b512 s[12:27], s[2:3], 0x8
	s_load_b256 s[36:43], s[2:3], 0x48
	v_bfe_u32 v1, v0, 10, 10
	s_load_b64 s[28:29], s[2:3], 0x88
	v_and_b32_e32 v2, 0x3ff, v0
	v_bfe_u32 v0, v0, 20, 10
	s_wait_kmcnt 0x0
	v_mul_u32_u24_e32 v3, s1, v1
	s_lshr_b32 s0, s0, 16
	v_dual_mov_b32 v4, s13 :: v_dual_mov_b32 v5, s40
	s_wait_alu 0xfffe
	s_mul_i32 s0, s0, s1
	s_wait_alu 0xfffe
	v_mad_u32_u24 v3, s0, v2, v3
	s_delay_alu instid0(VALU_DEP_1) | instskip(SKIP_2) | instid1(VALU_DEP_2)
	v_add_lshl_u32 v0, v3, v0, 3
	v_dual_mov_b32 v3, s12 :: v_dual_mov_b32 v6, s41
	s_lshr_b32 s12, ttmp7, 16
	v_add_nc_u32_e32 v7, 0x80, v0
	s_wait_alu 0xfffe
	s_cmp_ge_u32 s12, s29
	ds_store_2addr_stride64_b64 v7, v[5:6], v[3:4] offset0:10 offset1:12
	s_cbranch_scc1 .LBB79_69
; %bb.1:
	s_clause 0x1
	s_load_b32 s1, s[2:3], 0x0
	s_load_b128 s[4:7], s[2:3], 0x70
	v_mad_co_u64_u32 v[3:4], null, s20, v1, 0
	v_add_nc_u32_e32 v10, 0x1880, v0
	v_add_nc_u32_e32 v11, 0x1480, v0
	s_clause 0x1
	s_load_b64 s[8:9], s[2:3], 0x68
	s_load_b64 s[30:31], s[2:3], 0x80
	v_lshl_add_u32 v19, v1, 5, v2
	v_cmp_eq_u32_e64 s0, 0, v1
	v_lshlrev_b32_e32 v20, 7, v1
	v_mov_b32_e32 v0, v4
	v_lshlrev_b32_e32 v18, 2, v1
	v_cmp_gt_i32_e64 s33, s28, v2
	v_mov_b32_e32 v12, 0
	v_add_nc_u32_e32 v22, 0x400, v20
	v_mad_co_u64_u32 v[4:5], null, s21, v1, v[0:1]
	v_add_nc_u32_e32 v23, 0x600, v20
	v_add_nc_u32_e32 v24, 0xe00, v20
	;; [unrolled: 1-line block ×3, first 2 shown]
	s_wait_kmcnt 0x0
	s_bitcmp1_b32 s1, 0
	v_mad_co_u64_u32 v[5:6], null, s6, v2, 0
	s_cselect_b32 s1, -1, 0
	s_lshl_b64 s[10:11], s[26:27], 2
	s_lshl_b32 s26, ttmp9, 5
	s_lshl_b64 s[4:5], s[4:5], 2
	s_ashr_i32 s27, s26, 31
	s_add_nc_u64 s[4:5], s[8:9], s[4:5]
	v_dual_mov_b32 v0, v6 :: v_dual_lshlrev_b32 v27, 2, v2
	s_mul_u64 s[8:9], s[6:7], s[26:27]
	s_lshl_b64 s[34:35], s[18:19], 2
	s_lshl_b64 s[8:9], s[8:9], 2
	s_delay_alu instid0(VALU_DEP_1)
	v_mad_co_u64_u32 v[6:7], null, s7, v2, v[0:1]
	v_mad_co_u64_u32 v[7:8], null, s36, v2, 0
	s_add_nc_u64 s[18:19], s[4:5], s[8:9]
	s_add_nc_u64 s[4:5], s[20:21], 1
	v_lshlrev_b64_e32 v[3:4], 2, v[3:4]
	s_mul_u64 s[4:5], s[4:5], s[26:27]
	s_add_nc_u64 s[44:45], s[16:17], s[34:35]
	v_dual_mov_b32 v0, v8 :: v_dual_add_nc_u32 v15, 0x1400, v27
	s_lshl_b64 s[48:49], s[4:5], 2
	s_wait_alu 0xfffe
	s_xor_b32 s40, s1, -1
	s_add_nc_u64 s[4:5], s[44:45], s[48:49]
	s_add_nc_u64 s[46:47], s[24:25], s[10:11]
	v_mad_co_u64_u32 v[8:9], null, s37, v2, v[0:1]
	v_sub_co_u32 v0, s41, v2, v1
	v_add_co_u32 v13, vcc_lo, s4, v3
	s_delay_alu instid0(VALU_DEP_1) | instskip(NEXT) | instid1(VALU_DEP_3)
	v_add_co_ci_u32_e64 v14, null, s5, v4, vcc_lo
	v_sub_nc_u32_e32 v9, 0, v0
	s_mul_u64 s[4:5], s[36:37], s[26:27]
	s_lshl_b64 s[24:25], s[20:21], 4
	s_wait_alu 0xfffe
	s_lshl_b64 s[26:27], s[4:5], 2
	s_lshr_b32 s44, s28, 2
	v_max_i32_e32 v0, v0, v9
	v_add_co_u32 v13, vcc_lo, v13, v27
	s_cmp_gt_u32 s28, 3
	s_add_nc_u64 s[34:35], s[34:35], s[48:49]
	s_wait_alu 0xfffd
	v_add_co_ci_u32_e64 v14, null, 0, v14, vcc_lo
	s_cselect_b32 s45, -1, 0
	s_and_b32 s4, s28, 3
	v_cmp_gt_u32_e64 s5, 4, v0
	v_cmp_gt_u32_e64 s6, 8, v0
	;; [unrolled: 1-line block ×7, first 2 shown]
	v_add_co_u32 v0, vcc_lo, s34, v3
	s_wait_alu 0xfffe
	v_cmp_gt_u32_e64 s4, s4, v1
	s_wait_alu 0xfffd
	v_add_co_ci_u32_e64 v1, null, s35, v4, vcc_lo
	v_add_co_u32 v0, vcc_lo, v0, v27
	v_cmp_le_i32_e64 s1, s28, v2
	v_mul_u32_u24_e32 v2, 0x7c, v2
	v_add_nc_u32_e32 v9, 0x200, v20
	v_add_nc_u32_e32 v26, 0xa00, v20
	;; [unrolled: 1-line block ×3, first 2 shown]
	s_wait_alu 0xfffd
	v_add_co_ci_u32_e64 v1, null, 0, v1, vcc_lo
	v_add_co_u32 v0, vcc_lo, s16, v0
	v_add3_u32 v17, v27, v2, v18
	v_lshlrev_b64_e32 v[2:3], 2, v[5:6]
	v_lshlrev_b64_e32 v[4:5], 2, v[7:8]
	v_add_nc_u32_e32 v16, v27, v20
	v_add_nc_u32_e32 v18, 0x1400, v18
	v_lshl_add_u32 v19, v19, 2, 0x1000
	v_or_b32_e32 v20, 0x1000, v27
	s_wait_alu 0xfffd
	v_add_co_ci_u32_e64 v1, null, s17, v1, vcc_lo
	v_add_nc_u32_e32 v21, v27, v9
	v_add_nc_u32_e32 v22, v27, v22
	;; [unrolled: 1-line block ×7, first 2 shown]
	s_mov_b32 s13, 0
	s_add_nc_u64 s[16:17], s[2:3], 0x90
	s_add_nc_u64 s[26:27], s[46:47], s[26:27]
	s_lshl_b64 s[34:35], s[22:23], 2
	s_branch .LBB79_4
.LBB79_2:                               ;   in Loop: Header=BB79_4 Depth=1
	s_wait_alu 0xfffe
	s_or_b32 exec_lo, exec_lo, s36
.LBB79_3:                               ;   in Loop: Header=BB79_4 Depth=1
	s_wait_alu 0xfffe
	s_or_b32 exec_lo, exec_lo, s28
	s_add_co_i32 s12, s12, 0x10000
	s_wait_alu 0xfffe
	s_cmp_lt_u32 s12, s29
	s_cbranch_scc0 .LBB79_69
.LBB79_4:                               ; =>This Loop Header: Depth=1
                                        ;     Child Loop BB79_40 Depth 2
	s_and_b32 vcc_lo, exec_lo, s40
	s_mov_b32 s2, -1
                                        ; implicit-def: $vgpr28
	s_wait_alu 0xfffe
	s_cbranch_vccnz .LBB79_59
; %bb.5:                                ;   in Loop: Header=BB79_4 Depth=1
	s_and_not1_b32 vcc_lo, exec_lo, s2
	s_wait_alu 0xfffe
	s_cbranch_vccz .LBB79_60
.LBB79_6:                               ;   in Loop: Header=BB79_4 Depth=1
	s_and_b32 vcc_lo, exec_lo, s40
	s_mov_b32 s2, -1
                                        ; implicit-def: $vgpr29
	s_wait_alu 0xfffe
	s_cbranch_vccnz .LBB79_61
.LBB79_7:                               ;   in Loop: Header=BB79_4 Depth=1
	s_and_not1_b32 vcc_lo, exec_lo, s2
	s_wait_alu 0xfffe
	s_cbranch_vccnz .LBB79_9
.LBB79_8:                               ;   in Loop: Header=BB79_4 Depth=1
	s_wait_loadcnt_dscnt 0x0
	ds_load_b32 v29, v11
.LBB79_9:                               ;   in Loop: Header=BB79_4 Depth=1
	s_wait_loadcnt_dscnt 0x0
	v_cmp_neq_f32_e32 vcc_lo, 0, v28
	v_cmp_neq_f32_e64 s2, 1.0, v29
	s_or_b32 s2, vcc_lo, s2
	s_wait_alu 0xfffe
	s_and_saveexec_b32 s28, s2
	s_cbranch_execz .LBB79_3
; %bb.10:                               ;   in Loop: Header=BB79_4 Depth=1
	s_mul_u64 s[2:3], s[30:31], s[12:13]
	s_mov_b32 s36, exec_lo
	s_wait_alu 0xfffe
	s_lshl_b64 s[2:3], s[2:3], 2
	s_wait_alu 0xfffe
	s_add_nc_u64 s[2:3], s[18:19], s[2:3]
	v_cmpx_eq_f32_e32 0, v28
	s_xor_b32 s36, exec_lo, s36
	s_cbranch_execz .LBB79_17
; %bb.11:                               ;   in Loop: Header=BB79_4 Depth=1
	s_and_saveexec_b32 s37, s0
	s_cbranch_execz .LBB79_16
; %bb.12:                               ;   in Loop: Header=BB79_4 Depth=1
	s_mov_b32 s47, s33
	s_and_saveexec_b32 s46, s1
	s_cbranch_execz .LBB79_14
; %bb.13:                               ;   in Loop: Header=BB79_4 Depth=1
	s_load_b32 s47, s[16:17], 0x0
	s_wait_kmcnt 0x0
	s_add_co_i32 s47, s47, -1
	s_delay_alu instid0(SALU_CYCLE_1)
	s_cmp_lt_u32 ttmp9, s47
	s_cselect_b32 s47, -1, 0
	s_and_not1_b32 s48, s33, exec_lo
	s_and_b32 s47, s47, exec_lo
	s_wait_alu 0xfffe
	s_or_b32 s47, s48, s47
.LBB79_14:                              ;   in Loop: Header=BB79_4 Depth=1
	s_or_b32 exec_lo, exec_lo, s46
	s_delay_alu instid0(SALU_CYCLE_1)
	s_and_b32 exec_lo, exec_lo, s47
	s_cbranch_execz .LBB79_16
; %bb.15:                               ;   in Loop: Header=BB79_4 Depth=1
	s_wait_alu 0xfffe
	v_add_co_u32 v6, vcc_lo, s2, v2
	s_wait_alu 0xfffd
	v_add_co_ci_u32_e64 v7, null, s3, v3, vcc_lo
	global_load_b32 v8, v[6:7], off
	s_wait_loadcnt 0x0
	v_mul_f32_e32 v8, v29, v8
	global_store_b32 v[6:7], v8, off
.LBB79_16:                              ;   in Loop: Header=BB79_4 Depth=1
	s_wait_alu 0xfffe
	s_or_b32 exec_lo, exec_lo, s37
                                        ; implicit-def: $vgpr28
                                        ; implicit-def: $vgpr29
.LBB79_17:                              ;   in Loop: Header=BB79_4 Depth=1
	s_wait_alu 0xfffe
	s_and_not1_saveexec_b32 s36, s36
	s_cbranch_execz .LBB79_3
; %bb.18:                               ;   in Loop: Header=BB79_4 Depth=1
	s_load_b32 s46, s[16:17], 0x0
	s_mul_u64 s[36:37], s[38:39], s[12:13]
	s_mov_b32 s47, -1
	s_wait_alu 0xfffe
	s_lshl_b64 s[36:37], s[36:37], 2
                                        ; implicit-def: $vgpr30
	s_wait_alu 0xfffe
	s_add_nc_u64 s[36:37], s[26:27], s[36:37]
	s_wait_kmcnt 0x0
	s_add_co_i32 s46, s46, -1
	s_delay_alu instid0(SALU_CYCLE_1) | instskip(SKIP_1) | instid1(SALU_CYCLE_1)
	s_cmp_lg_u32 ttmp9, s46
	s_cselect_b32 s46, -1, 0
	s_and_b32 vcc_lo, exec_lo, s46
	s_wait_alu 0xfffe
	s_cbranch_vccz .LBB79_24
; %bb.19:                               ;   in Loop: Header=BB79_4 Depth=1
	v_mov_b32_e32 v30, 0
	s_and_saveexec_b32 s47, s0
	s_cbranch_execz .LBB79_23
; %bb.20:                               ;   in Loop: Header=BB79_4 Depth=1
	v_add_co_u32 v6, vcc_lo, s36, v4
	s_wait_alu 0xfffd
	v_add_co_ci_u32_e64 v7, null, s37, v5, vcc_lo
	v_mov_b32_e32 v30, 0
	s_mov_b32 s48, exec_lo
	global_load_b32 v6, v[6:7], off
	s_wait_loadcnt 0x0
	ds_store_b32 v15, v6
	v_cmpx_neq_f32_e32 0, v29
	s_cbranch_execz .LBB79_22
; %bb.21:                               ;   in Loop: Header=BB79_4 Depth=1
	v_add_co_u32 v6, vcc_lo, s2, v2
	s_wait_alu 0xfffd
	v_add_co_ci_u32_e64 v7, null, s3, v3, vcc_lo
	global_load_b32 v6, v[6:7], off
	s_wait_loadcnt 0x0
	v_mul_f32_e32 v30, v29, v6
.LBB79_22:                              ;   in Loop: Header=BB79_4 Depth=1
	s_wait_alu 0xfffe
	s_or_b32 exec_lo, exec_lo, s48
.LBB79_23:                              ;   in Loop: Header=BB79_4 Depth=1
	s_delay_alu instid0(SALU_CYCLE_1)
	s_or_b32 exec_lo, exec_lo, s47
	s_mov_b32 s47, 0
.LBB79_24:                              ;   in Loop: Header=BB79_4 Depth=1
	s_delay_alu instid0(SALU_CYCLE_1)
	s_and_not1_b32 vcc_lo, exec_lo, s47
	s_wait_alu 0xfffe
	s_cbranch_vccnz .LBB79_34
; %bb.25:                               ;   in Loop: Header=BB79_4 Depth=1
	v_mov_b32_e32 v30, 0
	s_and_saveexec_b32 s47, s0
	s_cbranch_execz .LBB79_33
; %bb.26:                               ;   in Loop: Header=BB79_4 Depth=1
	s_and_saveexec_b32 s48, s1
	s_wait_alu 0xfffe
	s_xor_b32 s48, exec_lo, s48
; %bb.27:                               ;   in Loop: Header=BB79_4 Depth=1
	ds_store_b32 v15, v12
; %bb.28:                               ;   in Loop: Header=BB79_4 Depth=1
	s_wait_alu 0xfffe
	s_or_saveexec_b32 s48, s48
	v_mov_b32_e32 v30, 0
	s_wait_alu 0xfffe
	s_xor_b32 exec_lo, exec_lo, s48
	s_cbranch_execz .LBB79_32
; %bb.29:                               ;   in Loop: Header=BB79_4 Depth=1
	v_add_co_u32 v6, vcc_lo, s36, v4
	s_wait_alu 0xfffd
	v_add_co_ci_u32_e64 v7, null, s37, v5, vcc_lo
	v_mov_b32_e32 v30, 0
	s_mov_b32 s36, exec_lo
	global_load_b32 v6, v[6:7], off
	s_wait_loadcnt 0x0
	ds_store_b32 v15, v6
	v_cmpx_neq_f32_e32 0, v29
	s_cbranch_execz .LBB79_31
; %bb.30:                               ;   in Loop: Header=BB79_4 Depth=1
	v_add_co_u32 v6, vcc_lo, s2, v2
	s_wait_alu 0xfffd
	v_add_co_ci_u32_e64 v7, null, s3, v3, vcc_lo
	global_load_b32 v6, v[6:7], off
	s_wait_loadcnt 0x0
	v_mul_f32_e32 v30, v29, v6
.LBB79_31:                              ;   in Loop: Header=BB79_4 Depth=1
	s_wait_alu 0xfffe
	s_or_b32 exec_lo, exec_lo, s36
.LBB79_32:                              ;   in Loop: Header=BB79_4 Depth=1
	s_delay_alu instid0(SALU_CYCLE_1)
	s_or_b32 exec_lo, exec_lo, s48
.LBB79_33:                              ;   in Loop: Header=BB79_4 Depth=1
	s_delay_alu instid0(SALU_CYCLE_1)
	s_or_b32 exec_lo, exec_lo, s47
.LBB79_34:                              ;   in Loop: Header=BB79_4 Depth=1
	s_mul_u64 s[36:37], s[22:23], s[12:13]
	s_wait_alu 0xfffe
	s_lshl_b64 s[36:37], s[36:37], 2
	s_wait_alu 0xfffe
	v_add_co_u32 v6, vcc_lo, v13, s36
	s_wait_alu 0xfffd
	v_add_co_ci_u32_e64 v7, null, s37, v14, vcc_lo
	s_and_not1_b32 vcc_lo, exec_lo, s46
	s_mov_b32 s36, -1
	s_wait_alu 0xfffe
	s_cbranch_vccnz .LBB79_36
; %bb.35:                               ;   in Loop: Header=BB79_4 Depth=1
	v_add_co_u32 v8, vcc_lo, v6, s24
	s_wait_alu 0xfffd
	v_add_co_ci_u32_e64 v9, null, s25, v7, vcc_lo
	s_mov_b32 s36, 0
	v_add_co_u32 v31, vcc_lo, v8, s24
	s_wait_alu 0xfffd
	v_add_co_ci_u32_e64 v32, null, s25, v9, vcc_lo
	s_delay_alu instid0(VALU_DEP_2) | instskip(SKIP_1) | instid1(VALU_DEP_2)
	v_add_co_u32 v33, vcc_lo, v31, s24
	s_wait_alu 0xfffd
	v_add_co_ci_u32_e64 v34, null, s25, v32, vcc_lo
	s_delay_alu instid0(VALU_DEP_2) | instskip(SKIP_1) | instid1(VALU_DEP_2)
	;; [unrolled: 4-line block ×5, first 2 shown]
	v_add_co_u32 v41, vcc_lo, v39, s24
	s_wait_alu 0xfffd
	v_add_co_ci_u32_e64 v42, null, s25, v40, vcc_lo
	s_clause 0x5
	global_load_b32 v43, v[6:7], off
	global_load_b32 v8, v[8:9], off
	;; [unrolled: 1-line block ×8, first 2 shown]
	s_wait_loadcnt 0x6
	ds_store_2addr_stride64_b32 v16, v43, v8 offset1:2
	s_wait_loadcnt 0x4
	ds_store_2addr_stride64_b32 v16, v9, v31 offset0:4 offset1:6
	s_wait_loadcnt 0x2
	ds_store_2addr_stride64_b32 v16, v32, v33 offset0:8 offset1:10
	s_wait_loadcnt 0x0
	ds_store_2addr_stride64_b32 v16, v34, v35 offset0:12 offset1:14
.LBB79_36:                              ;   in Loop: Header=BB79_4 Depth=1
	s_wait_alu 0xfffe
	s_and_not1_b32 vcc_lo, exec_lo, s36
	s_wait_alu 0xfffe
	s_cbranch_vccnz .LBB79_44
; %bb.37:                               ;   in Loop: Header=BB79_4 Depth=1
	ds_store_2addr_stride64_b32 v16, v12, v12 offset1:2
	ds_store_2addr_stride64_b32 v16, v12, v12 offset0:4 offset1:6
	ds_store_2addr_stride64_b32 v16, v12, v12 offset0:8 offset1:10
	;; [unrolled: 1-line block ×3, first 2 shown]
	s_and_saveexec_b32 s36, s33
	s_cbranch_execz .LBB79_43
; %bb.38:                               ;   in Loop: Header=BB79_4 Depth=1
	s_and_not1_b32 vcc_lo, exec_lo, s45
	s_mov_b32 s37, 0
	s_wait_alu 0xfffe
	s_cbranch_vccnz .LBB79_41
; %bb.39:                               ;   in Loop: Header=BB79_4 Depth=1
	v_mad_co_u64_u32 v[8:9], null, s34, s12, v[0:1]
	s_mov_b32 s47, s44
	v_mad_co_u64_u32 v[31:32], null, s35, s12, v[9:10]
	s_delay_alu instid0(VALU_DEP_1)
	v_mov_b32_e32 v9, v31
	v_mov_b32_e32 v31, v16
.LBB79_40:                              ;   Parent Loop BB79_4 Depth=1
                                        ; =>  This Inner Loop Header: Depth=2
	global_load_b32 v32, v[8:9], off
	v_add_co_u32 v8, vcc_lo, v8, s24
	s_wait_alu 0xfffd
	v_add_co_ci_u32_e64 v9, null, s25, v9, vcc_lo
	s_add_co_i32 s47, s47, -1
	s_mov_b32 s37, s44
	s_cmp_lg_u32 s47, 0
	s_wait_loadcnt 0x0
	ds_store_b32 v31, v32
	v_add_nc_u32_e32 v31, 0x200, v31
	s_cbranch_scc1 .LBB79_40
.LBB79_41:                              ;   in Loop: Header=BB79_4 Depth=1
	s_and_b32 exec_lo, exec_lo, s4
	s_cbranch_execz .LBB79_43
; %bb.42:                               ;   in Loop: Header=BB79_4 Depth=1
	s_wait_alu 0xfffe
	s_lshl_b32 s48, s37, 2
	s_mov_b32 s49, s13
	s_wait_alu 0xfffe
	s_mul_u64 s[48:49], s[20:21], s[48:49]
	s_wait_alu 0xfffe
	s_lshl_b64 s[48:49], s[48:49], 2
	s_wait_alu 0xfffe
	v_add_co_u32 v6, vcc_lo, v6, s48
	s_wait_alu 0xfffd
	v_add_co_ci_u32_e64 v7, null, s49, v7, vcc_lo
	global_load_b32 v6, v[6:7], off
	v_lshl_add_u32 v7, s37, 9, v16
	s_wait_loadcnt 0x0
	ds_store_b32 v7, v6
.LBB79_43:                              ;   in Loop: Header=BB79_4 Depth=1
	s_wait_alu 0xfffe
	s_or_b32 exec_lo, exec_lo, s36
.LBB79_44:                              ;   in Loop: Header=BB79_4 Depth=1
	s_wait_storecnt_dscnt 0x0
	s_barrier_signal -1
	s_barrier_wait -1
	global_inv scope:SCOPE_SE
	s_and_saveexec_b32 s36, s41
	s_cbranch_execnz .LBB79_62
; %bb.45:                               ;   in Loop: Header=BB79_4 Depth=1
	s_wait_alu 0xfffe
	s_or_b32 exec_lo, exec_lo, s36
	s_and_saveexec_b32 s36, s5
	s_cbranch_execnz .LBB79_63
.LBB79_46:                              ;   in Loop: Header=BB79_4 Depth=1
	s_wait_alu 0xfffe
	s_or_b32 exec_lo, exec_lo, s36
	s_and_saveexec_b32 s36, s6
	s_cbranch_execnz .LBB79_64
.LBB79_47:                              ;   in Loop: Header=BB79_4 Depth=1
	s_wait_alu 0xfffe
	s_or_b32 exec_lo, exec_lo, s36
	s_and_saveexec_b32 s36, s7
	s_cbranch_execnz .LBB79_65
.LBB79_48:                              ;   in Loop: Header=BB79_4 Depth=1
	s_wait_alu 0xfffe
	s_or_b32 exec_lo, exec_lo, s36
	s_and_saveexec_b32 s36, s8
	s_cbranch_execnz .LBB79_66
.LBB79_49:                              ;   in Loop: Header=BB79_4 Depth=1
	s_wait_alu 0xfffe
	s_or_b32 exec_lo, exec_lo, s36
	s_and_saveexec_b32 s36, s9
	s_cbranch_execnz .LBB79_67
.LBB79_50:                              ;   in Loop: Header=BB79_4 Depth=1
	s_wait_alu 0xfffe
	s_or_b32 exec_lo, exec_lo, s36
	s_and_saveexec_b32 s36, s10
	s_cbranch_execnz .LBB79_68
.LBB79_51:                              ;   in Loop: Header=BB79_4 Depth=1
	s_wait_alu 0xfffe
	s_or_b32 exec_lo, exec_lo, s36
	s_and_saveexec_b32 s36, s11
	s_cbranch_execz .LBB79_53
.LBB79_52:                              ;   in Loop: Header=BB79_4 Depth=1
	ds_load_b32 v6, v17 offset:112
	s_wait_dscnt 0x0
	ds_store_b32 v24, v6
.LBB79_53:                              ;   in Loop: Header=BB79_4 Depth=1
	s_wait_alu 0xfffe
	s_or_b32 exec_lo, exec_lo, s36
	s_wait_loadcnt_dscnt 0x0
	s_barrier_signal -1
	s_barrier_wait -1
	global_inv scope:SCOPE_SE
	ds_load_2addr_b32 v[6:7], v18 offset1:4
	ds_load_b32 v33, v16
	ds_load_b32 v34, v21
	ds_load_2addr_b32 v[8:9], v18 offset0:8 offset1:12
	ds_load_b32 v35, v22
	ds_load_2addr_b32 v[31:32], v18 offset0:16 offset1:20
	ds_load_b32 v36, v23
	ds_load_b32 v37, v25
	;; [unrolled: 1-line block ×5, first 2 shown]
	s_wait_dscnt 0x9
	v_fma_f32 v33, v33, v6, 0
	s_wait_dscnt 0x8
	s_delay_alu instid0(VALU_DEP_1) | instskip(SKIP_4) | instid1(VALU_DEP_1)
	v_fmac_f32_e32 v33, v34, v7
	ds_load_2addr_b32 v[6:7], v18 offset0:24 offset1:28
	s_wait_dscnt 0x7
	v_fmac_f32_e32 v33, v35, v8
	s_wait_dscnt 0x5
	v_fmac_f32_e32 v33, v36, v9
	s_wait_dscnt 0x4
	s_delay_alu instid0(VALU_DEP_1) | instskip(SKIP_1) | instid1(VALU_DEP_1)
	v_fmac_f32_e32 v33, v37, v31
	s_wait_dscnt 0x3
	v_fmac_f32_e32 v33, v38, v32
	s_wait_dscnt 0x0
	s_delay_alu instid0(VALU_DEP_1) | instskip(NEXT) | instid1(VALU_DEP_1)
	v_fmac_f32_e32 v33, v39, v6
	v_fmac_f32_e32 v33, v40, v7
	ds_store_b32 v19, v33
	s_wait_loadcnt_dscnt 0x0
	s_barrier_signal -1
	s_barrier_wait -1
	global_inv scope:SCOPE_SE
	s_and_saveexec_b32 s36, s0
	s_cbranch_execz .LBB79_2
; %bb.54:                               ;   in Loop: Header=BB79_4 Depth=1
	ds_load_2addr_b32 v[6:7], v20 offset1:32
	ds_load_2addr_b32 v[8:9], v20 offset0:64 offset1:96
	v_cmp_neq_f32_e32 vcc_lo, 0, v29
	s_mov_b32 s37, -1
	s_wait_dscnt 0x1
	v_add_f32_e32 v6, 0, v6
	s_delay_alu instid0(VALU_DEP_1) | instskip(SKIP_1) | instid1(VALU_DEP_1)
	v_add_f32_e32 v6, v6, v7
	s_wait_dscnt 0x0
	v_add_f32_e32 v6, v6, v8
	s_delay_alu instid0(VALU_DEP_1) | instskip(NEXT) | instid1(VALU_DEP_1)
	v_add_f32_e32 v6, v6, v9
	v_mul_f32_e32 v7, v28, v6
	v_fmac_f32_e32 v30, v28, v6
	s_wait_alu 0xfffd
	s_delay_alu instid0(VALU_DEP_1)
	v_cndmask_b32_e32 v6, v7, v30, vcc_lo
	s_and_b32 vcc_lo, exec_lo, s46
	s_wait_alu 0xfffe
	s_cbranch_vccz .LBB79_56
; %bb.55:                               ;   in Loop: Header=BB79_4 Depth=1
	v_add_co_u32 v7, vcc_lo, s2, v2
	s_wait_alu 0xfffd
	v_add_co_ci_u32_e64 v8, null, s3, v3, vcc_lo
	s_mov_b32 s37, 0
	global_store_b32 v[7:8], v6, off
.LBB79_56:                              ;   in Loop: Header=BB79_4 Depth=1
	s_wait_alu 0xfffe
	s_and_not1_b32 vcc_lo, exec_lo, s37
	s_wait_alu 0xfffe
	s_cbranch_vccnz .LBB79_2
; %bb.57:                               ;   in Loop: Header=BB79_4 Depth=1
	s_and_b32 exec_lo, exec_lo, s33
	s_cbranch_execz .LBB79_2
; %bb.58:                               ;   in Loop: Header=BB79_4 Depth=1
	v_add_co_u32 v7, vcc_lo, s2, v2
	s_wait_alu 0xfffd
	v_add_co_ci_u32_e64 v8, null, s3, v3, vcc_lo
	global_store_b32 v[7:8], v6, off
	s_branch .LBB79_2
.LBB79_59:                              ;   in Loop: Header=BB79_4 Depth=1
	ds_load_b64 v[6:7], v10
	s_mul_u64 s[2:3], s[14:15], s[12:13]
	s_wait_alu 0xfffe
	s_lshl_b64 s[2:3], s[2:3], 2
	s_wait_dscnt 0x0
	s_wait_alu 0xfffe
	v_add_co_u32 v6, vcc_lo, v6, s2
	s_wait_alu 0xfffd
	v_add_co_ci_u32_e64 v7, null, s3, v7, vcc_lo
	flat_load_b32 v28, v[6:7]
	s_cbranch_execnz .LBB79_6
.LBB79_60:                              ;   in Loop: Header=BB79_4 Depth=1
	s_wait_loadcnt_dscnt 0x0
	ds_load_b32 v28, v10
	s_and_b32 vcc_lo, exec_lo, s40
	s_mov_b32 s2, -1
                                        ; implicit-def: $vgpr29
	s_wait_alu 0xfffe
	s_cbranch_vccz .LBB79_7
.LBB79_61:                              ;   in Loop: Header=BB79_4 Depth=1
	ds_load_b64 v[6:7], v11
	s_mul_u64 s[2:3], s[42:43], s[12:13]
	s_wait_alu 0xfffe
	s_lshl_b64 s[2:3], s[2:3], 2
	s_wait_dscnt 0x0
	s_wait_alu 0xfffe
	v_add_co_u32 v6, vcc_lo, v6, s2
	s_wait_alu 0xfffd
	v_add_co_ci_u32_e64 v7, null, s3, v7, vcc_lo
	flat_load_b32 v29, v[6:7]
	s_cbranch_execz .LBB79_8
	s_branch .LBB79_9
.LBB79_62:                              ;   in Loop: Header=BB79_4 Depth=1
	ds_load_b32 v6, v17
	s_wait_dscnt 0x0
	ds_store_b32 v16, v6
	s_wait_alu 0xfffe
	s_or_b32 exec_lo, exec_lo, s36
	s_and_saveexec_b32 s36, s5
	s_cbranch_execz .LBB79_46
.LBB79_63:                              ;   in Loop: Header=BB79_4 Depth=1
	ds_load_b32 v6, v17 offset:16
	s_wait_dscnt 0x0
	ds_store_b32 v21, v6
	s_wait_alu 0xfffe
	s_or_b32 exec_lo, exec_lo, s36
	s_and_saveexec_b32 s36, s6
	s_cbranch_execz .LBB79_47
.LBB79_64:                              ;   in Loop: Header=BB79_4 Depth=1
	ds_load_b32 v6, v17 offset:32
	s_wait_dscnt 0x0
	ds_store_b32 v22, v6
	s_wait_alu 0xfffe
	s_or_b32 exec_lo, exec_lo, s36
	s_and_saveexec_b32 s36, s7
	s_cbranch_execz .LBB79_48
.LBB79_65:                              ;   in Loop: Header=BB79_4 Depth=1
	ds_load_b32 v6, v17 offset:48
	s_wait_dscnt 0x0
	ds_store_b32 v23, v6
	s_wait_alu 0xfffe
	s_or_b32 exec_lo, exec_lo, s36
	s_and_saveexec_b32 s36, s8
	s_cbranch_execz .LBB79_49
.LBB79_66:                              ;   in Loop: Header=BB79_4 Depth=1
	ds_load_b32 v6, v17 offset:64
	s_wait_dscnt 0x0
	ds_store_b32 v16, v6 offset:2048
	s_wait_alu 0xfffe
	s_or_b32 exec_lo, exec_lo, s36
	s_and_saveexec_b32 s36, s9
	s_cbranch_execz .LBB79_50
.LBB79_67:                              ;   in Loop: Header=BB79_4 Depth=1
	ds_load_b32 v6, v17 offset:80
	s_wait_dscnt 0x0
	ds_store_b32 v16, v6 offset:2560
	s_wait_alu 0xfffe
	s_or_b32 exec_lo, exec_lo, s36
	s_and_saveexec_b32 s36, s10
	s_cbranch_execz .LBB79_51
.LBB79_68:                              ;   in Loop: Header=BB79_4 Depth=1
	ds_load_b32 v6, v17 offset:96
	s_wait_dscnt 0x0
	ds_store_b32 v16, v6 offset:3072
	s_wait_alu 0xfffe
	s_or_b32 exec_lo, exec_lo, s36
	s_and_saveexec_b32 s36, s11
	s_cbranch_execnz .LBB79_52
	s_branch .LBB79_53
.LBB79_69:
	s_endpgm
	.section	.rodata,"a",@progbits
	.p2align	6, 0x0
	.amdhsa_kernel _ZL58rocblas_symv_kernel_lower_double_buffered_diagonal_genericILi32ELi4E24rocblas_internal_val_ptrIfEPKfPfEvbiT1_lT2_lllS6_lllS5_lT3_lllii
		.amdhsa_group_segment_fixed_size 7296
		.amdhsa_private_segment_fixed_size 0
		.amdhsa_kernarg_size 400
		.amdhsa_user_sgpr_count 4
		.amdhsa_user_sgpr_dispatch_ptr 1
		.amdhsa_user_sgpr_queue_ptr 0
		.amdhsa_user_sgpr_kernarg_segment_ptr 1
		.amdhsa_user_sgpr_dispatch_id 0
		.amdhsa_user_sgpr_private_segment_size 0
		.amdhsa_wavefront_size32 1
		.amdhsa_uses_dynamic_stack 0
		.amdhsa_enable_private_segment 0
		.amdhsa_system_sgpr_workgroup_id_x 1
		.amdhsa_system_sgpr_workgroup_id_y 0
		.amdhsa_system_sgpr_workgroup_id_z 1
		.amdhsa_system_sgpr_workgroup_info 0
		.amdhsa_system_vgpr_workitem_id 2
		.amdhsa_next_free_vgpr 44
		.amdhsa_next_free_sgpr 50
		.amdhsa_reserve_vcc 1
		.amdhsa_float_round_mode_32 0
		.amdhsa_float_round_mode_16_64 0
		.amdhsa_float_denorm_mode_32 3
		.amdhsa_float_denorm_mode_16_64 3
		.amdhsa_fp16_overflow 0
		.amdhsa_workgroup_processor_mode 1
		.amdhsa_memory_ordered 1
		.amdhsa_forward_progress 1
		.amdhsa_inst_pref_size 25
		.amdhsa_round_robin_scheduling 0
		.amdhsa_exception_fp_ieee_invalid_op 0
		.amdhsa_exception_fp_denorm_src 0
		.amdhsa_exception_fp_ieee_div_zero 0
		.amdhsa_exception_fp_ieee_overflow 0
		.amdhsa_exception_fp_ieee_underflow 0
		.amdhsa_exception_fp_ieee_inexact 0
		.amdhsa_exception_int_div_zero 0
	.end_amdhsa_kernel
	.section	.text._ZL58rocblas_symv_kernel_lower_double_buffered_diagonal_genericILi32ELi4E24rocblas_internal_val_ptrIfEPKfPfEvbiT1_lT2_lllS6_lllS5_lT3_lllii,"axG",@progbits,_ZL58rocblas_symv_kernel_lower_double_buffered_diagonal_genericILi32ELi4E24rocblas_internal_val_ptrIfEPKfPfEvbiT1_lT2_lllS6_lllS5_lT3_lllii,comdat
.Lfunc_end79:
	.size	_ZL58rocblas_symv_kernel_lower_double_buffered_diagonal_genericILi32ELi4E24rocblas_internal_val_ptrIfEPKfPfEvbiT1_lT2_lllS6_lllS5_lT3_lllii, .Lfunc_end79-_ZL58rocblas_symv_kernel_lower_double_buffered_diagonal_genericILi32ELi4E24rocblas_internal_val_ptrIfEPKfPfEvbiT1_lT2_lllS6_lllS5_lT3_lllii
                                        ; -- End function
	.set _ZL58rocblas_symv_kernel_lower_double_buffered_diagonal_genericILi32ELi4E24rocblas_internal_val_ptrIfEPKfPfEvbiT1_lT2_lllS6_lllS5_lT3_lllii.num_vgpr, 44
	.set _ZL58rocblas_symv_kernel_lower_double_buffered_diagonal_genericILi32ELi4E24rocblas_internal_val_ptrIfEPKfPfEvbiT1_lT2_lllS6_lllS5_lT3_lllii.num_agpr, 0
	.set _ZL58rocblas_symv_kernel_lower_double_buffered_diagonal_genericILi32ELi4E24rocblas_internal_val_ptrIfEPKfPfEvbiT1_lT2_lllS6_lllS5_lT3_lllii.numbered_sgpr, 50
	.set _ZL58rocblas_symv_kernel_lower_double_buffered_diagonal_genericILi32ELi4E24rocblas_internal_val_ptrIfEPKfPfEvbiT1_lT2_lllS6_lllS5_lT3_lllii.num_named_barrier, 0
	.set _ZL58rocblas_symv_kernel_lower_double_buffered_diagonal_genericILi32ELi4E24rocblas_internal_val_ptrIfEPKfPfEvbiT1_lT2_lllS6_lllS5_lT3_lllii.private_seg_size, 0
	.set _ZL58rocblas_symv_kernel_lower_double_buffered_diagonal_genericILi32ELi4E24rocblas_internal_val_ptrIfEPKfPfEvbiT1_lT2_lllS6_lllS5_lT3_lllii.uses_vcc, 1
	.set _ZL58rocblas_symv_kernel_lower_double_buffered_diagonal_genericILi32ELi4E24rocblas_internal_val_ptrIfEPKfPfEvbiT1_lT2_lllS6_lllS5_lT3_lllii.uses_flat_scratch, 0
	.set _ZL58rocblas_symv_kernel_lower_double_buffered_diagonal_genericILi32ELi4E24rocblas_internal_val_ptrIfEPKfPfEvbiT1_lT2_lllS6_lllS5_lT3_lllii.has_dyn_sized_stack, 0
	.set _ZL58rocblas_symv_kernel_lower_double_buffered_diagonal_genericILi32ELi4E24rocblas_internal_val_ptrIfEPKfPfEvbiT1_lT2_lllS6_lllS5_lT3_lllii.has_recursion, 0
	.set _ZL58rocblas_symv_kernel_lower_double_buffered_diagonal_genericILi32ELi4E24rocblas_internal_val_ptrIfEPKfPfEvbiT1_lT2_lllS6_lllS5_lT3_lllii.has_indirect_call, 0
	.section	.AMDGPU.csdata,"",@progbits
; Kernel info:
; codeLenInByte = 3164
; TotalNumSgprs: 52
; NumVgprs: 44
; ScratchSize: 0
; MemoryBound: 0
; FloatMode: 240
; IeeeMode: 1
; LDSByteSize: 7296 bytes/workgroup (compile time only)
; SGPRBlocks: 0
; VGPRBlocks: 5
; NumSGPRsForWavesPerEU: 52
; NumVGPRsForWavesPerEU: 44
; Occupancy: 16
; WaveLimiterHint : 1
; COMPUTE_PGM_RSRC2:SCRATCH_EN: 0
; COMPUTE_PGM_RSRC2:USER_SGPR: 4
; COMPUTE_PGM_RSRC2:TRAP_HANDLER: 0
; COMPUTE_PGM_RSRC2:TGID_X_EN: 1
; COMPUTE_PGM_RSRC2:TGID_Y_EN: 0
; COMPUTE_PGM_RSRC2:TGID_Z_EN: 1
; COMPUTE_PGM_RSRC2:TIDIG_COMP_CNT: 2
	.section	.text._ZL62rocblas_symv_kernel_lower_double_buffered_non_diagonal_genericILi32ELi4ELi4E24rocblas_internal_val_ptrIfEPKfPfEvbiT2_lT3_lllS6_lllT4_lllii,"axG",@progbits,_ZL62rocblas_symv_kernel_lower_double_buffered_non_diagonal_genericILi32ELi4ELi4E24rocblas_internal_val_ptrIfEPKfPfEvbiT2_lT3_lllS6_lllT4_lllii,comdat
	.globl	_ZL62rocblas_symv_kernel_lower_double_buffered_non_diagonal_genericILi32ELi4ELi4E24rocblas_internal_val_ptrIfEPKfPfEvbiT2_lT3_lllS6_lllT4_lllii ; -- Begin function _ZL62rocblas_symv_kernel_lower_double_buffered_non_diagonal_genericILi32ELi4ELi4E24rocblas_internal_val_ptrIfEPKfPfEvbiT2_lT3_lllS6_lllT4_lllii
	.p2align	8
	.type	_ZL62rocblas_symv_kernel_lower_double_buffered_non_diagonal_genericILi32ELi4ELi4E24rocblas_internal_val_ptrIfEPKfPfEvbiT2_lT3_lllS6_lllT4_lllii,@function
_ZL62rocblas_symv_kernel_lower_double_buffered_non_diagonal_genericILi32ELi4ELi4E24rocblas_internal_val_ptrIfEPKfPfEvbiT2_lT3_lllS6_lllT4_lllii: ; @_ZL62rocblas_symv_kernel_lower_double_buffered_non_diagonal_genericILi32ELi4ELi4E24rocblas_internal_val_ptrIfEPKfPfEvbiT2_lT3_lllS6_lllT4_lllii
; %bb.0:
	s_load_b64 s[0:1], s[0:1], 0x4
	s_clause 0x1
	s_load_b512 s[4:19], s[2:3], 0x8
	s_load_b64 s[28:29], s[2:3], 0x78
	v_bfe_u32 v2, v0, 10, 10
	v_and_b32_e32 v1, 0x3ff, v0
	v_bfe_u32 v0, v0, 20, 10
	s_wait_kmcnt 0x0
	s_delay_alu instid0(VALU_DEP_3)
	v_mul_u32_u24_e32 v3, s1, v2
	s_lshr_b32 s0, s0, 16
	v_mov_b32_e32 v4, s5
	s_wait_alu 0xfffe
	s_mul_i32 s0, s0, s1
	s_wait_alu 0xfffe
	v_mad_u32_u24 v5, s0, v1, v3
	v_mov_b32_e32 v3, s4
	s_lshr_b32 s4, ttmp7, 16
	s_wait_alu 0xfffe
	s_cmp_ge_u32 s4, s29
	v_add_lshl_u32 v0, v5, v0, 3
	ds_store_b64 v0, v[3:4] offset:3200
	s_cbranch_scc1 .LBB80_38
; %bb.1:
	s_clause 0x4
	s_load_b32 s5, s[2:3], 0x0
	s_load_b128 s[20:23], s[2:3], 0x60
	s_load_b64 s[0:1], s[2:3], 0x58
	s_load_b128 s[24:27], s[2:3], 0x48
	s_load_b64 s[30:31], s[2:3], 0x70
	v_lshl_add_u32 v5, v2, 5, v1
	v_dual_mov_b32 v4, 0 :: v_dual_add_nc_u32 v21, 0xc80, v0
	s_add_nc_u64 s[34:35], s[2:3], 0x80
	s_add_nc_u64 s[36:37], s[12:13], 1
	s_delay_alu instid0(VALU_DEP_2) | instskip(SKIP_3) | instid1(VALU_DEP_2)
	v_lshrrev_b32_e32 v40, 4, v5
	v_cmp_gt_i32_e32 vcc_lo, s28, v1
	s_mul_u64 s[42:43], s[12:13], 12
	s_mul_u64 s[52:53], s[12:13], 3
	v_lshlrev_b32_e32 v11, 2, v40
	v_lshlrev_b32_e32 v49, 8, v40
	s_wait_kmcnt 0x0
	s_bitcmp1_b32 s5, 0
	v_mad_co_u64_u32 v[15:16], null, s22, v1, 0
	v_mad_co_u64_u32 v[6:7], null, s24, v1, 0
	v_and_b32_e32 v3, 15, v1
	s_cselect_b32 s2, -1, 0
	s_lshl_b32 s48, ttmp9, 5
	s_lshl_b64 s[10:11], s[10:11], 2
	s_ashr_i32 s49, s48, 31
	s_lshl_b64 s[38:39], s[18:19], 2
	s_delay_alu instid0(VALU_DEP_2)
	v_mov_b32_e32 v0, v7
	v_mad_co_u64_u32 v[8:9], null, s12, v11, v[3:4]
	s_lshl_b64 s[20:21], s[20:21], 2
	s_mul_u64 s[36:37], s[36:37], s[48:49]
	s_add_nc_u64 s[10:11], s[8:9], s[10:11]
	s_add_nc_u64 s[8:9], s[16:17], s[38:39]
	;; [unrolled: 1-line block ×3, first 2 shown]
	s_lshl_b64 s[0:1], s[36:37], 2
	s_mul_u64 s[20:21], s[24:25], s[48:49]
	s_wait_alu 0xfffe
	s_add_nc_u64 s[10:11], s[10:11], s[0:1]
	s_lshl_b64 s[0:1], s[20:21], 2
	v_or_b32_e32 v27, 16, v3
	s_wait_alu 0xfffe
	s_add_nc_u64 s[20:21], s[8:9], s[0:1]
	v_cmp_eq_u32_e64 s0, 0, v2
	v_mov_b32_e32 v2, v9
	v_mad_co_u64_u32 v[9:10], null, s25, v1, v[0:1]
	v_mad_co_u64_u32 v[13:14], null, s24, v27, 0
	s_delay_alu instid0(VALU_DEP_3) | instskip(SKIP_1) | instid1(VALU_DEP_4)
	v_mad_co_u64_u32 v[10:11], null, s13, v11, v[2:3]
	v_mad_co_u64_u32 v[11:12], null, s24, v3, 0
	v_dual_mov_b32 v7, v9 :: v_dual_lshlrev_b32 v20, 2, v1
	s_delay_alu instid0(VALU_DEP_4) | instskip(SKIP_1) | instid1(VALU_DEP_2)
	v_mov_b32_e32 v2, v14
	s_xor_b32 s68, s2, -1
	v_dual_mov_b32 v9, v10 :: v_dual_add_nc_u32 v22, 0xc00, v20
	s_delay_alu instid0(VALU_DEP_4)
	v_mov_b32_e32 v0, v12
	v_add_nc_u32_e32 v24, 0x800, v20
	v_lshlrev_b32_e32 v10, 6, v1
	v_add_nc_u32_e32 v20, 5, v1
	v_cmp_gt_i32_e64 s2, s28, v27
	v_mad_co_u64_u32 v[17:18], null, s25, v3, v[0:1]
	v_mad_co_u64_u32 v[18:19], null, s25, v27, v[2:3]
	v_and_b32_e32 v2, 0xfff0, v5
	v_dual_mov_b32 v0, v16 :: v_dual_lshlrev_b32 v19, 2, v3
	v_lshlrev_b32_e32 v5, 7, v40
	v_cmp_gt_i32_e64 s1, s28, v3
	s_delay_alu instid0(VALU_DEP_4) | instskip(NEXT) | instid1(VALU_DEP_4)
	v_add_nc_u32_e32 v23, 0xc00, v2
	v_mad_co_u64_u32 v[25:26], null, s23, v1, v[0:1]
	v_or_b32_e32 v0, 0x800, v19
	v_mov_b32_e32 v12, v17
	v_dual_mov_b32 v14, v18 :: v_dual_add_nc_u32 v17, 3, v1
	v_add_nc_u32_e32 v18, 4, v1
	v_xor_b32_e32 v3, 8, v3
	v_dual_mov_b32 v16, v25 :: v_dual_add_nc_u32 v25, v0, v5
	v_add_nc_u32_e32 v0, 1, v1
	v_add_nc_u32_e32 v5, 2, v1
	s_delay_alu instid0(VALU_DEP_4)
	v_lshl_or_b32 v34, v3, 2, v10
	v_add_nc_u32_e32 v3, 11, v1
	v_or_b32_e32 v44, 8, v2
	v_and_b32_e32 v0, 15, v0
	v_and_b32_e32 v5, 15, v5
	v_or_b32_e32 v45, 12, v2
	v_and_b32_e32 v3, 15, v3
	v_or_b32_e32 v46, 4, v2
	v_lshl_or_b32 v27, v0, 2, v10
	v_lshl_or_b32 v28, v5, 2, v10
	v_and_b32_e32 v0, 15, v17
	v_and_b32_e32 v5, 15, v18
	;; [unrolled: 1-line block ×3, first 2 shown]
	v_add_nc_u32_e32 v18, 6, v1
	v_add_nc_u32_e32 v20, 7, v1
	v_lshl_or_b32 v29, v0, 2, v10
	v_lshl_or_b32 v30, v5, 2, v10
	v_lshl_or_b32 v31, v17, 2, v10
	v_and_b32_e32 v0, 15, v18
	v_add_nc_u32_e32 v17, 9, v1
	v_and_b32_e32 v5, 15, v20
	v_add_nc_u32_e32 v18, 10, v1
	v_add_nc_u32_e32 v20, 14, v1
	v_lshl_or_b32 v32, v0, 2, v10
	v_and_b32_e32 v0, 15, v17
	v_lshl_or_b32 v33, v5, 2, v10
	v_and_b32_e32 v5, 15, v18
	v_add_nc_u32_e32 v17, 12, v1
	v_and_b32_e32 v42, 15, v20
	v_lshl_or_b32 v35, v0, 2, v10
	v_add_nc_u32_e32 v0, 13, v1
	v_lshl_or_b32 v36, v5, 2, v10
	v_and_b32_e32 v5, 15, v17
	v_mad_co_u64_u32 v[17:18], null, s12, v40, 0
	s_delay_alu instid0(VALU_DEP_4) | instskip(SKIP_3) | instid1(VALU_DEP_4)
	v_and_b32_e32 v0, 15, v0
	v_dual_mov_b32 v20, v4 :: v_dual_add_nc_u32 v1, -1, v1
	v_lshl_or_b32 v37, v3, 2, v10
	v_lshl_or_b32 v38, v5, 2, v10
	;; [unrolled: 1-line block ×3, first 2 shown]
	s_delay_alu instid0(VALU_DEP_4) | instskip(SKIP_2) | instid1(VALU_DEP_3)
	v_dual_mov_b32 v0, v18 :: v_dual_and_b32 v43, 15, v1
	v_mad_co_u64_u32 v[2:3], null, s12, v45, v[19:20]
	v_mad_co_u64_u32 v[4:5], null, s12, v46, v[19:20]
	;; [unrolled: 1-line block ×4, first 2 shown]
	v_lshl_or_b32 v41, v43, 2, v10
	s_lshl_b64 s[40:41], s[12:13], 3
	s_lshl_b64 s[46:47], s[12:13], 2
	s_and_b32 s28, s0, vcc_lo
	s_delay_alu instid0(VALU_DEP_3) | instskip(SKIP_1) | instid1(VALU_DEP_4)
	v_mov_b32_e32 v18, v40
	v_lshl_or_b32 v40, v42, 2, v10
	v_mad_co_u64_u32 v[42:43], null, s13, v44, v[1:2]
	v_mad_co_u64_u32 v[43:44], null, s13, v45, v[3:4]
	;; [unrolled: 1-line block ×3, first 2 shown]
	s_lshl_b64 s[12:13], s[48:49], 2
	v_lshlrev_b64_e32 v[17:18], 4, v[17:18]
	s_wait_alu 0xfffe
	v_or_b32_e32 v5, s12, v19
	s_mul_u64 s[36:37], s[22:23], s[48:49]
	v_or_b32_e32 v26, v10, v19
	v_lshlrev_b64_e32 v[13:14], 2, v[13:14]
	v_add_nc_u32_e32 v49, v19, v49
	v_add_co_u32 v45, s50, 0xc0, v5
	v_add_co_u32 v1, vcc_lo, v17, v19
	v_add_co_ci_u32_e64 v46, null, s13, 0, s50
	v_add_co_u32 v47, s50, 0x100, v5
	v_lshlrev_b64_e32 v[5:6], 2, v[6:7]
	v_lshlrev_b64_e32 v[7:8], 2, v[8:9]
	;; [unrolled: 1-line block ×4, first 2 shown]
	v_add_co_ci_u32_e64 v3, null, 0, v18, vcc_lo
	s_wait_alu 0xf1ff
	v_add_co_ci_u32_e64 v48, null, s13, 0, s50
	s_and_b32 s3, ttmp7, 0xffff
	s_lshl_b64 s[36:37], s[36:37], 2
	s_not_b32 s33, ttmp9
	s_lshl_b32 s69, s3, 5
	s_mov_b32 s5, 0
	s_add_nc_u64 s[36:37], s[38:39], s[36:37]
	s_lshl_b64 s[38:39], s[24:25], 5
	s_lshl_b64 s[44:45], s[22:23], 7
	;; [unrolled: 1-line block ×5, first 2 shown]
	s_sub_nc_u64 s[54:55], 0, s[46:47]
	s_branch .LBB80_3
.LBB80_2:                               ;   in Loop: Header=BB80_3 Depth=1
	s_or_b32 exec_lo, exec_lo, s70
	s_add_co_i32 s4, s4, 0x10000
	s_wait_alu 0xfffe
	s_cmp_lt_u32 s4, s29
	s_cbranch_scc0 .LBB80_38
.LBB80_3:                               ; =>This Loop Header: Depth=1
                                        ;     Child Loop BB80_19 Depth 2
	s_and_b32 vcc_lo, exec_lo, s68
	s_mov_b32 s56, -1
                                        ; implicit-def: $vgpr50
	s_wait_alu 0xfffe
	s_cbranch_vccz .LBB80_5
; %bb.4:                                ;   in Loop: Header=BB80_3 Depth=1
	ds_load_b64 v[15:16], v21
	s_mul_u64 s[56:57], s[6:7], s[4:5]
	s_wait_alu 0xfffe
	s_lshl_b64 s[56:57], s[56:57], 2
	s_wait_dscnt 0x0
	s_wait_alu 0xfffe
	v_add_co_u32 v15, vcc_lo, v15, s56
	s_wait_alu 0xfffd
	v_add_co_ci_u32_e64 v16, null, s57, v16, vcc_lo
	s_mov_b32 s56, 0
	flat_load_b32 v50, v[15:16]
.LBB80_5:                               ;   in Loop: Header=BB80_3 Depth=1
	s_wait_alu 0xfffe
	s_and_not1_b32 vcc_lo, exec_lo, s56
	s_wait_alu 0xfffe
	s_cbranch_vccnz .LBB80_7
; %bb.6:                                ;   in Loop: Header=BB80_3 Depth=1
	s_wait_loadcnt_dscnt 0x0
	ds_load_b32 v50, v21
.LBB80_7:                               ;   in Loop: Header=BB80_3 Depth=1
	s_mov_b32 s70, exec_lo
	s_wait_loadcnt_dscnt 0x0
	v_cmpx_neq_f32_e32 0, v50
	s_cbranch_execz .LBB80_2
; %bb.8:                                ;   in Loop: Header=BB80_3 Depth=1
	s_load_b64 s[56:57], s[34:35], 0x0
	s_wait_kmcnt 0x0
	s_add_co_i32 s58, s56, -1
	s_wait_alu 0xfffe
	s_cmp_eq_u32 ttmp9, s58
	s_cbranch_scc1 .LBB80_2
; %bb.9:                                ;   in Loop: Header=BB80_3 Depth=1
	s_mul_u64 s[62:63], s[26:27], s[4:5]
	s_wait_alu 0xfffe
	s_lshl_b64 s[60:61], s[62:63], 2
	s_wait_alu 0xfffe
	s_add_nc_u64 s[60:61], s[20:21], s[60:61]
	s_and_saveexec_b32 s59, s0
	s_cbranch_execz .LBB80_11
; %bb.10:                               ;   in Loop: Header=BB80_3 Depth=1
	s_wait_alu 0xfffe
	v_add_co_u32 v15, vcc_lo, s60, v5
	s_wait_alu 0xfffd
	v_add_co_ci_u32_e64 v16, null, s61, v6, vcc_lo
	global_load_b32 v15, v[15:16], off
	s_wait_loadcnt 0x0
	ds_store_b32 v22, v15
.LBB80_11:                              ;   in Loop: Header=BB80_3 Depth=1
	s_wait_alu 0xfffe
	s_or_b32 exec_lo, exec_lo, s59
	s_cvt_f32_u32 s59, s57
	s_wait_alu 0xfffe
	s_delay_alu instid0(SALU_CYCLE_2) | instskip(NEXT) | instid1(TRANS32_DEP_1)
	v_rcp_iflag_f32_e32 v15, s59
	v_readfirstlane_b32 s59, v15
	s_mul_f32 s59, s59, 0x4f7ffffe
	s_wait_alu 0xfffe
	s_delay_alu instid0(SALU_CYCLE_2) | instskip(SKIP_2) | instid1(SALU_CYCLE_1)
	s_cvt_u32_f32 s64, s59
	s_sub_co_i32 s59, 0, s57
	s_wait_alu 0xfffe
	s_mul_i32 s59, s59, s64
	s_wait_alu 0xfffe
	s_mul_hi_u32 s65, s64, s59
	s_add_co_i32 s59, s58, s33
	s_wait_alu 0xfffe
	s_add_co_i32 s64, s64, s65
	s_wait_alu 0xfffe
	s_mul_hi_u32 s58, s59, s64
	s_wait_alu 0xfffe
	s_mul_i32 s64, s58, s57
	s_add_co_i32 s65, s58, 1
	s_wait_alu 0xfffe
	s_sub_co_i32 s64, s59, s64
	s_wait_alu 0xfffe
	s_sub_co_i32 s66, s64, s57
	s_cmp_ge_u32 s64, s57
	s_cselect_b32 s58, s65, s58
	s_wait_alu 0xfffe
	s_cselect_b32 s64, s66, s64
	s_add_co_i32 s65, s58, 1
	s_wait_alu 0xfffe
	s_cmp_ge_u32 s64, s57
	s_cselect_b32 s58, s65, s58
	s_add_co_i32 s64, s57, -1
	s_wait_alu 0xfffe
	s_mov_b32 s72, s58
	s_cmp_eq_u32 s3, s64
	s_cselect_b32 s71, -1, 0
	s_cmp_lg_u32 s3, s64
	s_cbranch_scc1 .LBB80_13
; %bb.12:                               ;   in Loop: Header=BB80_3 Depth=1
	s_mul_i32 s57, s58, s57
	s_wait_alu 0xfffe
	s_sub_co_i32 s57, s59, s57
	s_wait_alu 0xfffe
	s_add_co_i32 s72, s57, s58
.LBB80_13:                              ;   in Loop: Header=BB80_3 Depth=1
	s_cmp_lg_u32 s3, s64
	s_cselect_b32 s57, -1, 0
	s_cmp_eq_u32 s72, 0
	s_cselect_b32 s59, -1, 0
	s_wait_alu 0xfffe
	s_and_b32 s57, s57, s59
	s_wait_alu 0xfffe
	s_and_b32 vcc_lo, exec_lo, s57
	s_wait_alu 0xfffe
	s_cbranch_vccnz .LBB80_2
; %bb.14:                               ;   in Loop: Header=BB80_3 Depth=1
	s_mul_i32 s66, s69, s58
	s_mul_u64 s[64:65], s[14:15], s[4:5]
	s_wait_alu 0xfffe
	s_ashr_i32 s67, s66, 31
	s_lshl_b64 s[58:59], s[64:65], 2
	s_wait_alu 0xfffe
	s_mul_u64 s[74:75], s[24:25], s[66:67]
	v_dual_mov_b32 v51, 0 :: v_dual_mov_b32 v62, 0
	v_dual_mov_b32 v57, 0 :: v_dual_mov_b32 v64, 0
	v_mov_b32_e32 v61, 0
	v_mov_b32_e32 v63, 0
	s_add_nc_u64 s[58:59], s[10:11], s[58:59]
	s_lshl_b64 s[64:65], s[66:67], 2
	s_lshl_b64 s[74:75], s[74:75], 2
	s_add_co_i32 s56, s56, -2
	s_wait_alu 0xfffe
	s_add_nc_u64 s[58:59], s[58:59], s[64:65]
	s_add_nc_u64 s[60:61], s[60:61], s[74:75]
	s_cmp_ge_u32 ttmp9, s56
	s_wait_dscnt 0x0
	s_barrier_signal -1
	s_barrier_wait -1
	global_inv scope:SCOPE_SE
	s_cbranch_scc1 .LBB80_16
; %bb.15:                               ;   in Loop: Header=BB80_3 Depth=1
	s_wait_alu 0xfffe
	v_add_co_u32 v15, vcc_lo, s58, v7
	s_wait_alu 0xfffd
	v_add_co_ci_u32_e64 v16, null, s59, v8, vcc_lo
	s_lshl_b64 s[56:57], s[38:39], 2
	v_add_co_u32 v17, vcc_lo, v15, s46
	s_wait_alu 0xfffd
	v_add_co_ci_u32_e64 v18, null, s47, v16, vcc_lo
	v_add_co_u32 v19, vcc_lo, v15, s40
	s_wait_alu 0xfffe
	s_add_nc_u64 s[56:57], s[60:61], s[56:57]
	s_wait_alu 0xfffd
	v_add_co_ci_u32_e64 v20, null, s41, v16, vcc_lo
	v_add_co_u32 v52, vcc_lo, v15, s42
	s_wait_alu 0xfffd
	v_add_co_ci_u32_e64 v53, null, s43, v16, vcc_lo
	s_wait_alu 0xfffe
	v_add_co_u32 v54, vcc_lo, s56, v9
	s_wait_alu 0xfffd
	v_add_co_ci_u32_e64 v55, null, s57, v10, vcc_lo
	s_clause 0x3
	global_load_b32 v61, v[15:16], off offset:128
	global_load_b32 v62, v[17:18], off offset:128
	;; [unrolled: 1-line block ×4, first 2 shown]
	global_load_b32 v57, v[54:55], off
.LBB80_16:                              ;   in Loop: Header=BB80_3 Depth=1
	s_mul_u64 s[56:57], s[30:31], s[4:5]
	s_mul_u64 s[66:67], s[22:23], s[66:67]
	s_wait_alu 0xfffe
	s_lshl_b64 s[56:57], s[56:57], 2
	s_lshl_b64 s[66:67], s[66:67], 2
	s_wait_alu 0xfffe
	s_add_nc_u64 s[56:57], s[36:37], s[56:57]
	s_cmp_lt_i32 s72, 1
	s_wait_alu 0xfffe
	s_add_nc_u64 s[66:67], s[56:57], s[66:67]
	s_cbranch_scc1 .LBB80_23
; %bb.17:                               ;   in Loop: Header=BB80_3 Depth=1
	v_mov_b32_e32 v51, 0
	s_cmp_eq_u32 s72, 1
	s_cbranch_scc1 .LBB80_24
; %bb.18:                               ;   in Loop: Header=BB80_3 Depth=1
	v_add_co_u32 v15, vcc_lo, v45, s64
	s_wait_alu 0xfffd
	v_add_co_ci_u32_e64 v16, null, s65, v46, vcc_lo
	v_add_co_u32 v19, vcc_lo, v47, s64
	s_wait_alu 0xfffd
	v_add_co_ci_u32_e64 v20, null, s65, v48, vcc_lo
	v_mul_lo_u32 v51, s25, v15
	v_mul_lo_u32 v16, s24, v16
	v_mad_co_u64_u32 v[17:18], null, s24, v15, 0
	v_mul_lo_u32 v15, s25, v19
	v_mul_lo_u32 v52, s24, v20
	v_mad_co_u64_u32 v[19:20], null, s24, v19, 0
	s_add_nc_u64 s[60:61], s[18:19], s[62:63]
	v_mov_b32_e32 v54, 0
	v_add3_u32 v18, v18, v16, v51
	v_mov_b32_e32 v53, 0
	v_mov_b32_e32 v51, 0
	s_wait_alu 0xfffe
	s_lshl_b64 s[60:61], s[60:61], 2
	v_add3_u32 v20, v20, v52, v15
	v_dual_mov_b32 v52, 0 :: v_dual_mov_b32 v15, s66
	v_mov_b32_e32 v16, s67
	s_mul_u64 s[62:63], s[50:51], s[4:5]
	s_add_nc_u64 s[64:65], s[12:13], s[64:65]
	s_wait_alu 0xfffe
	s_add_nc_u64 s[60:61], s[16:17], s[60:61]
	s_add_nc_u64 s[62:63], s[8:9], s[62:63]
	s_add_co_i32 s66, s72, -1
	s_mul_u64 s[64:65], s[24:25], s[64:65]
.LBB80_19:                              ;   Parent Loop BB80_3 Depth=1
                                        ; =>  This Inner Loop Header: Depth=2
	v_add_co_u32 v70, vcc_lo, s58, v1
	s_wait_alu 0xfffd
	v_add_co_ci_u32_e64 v71, null, s59, v3, vcc_lo
	v_add_co_u32 v59, vcc_lo, s58, v4
	s_wait_alu 0xfffd
	v_add_co_ci_u32_e64 v60, null, s59, v44, vcc_lo
	;; [unrolled: 3-line block ×3, first 2 shown]
	s_clause 0x2
	global_load_b32 v66, v[70:71], off offset:192
	global_load_b32 v65, v[59:60], off offset:192
	;; [unrolled: 1-line block ×3, first 2 shown]
	v_add_co_u32 v55, vcc_lo, s58, v2
	s_wait_alu 0xfffd
	v_add_co_ci_u32_e64 v56, null, s59, v43, vcc_lo
	s_wait_alu 0xfffe
	v_add_co_u32 v74, vcc_lo, s62, v17
	s_wait_alu 0xfffd
	v_add_co_ci_u32_e64 v75, null, s63, v18, vcc_lo
	global_load_b32 v68, v[55:56], off offset:192
	global_load_b32 v69, v[74:75], off
	v_add_co_u32 v74, vcc_lo, s62, v19
	s_wait_alu 0xfffd
	v_add_co_ci_u32_e64 v75, null, s63, v20, vcc_lo
	s_clause 0x3
	global_load_b32 v56, v[55:56], off offset:256
	global_load_b32 v58, v[72:73], off offset:256
	;; [unrolled: 1-line block ×4, first 2 shown]
	global_load_b32 v55, v[74:75], off
	ds_load_b128 v[70:73], v23
	s_wait_loadcnt_dscnt 0x0
	s_barrier_signal -1
	s_barrier_wait -1
	global_inv scope:SCOPE_SE
	v_fma_f32 v74, v61, v70, 0
	s_delay_alu instid0(VALU_DEP_1) | instskip(NEXT) | instid1(VALU_DEP_1)
	v_fmac_f32_e32 v74, v62, v71
	v_fmac_f32_e32 v74, v63, v72
	s_delay_alu instid0(VALU_DEP_1) | instskip(SKIP_1) | instid1(VALU_DEP_1)
	v_fmac_f32_e32 v74, v64, v73
	v_fma_f32 v70, v66, v70, 0
	v_fmac_f32_e32 v70, v65, v71
	s_delay_alu instid0(VALU_DEP_1) | instskip(NEXT) | instid1(VALU_DEP_1)
	v_fmac_f32_e32 v70, v67, v72
	v_fmac_f32_e32 v70, v68, v73
	ds_store_2addr_b32 v25, v74, v70 offset1:16
	s_wait_loadcnt_dscnt 0x0
	s_barrier_signal -1
	s_barrier_wait -1
	global_inv scope:SCOPE_SE
	s_and_saveexec_b32 s67, s0
	s_cbranch_execz .LBB80_21
; %bb.20:                               ;   in Loop: Header=BB80_19 Depth=2
	ds_load_2addr_b32 v[70:71], v24 offset1:32
	ds_load_2addr_b32 v[72:73], v24 offset0:64 offset1:96
	ds_load_2addr_b32 v[74:75], v24 offset0:128 offset1:160
	v_add_co_u32 v15, vcc_lo, v15, s44
	s_wait_alu 0xfffd
	v_add_co_ci_u32_e64 v16, null, s45, v16, vcc_lo
	s_wait_dscnt 0x2
	v_add_f32_e32 v70, 0, v70
	s_delay_alu instid0(VALU_DEP_1) | instskip(SKIP_1) | instid1(VALU_DEP_1)
	v_add_f32_e32 v70, v70, v71
	s_wait_dscnt 0x1
	v_add_f32_e32 v72, v70, v72
	ds_load_2addr_b32 v[70:71], v24 offset0:192 offset1:224
	v_add_f32_e32 v72, v72, v73
	s_wait_dscnt 0x1
	s_delay_alu instid0(VALU_DEP_1) | instskip(NEXT) | instid1(VALU_DEP_1)
	v_add_f32_e32 v72, v72, v74
	v_add_f32_e32 v72, v72, v75
	s_wait_dscnt 0x0
	s_delay_alu instid0(VALU_DEP_1) | instskip(NEXT) | instid1(VALU_DEP_1)
	v_add_f32_e32 v70, v72, v70
	v_add_f32_e32 v72, v70, v71
	v_add_co_u32 v70, vcc_lo, v15, v11
	s_wait_alu 0xfffd
	v_add_co_ci_u32_e64 v71, null, v16, v12, vcc_lo
	s_delay_alu instid0(VALU_DEP_3)
	v_mul_f32_e32 v72, v50, v72
	global_atomic_add_f32 v[70:71], v72, off scope:SCOPE_DEV
.LBB80_21:                              ;   in Loop: Header=BB80_19 Depth=2
	s_wait_alu 0xfffe
	s_or_b32 exec_lo, exec_lo, s67
	v_fmac_f32_e32 v52, v57, v61
	v_fmac_f32_e32 v54, v57, v62
	;; [unrolled: 1-line block ×4, first 2 shown]
	s_add_co_i32 s66, s66, -1
	v_fmac_f32_e32 v52, v69, v66
	v_fmac_f32_e32 v54, v69, v65
	;; [unrolled: 1-line block ×4, first 2 shown]
	s_add_nc_u64 s[58:59], s[58:59], 0x80
	s_add_nc_u64 s[60:61], s[60:61], s[48:49]
	s_wait_alu 0xfffe
	s_cmp_eq_u32 s66, 0
	s_add_nc_u64 s[62:63], s[62:63], s[48:49]
	s_cbranch_scc1 .LBB80_25
; %bb.22:                               ;   in Loop: Header=BB80_19 Depth=2
	v_dual_mov_b32 v57, v55 :: v_dual_mov_b32 v62, v59
	v_dual_mov_b32 v61, v60 :: v_dual_mov_b32 v64, v56
	v_mov_b32_e32 v63, v58
	s_branch .LBB80_19
.LBB80_23:                              ;   in Loop: Header=BB80_3 Depth=1
	s_wait_alu 0xfffe
	v_dual_mov_b32 v15, s66 :: v_dual_mov_b32 v16, s67
	v_dual_mov_b32 v53, 0 :: v_dual_mov_b32 v54, 0
	;; [unrolled: 1-line block ×3, first 2 shown]
	s_wait_loadcnt 0x0
	v_mov_b32_e32 v55, v57
	s_and_b32 vcc_lo, exec_lo, s71
	s_wait_alu 0xfffe
	s_cbranch_vccnz .LBB80_29
	s_branch .LBB80_36
.LBB80_24:                              ;   in Loop: Header=BB80_3 Depth=1
	s_wait_alu 0xfffe
	v_dual_mov_b32 v15, s66 :: v_dual_mov_b32 v16, s67
	s_wait_loadcnt 0x1
	v_dual_mov_b32 v56, v64 :: v_dual_mov_b32 v59, v62
	v_dual_mov_b32 v58, v63 :: v_dual_mov_b32 v53, 0
	s_wait_loadcnt 0x0
	v_dual_mov_b32 v60, v61 :: v_dual_mov_b32 v55, v57
	v_mov_b32_e32 v54, 0
	v_mov_b32_e32 v52, 0
	s_branch .LBB80_26
.LBB80_25:                              ;   in Loop: Header=BB80_3 Depth=1
	s_add_nc_u64 s[60:61], s[60:61], s[64:65]
.LBB80_26:                              ;   in Loop: Header=BB80_3 Depth=1
	v_add_co_u32 v61, vcc_lo, s58, v7
	s_wait_alu 0xfffd
	v_add_co_ci_u32_e64 v62, null, s59, v8, vcc_lo
	s_lshl_b64 s[62:63], s[38:39], 2
	v_add_co_u32 v63, vcc_lo, v61, s52
	s_wait_alu 0xfffd
	v_add_co_ci_u32_e64 v64, null, s53, v62, vcc_lo
	s_wait_alu 0xfffe
	s_add_nc_u64 s[60:61], s[60:61], s[62:63]
	v_add_co_u32 v17, vcc_lo, v63, s54
	s_wait_alu 0xfffd
	v_add_co_ci_u32_e64 v18, null, s55, v64, vcc_lo
	s_delay_alu instid0(VALU_DEP_2) | instskip(SKIP_1) | instid1(VALU_DEP_2)
	v_add_co_u32 v19, vcc_lo, v17, s54
	s_wait_alu 0xfffd
	v_add_co_ci_u32_e64 v20, null, s55, v18, vcc_lo
	s_clause 0x2
	global_load_b32 v18, v[17:18], off offset:192
	global_load_b32 v20, v[19:20], off offset:192
	;; [unrolled: 1-line block ×3, first 2 shown]
	s_wait_alu 0xfffe
	v_add_co_u32 v61, vcc_lo, s60, v13
	global_load_b32 v19, v[63:64], off offset:192
	s_wait_alu 0xfffd
	v_add_co_ci_u32_e64 v62, null, s61, v14, vcc_lo
	global_load_b32 v17, v[61:62], off
	ds_load_b128 v[61:64], v23
	s_wait_storecnt 0x0
	s_wait_loadcnt_dscnt 0x0
	s_barrier_signal -1
	s_barrier_wait -1
	global_inv scope:SCOPE_SE
	v_fma_f32 v65, v60, v61, 0
	s_delay_alu instid0(VALU_DEP_1) | instskip(NEXT) | instid1(VALU_DEP_1)
	v_fmac_f32_e32 v65, v59, v62
	v_fmac_f32_e32 v65, v58, v63
	s_delay_alu instid0(VALU_DEP_1) | instskip(SKIP_1) | instid1(VALU_DEP_1)
	v_fmac_f32_e32 v65, v56, v64
	v_fma_f32 v61, v57, v61, 0
	v_fmac_f32_e32 v61, v20, v62
	s_delay_alu instid0(VALU_DEP_1) | instskip(NEXT) | instid1(VALU_DEP_1)
	v_fmac_f32_e32 v61, v18, v63
	v_fmac_f32_e32 v61, v19, v64
	ds_store_2addr_b32 v25, v65, v61 offset1:16
	s_wait_loadcnt_dscnt 0x0
	s_barrier_signal -1
	s_barrier_wait -1
	global_inv scope:SCOPE_SE
	s_and_saveexec_b32 s62, s0
	s_cbranch_execz .LBB80_28
; %bb.27:                               ;   in Loop: Header=BB80_3 Depth=1
	ds_load_2addr_b32 v[61:62], v24 offset1:32
	ds_load_2addr_b32 v[63:64], v24 offset0:64 offset1:96
	ds_load_2addr_b32 v[65:66], v24 offset0:128 offset1:160
	v_add_co_u32 v15, vcc_lo, v15, s44
	s_wait_alu 0xfffd
	v_add_co_ci_u32_e64 v16, null, s45, v16, vcc_lo
	s_wait_dscnt 0x2
	v_add_f32_e32 v61, 0, v61
	s_delay_alu instid0(VALU_DEP_1) | instskip(SKIP_1) | instid1(VALU_DEP_1)
	v_add_f32_e32 v61, v61, v62
	s_wait_dscnt 0x1
	v_add_f32_e32 v63, v61, v63
	ds_load_2addr_b32 v[61:62], v24 offset0:192 offset1:224
	v_add_f32_e32 v63, v63, v64
	s_wait_dscnt 0x1
	s_delay_alu instid0(VALU_DEP_1) | instskip(NEXT) | instid1(VALU_DEP_1)
	v_add_f32_e32 v63, v63, v65
	v_add_f32_e32 v63, v63, v66
	s_wait_dscnt 0x0
	s_delay_alu instid0(VALU_DEP_1) | instskip(NEXT) | instid1(VALU_DEP_1)
	v_add_f32_e32 v61, v63, v61
	v_add_f32_e32 v63, v61, v62
	v_add_co_u32 v61, vcc_lo, v15, v11
	s_wait_alu 0xfffd
	v_add_co_ci_u32_e64 v62, null, v16, v12, vcc_lo
	s_delay_alu instid0(VALU_DEP_3)
	v_mul_f32_e32 v63, v50, v63
	global_atomic_add_f32 v[61:62], v63, off scope:SCOPE_DEV
.LBB80_28:                              ;   in Loop: Header=BB80_3 Depth=1
	s_wait_alu 0xfffe
	s_or_b32 exec_lo, exec_lo, s62
	v_fmac_f32_e32 v54, v55, v59
	v_fmac_f32_e32 v53, v55, v58
	v_fmac_f32_e32 v52, v55, v60
	v_fmac_f32_e32 v51, v55, v56
	s_add_nc_u64 s[58:59], s[58:59], 0x80
	v_fmac_f32_e32 v54, v17, v20
	v_fmac_f32_e32 v53, v17, v18
	;; [unrolled: 1-line block ×4, first 2 shown]
	s_and_b32 vcc_lo, exec_lo, s71
	s_wait_alu 0xfffe
	s_cbranch_vccz .LBB80_36
.LBB80_29:                              ;   in Loop: Header=BB80_3 Depth=1
	v_dual_mov_b32 v18, 0 :: v_dual_mov_b32 v19, 0
	v_dual_mov_b32 v20, 0 :: v_dual_mov_b32 v57, 0
	v_mov_b32_e32 v56, 0
	s_lshl_b64 s[62:63], s[38:39], 2
	s_wait_alu 0xfffe
	s_add_nc_u64 s[60:61], s[60:61], s[62:63]
	s_and_saveexec_b32 s62, s1
	s_cbranch_execz .LBB80_31
; %bb.30:                               ;   in Loop: Header=BB80_3 Depth=1
	v_add_co_u32 v19, vcc_lo, s58, v7
	s_wait_alu 0xfffd
	v_add_co_ci_u32_e64 v20, null, s59, v8, vcc_lo
	s_delay_alu instid0(VALU_DEP_2) | instskip(SKIP_1) | instid1(VALU_DEP_2)
	v_add_co_u32 v55, vcc_lo, v19, s46
	s_wait_alu 0xfffd
	v_add_co_ci_u32_e64 v56, null, s47, v20, vcc_lo
	v_add_co_u32 v57, vcc_lo, v19, s40
	s_wait_alu 0xfffd
	v_add_co_ci_u32_e64 v58, null, s41, v20, vcc_lo
	;; [unrolled: 3-line block ×3, first 2 shown]
	s_wait_alu 0xfffe
	v_add_co_u32 v61, vcc_lo, s60, v9
	s_wait_alu 0xfffd
	v_add_co_ci_u32_e64 v62, null, s61, v10, vcc_lo
	s_clause 0x3
	global_load_b32 v19, v[19:20], off offset:128
	global_load_b32 v20, v[55:56], off offset:128
	;; [unrolled: 1-line block ×4, first 2 shown]
	global_load_b32 v55, v[61:62], off
.LBB80_31:                              ;   in Loop: Header=BB80_3 Depth=1
	s_wait_alu 0xfffe
	s_or_b32 exec_lo, exec_lo, s62
	v_dual_mov_b32 v58, 0 :: v_dual_mov_b32 v59, 0
	v_mov_b32_e32 v60, 0
	s_and_saveexec_b32 s62, s2
	s_cbranch_execz .LBB80_33
; %bb.32:                               ;   in Loop: Header=BB80_3 Depth=1
	v_add_co_u32 v17, vcc_lo, s58, v7
	s_wait_alu 0xfffd
	v_add_co_ci_u32_e64 v18, null, s59, v8, vcc_lo
	s_delay_alu instid0(VALU_DEP_2) | instskip(SKIP_1) | instid1(VALU_DEP_2)
	v_add_co_u32 v58, vcc_lo, v17, s46
	s_wait_alu 0xfffd
	v_add_co_ci_u32_e64 v59, null, s47, v18, vcc_lo
	v_add_co_u32 v60, vcc_lo, v17, s40
	s_wait_alu 0xfffd
	v_add_co_ci_u32_e64 v61, null, s41, v18, vcc_lo
	;; [unrolled: 3-line block ×4, first 2 shown]
	s_clause 0x3
	global_load_b32 v18, v[17:18], off offset:192
	global_load_b32 v58, v[58:59], off offset:192
	;; [unrolled: 1-line block ×4, first 2 shown]
	global_load_b32 v17, v[64:65], off
.LBB80_33:                              ;   in Loop: Header=BB80_3 Depth=1
	s_wait_alu 0xfffe
	s_or_b32 exec_lo, exec_lo, s62
	ds_load_b128 v[61:64], v23
	s_wait_storecnt 0x0
	s_wait_loadcnt_dscnt 0x0
	s_barrier_signal -1
	s_barrier_wait -1
	global_inv scope:SCOPE_SE
	v_fma_f32 v65, v18, v61, 0
	v_fma_f32 v61, v19, v61, 0
	s_delay_alu instid0(VALU_DEP_2) | instskip(NEXT) | instid1(VALU_DEP_2)
	v_fmac_f32_e32 v65, v58, v62
	v_fmac_f32_e32 v61, v20, v62
	s_delay_alu instid0(VALU_DEP_2) | instskip(NEXT) | instid1(VALU_DEP_2)
	v_fmac_f32_e32 v65, v59, v63
	v_fmac_f32_e32 v61, v56, v63
	;; [unrolled: 3-line block ×3, first 2 shown]
	ds_store_2addr_b32 v25, v61, v65 offset1:16
	s_wait_loadcnt_dscnt 0x0
	s_barrier_signal -1
	s_barrier_wait -1
	global_inv scope:SCOPE_SE
	s_and_saveexec_b32 s58, s28
	s_cbranch_execz .LBB80_35
; %bb.34:                               ;   in Loop: Header=BB80_3 Depth=1
	ds_load_2addr_b32 v[61:62], v24 offset1:32
	ds_load_2addr_b32 v[63:64], v24 offset0:64 offset1:96
	ds_load_2addr_b32 v[65:66], v24 offset0:128 offset1:160
	v_add_co_u32 v15, vcc_lo, v15, s44
	s_wait_alu 0xfffd
	v_add_co_ci_u32_e64 v16, null, s45, v16, vcc_lo
	s_delay_alu instid0(VALU_DEP_2) | instskip(SKIP_1) | instid1(VALU_DEP_2)
	v_add_co_u32 v15, vcc_lo, v15, v11
	s_wait_alu 0xfffd
	v_add_co_ci_u32_e64 v16, null, v16, v12, vcc_lo
	s_wait_dscnt 0x2
	v_add_f32_e32 v61, 0, v61
	s_delay_alu instid0(VALU_DEP_1) | instskip(SKIP_1) | instid1(VALU_DEP_1)
	v_add_f32_e32 v61, v61, v62
	s_wait_dscnt 0x1
	v_add_f32_e32 v63, v61, v63
	ds_load_2addr_b32 v[61:62], v24 offset0:192 offset1:224
	v_add_f32_e32 v63, v63, v64
	s_wait_dscnt 0x1
	s_delay_alu instid0(VALU_DEP_1) | instskip(NEXT) | instid1(VALU_DEP_1)
	v_add_f32_e32 v63, v63, v65
	v_add_f32_e32 v63, v63, v66
	s_wait_dscnt 0x0
	s_delay_alu instid0(VALU_DEP_1) | instskip(NEXT) | instid1(VALU_DEP_1)
	v_add_f32_e32 v61, v63, v61
	v_add_f32_e32 v61, v61, v62
	s_delay_alu instid0(VALU_DEP_1)
	v_mul_f32_e32 v61, v50, v61
	global_atomic_add_f32 v[15:16], v61, off scope:SCOPE_DEV
.LBB80_35:                              ;   in Loop: Header=BB80_3 Depth=1
	s_wait_alu 0xfffe
	s_or_b32 exec_lo, exec_lo, s58
	v_fmac_f32_e32 v51, v55, v57
	s_delay_alu instid0(VALU_DEP_1) | instskip(NEXT) | instid1(VALU_DEP_1)
	v_dual_fmac_f32 v52, v55, v19 :: v_dual_fmac_f32 v51, v17, v60
	v_dual_fmac_f32 v53, v55, v56 :: v_dual_fmac_f32 v52, v17, v18
	s_delay_alu instid0(VALU_DEP_1) | instskip(NEXT) | instid1(VALU_DEP_1)
	v_dual_fmac_f32 v54, v55, v20 :: v_dual_fmac_f32 v53, v17, v59
	v_fmac_f32_e32 v54, v17, v58
.LBB80_36:                              ;   in Loop: Header=BB80_3 Depth=1
	ds_store_2addr_b32 v49, v52, v54 offset1:16
	ds_store_2addr_b32 v49, v53, v51 offset0:32 offset1:48
	s_wait_storecnt 0x0
	s_wait_loadcnt_dscnt 0x0
	s_barrier_signal -1
	s_barrier_wait -1
	global_inv scope:SCOPE_SE
	s_and_b32 exec_lo, exec_lo, s0
	s_cbranch_execz .LBB80_2
; %bb.37:                               ;   in Loop: Header=BB80_3 Depth=1
	ds_load_b32 v15, v26
	ds_load_b32 v16, v27
	;; [unrolled: 1-line block ×8, first 2 shown]
	s_wait_dscnt 0x7
	v_add_f32_e32 v15, 0, v15
	s_wait_dscnt 0x6
	s_delay_alu instid0(VALU_DEP_1)
	v_add_f32_e32 v15, v15, v16
	ds_load_b32 v16, v34
	s_wait_dscnt 0x6
	v_add_f32_e32 v15, v15, v17
	ds_load_b32 v17, v35
	s_wait_dscnt 0x6
	;; [unrolled: 3-line block ×3, first 2 shown]
	v_add_f32_e32 v15, v15, v19
	s_wait_dscnt 0x5
	s_delay_alu instid0(VALU_DEP_1) | instskip(SKIP_1) | instid1(VALU_DEP_1)
	v_add_f32_e32 v15, v15, v20
	s_wait_dscnt 0x4
	v_add_f32_e32 v15, v15, v51
	s_wait_dscnt 0x3
	s_delay_alu instid0(VALU_DEP_1)
	v_add_f32_e32 v15, v15, v52
	ds_load_b32 v19, v37
	ds_load_b32 v20, v38
	;; [unrolled: 1-line block ×5, first 2 shown]
	s_wait_dscnt 0x7
	v_add_f32_e32 v15, v15, v16
	s_wait_dscnt 0x6
	s_delay_alu instid0(VALU_DEP_1) | instskip(SKIP_1) | instid1(VALU_DEP_1)
	v_add_f32_e32 v15, v15, v17
	s_wait_dscnt 0x5
	v_add_f32_e32 v15, v15, v18
	s_wait_dscnt 0x4
	s_delay_alu instid0(VALU_DEP_1) | instskip(SKIP_1) | instid1(VALU_DEP_1)
	v_add_f32_e32 v15, v15, v19
	;; [unrolled: 5-line block ×3, first 2 shown]
	s_wait_dscnt 0x1
	v_add_f32_e32 v15, v15, v52
	s_wait_dscnt 0x0
	s_delay_alu instid0(VALU_DEP_1) | instskip(SKIP_3) | instid1(VALU_DEP_3)
	v_add_f32_e32 v17, v15, v53
	v_add_co_u32 v15, vcc_lo, s56, v11
	s_wait_alu 0xfffd
	v_add_co_ci_u32_e64 v16, null, s57, v12, vcc_lo
	v_mul_f32_e32 v17, v50, v17
	global_atomic_add_f32 v[15:16], v17, off scope:SCOPE_DEV
	s_branch .LBB80_2
.LBB80_38:
	s_endpgm
	.section	.rodata,"a",@progbits
	.p2align	6, 0x0
	.amdhsa_kernel _ZL62rocblas_symv_kernel_lower_double_buffered_non_diagonal_genericILi32ELi4ELi4E24rocblas_internal_val_ptrIfEPKfPfEvbiT2_lT3_lllS6_lllT4_lllii
		.amdhsa_group_segment_fixed_size 4224
		.amdhsa_private_segment_fixed_size 0
		.amdhsa_kernarg_size 384
		.amdhsa_user_sgpr_count 4
		.amdhsa_user_sgpr_dispatch_ptr 1
		.amdhsa_user_sgpr_queue_ptr 0
		.amdhsa_user_sgpr_kernarg_segment_ptr 1
		.amdhsa_user_sgpr_dispatch_id 0
		.amdhsa_user_sgpr_private_segment_size 0
		.amdhsa_wavefront_size32 1
		.amdhsa_uses_dynamic_stack 0
		.amdhsa_enable_private_segment 0
		.amdhsa_system_sgpr_workgroup_id_x 1
		.amdhsa_system_sgpr_workgroup_id_y 1
		.amdhsa_system_sgpr_workgroup_id_z 1
		.amdhsa_system_sgpr_workgroup_info 0
		.amdhsa_system_vgpr_workitem_id 2
		.amdhsa_next_free_vgpr 76
		.amdhsa_next_free_sgpr 76
		.amdhsa_reserve_vcc 1
		.amdhsa_float_round_mode_32 0
		.amdhsa_float_round_mode_16_64 0
		.amdhsa_float_denorm_mode_32 3
		.amdhsa_float_denorm_mode_16_64 3
		.amdhsa_fp16_overflow 0
		.amdhsa_workgroup_processor_mode 1
		.amdhsa_memory_ordered 1
		.amdhsa_forward_progress 1
		.amdhsa_inst_pref_size 35
		.amdhsa_round_robin_scheduling 0
		.amdhsa_exception_fp_ieee_invalid_op 0
		.amdhsa_exception_fp_denorm_src 0
		.amdhsa_exception_fp_ieee_div_zero 0
		.amdhsa_exception_fp_ieee_overflow 0
		.amdhsa_exception_fp_ieee_underflow 0
		.amdhsa_exception_fp_ieee_inexact 0
		.amdhsa_exception_int_div_zero 0
	.end_amdhsa_kernel
	.section	.text._ZL62rocblas_symv_kernel_lower_double_buffered_non_diagonal_genericILi32ELi4ELi4E24rocblas_internal_val_ptrIfEPKfPfEvbiT2_lT3_lllS6_lllT4_lllii,"axG",@progbits,_ZL62rocblas_symv_kernel_lower_double_buffered_non_diagonal_genericILi32ELi4ELi4E24rocblas_internal_val_ptrIfEPKfPfEvbiT2_lT3_lllS6_lllT4_lllii,comdat
.Lfunc_end80:
	.size	_ZL62rocblas_symv_kernel_lower_double_buffered_non_diagonal_genericILi32ELi4ELi4E24rocblas_internal_val_ptrIfEPKfPfEvbiT2_lT3_lllS6_lllT4_lllii, .Lfunc_end80-_ZL62rocblas_symv_kernel_lower_double_buffered_non_diagonal_genericILi32ELi4ELi4E24rocblas_internal_val_ptrIfEPKfPfEvbiT2_lT3_lllS6_lllT4_lllii
                                        ; -- End function
	.set _ZL62rocblas_symv_kernel_lower_double_buffered_non_diagonal_genericILi32ELi4ELi4E24rocblas_internal_val_ptrIfEPKfPfEvbiT2_lT3_lllS6_lllT4_lllii.num_vgpr, 76
	.set _ZL62rocblas_symv_kernel_lower_double_buffered_non_diagonal_genericILi32ELi4ELi4E24rocblas_internal_val_ptrIfEPKfPfEvbiT2_lT3_lllS6_lllT4_lllii.num_agpr, 0
	.set _ZL62rocblas_symv_kernel_lower_double_buffered_non_diagonal_genericILi32ELi4ELi4E24rocblas_internal_val_ptrIfEPKfPfEvbiT2_lT3_lllS6_lllT4_lllii.numbered_sgpr, 76
	.set _ZL62rocblas_symv_kernel_lower_double_buffered_non_diagonal_genericILi32ELi4ELi4E24rocblas_internal_val_ptrIfEPKfPfEvbiT2_lT3_lllS6_lllT4_lllii.num_named_barrier, 0
	.set _ZL62rocblas_symv_kernel_lower_double_buffered_non_diagonal_genericILi32ELi4ELi4E24rocblas_internal_val_ptrIfEPKfPfEvbiT2_lT3_lllS6_lllT4_lllii.private_seg_size, 0
	.set _ZL62rocblas_symv_kernel_lower_double_buffered_non_diagonal_genericILi32ELi4ELi4E24rocblas_internal_val_ptrIfEPKfPfEvbiT2_lT3_lllS6_lllT4_lllii.uses_vcc, 1
	.set _ZL62rocblas_symv_kernel_lower_double_buffered_non_diagonal_genericILi32ELi4ELi4E24rocblas_internal_val_ptrIfEPKfPfEvbiT2_lT3_lllS6_lllT4_lllii.uses_flat_scratch, 0
	.set _ZL62rocblas_symv_kernel_lower_double_buffered_non_diagonal_genericILi32ELi4ELi4E24rocblas_internal_val_ptrIfEPKfPfEvbiT2_lT3_lllS6_lllT4_lllii.has_dyn_sized_stack, 0
	.set _ZL62rocblas_symv_kernel_lower_double_buffered_non_diagonal_genericILi32ELi4ELi4E24rocblas_internal_val_ptrIfEPKfPfEvbiT2_lT3_lllS6_lllT4_lllii.has_recursion, 0
	.set _ZL62rocblas_symv_kernel_lower_double_buffered_non_diagonal_genericILi32ELi4ELi4E24rocblas_internal_val_ptrIfEPKfPfEvbiT2_lT3_lllS6_lllT4_lllii.has_indirect_call, 0
	.section	.AMDGPU.csdata,"",@progbits
; Kernel info:
; codeLenInByte = 4456
; TotalNumSgprs: 78
; NumVgprs: 76
; ScratchSize: 0
; MemoryBound: 0
; FloatMode: 240
; IeeeMode: 1
; LDSByteSize: 4224 bytes/workgroup (compile time only)
; SGPRBlocks: 0
; VGPRBlocks: 9
; NumSGPRsForWavesPerEU: 78
; NumVGPRsForWavesPerEU: 76
; Occupancy: 16
; WaveLimiterHint : 1
; COMPUTE_PGM_RSRC2:SCRATCH_EN: 0
; COMPUTE_PGM_RSRC2:USER_SGPR: 4
; COMPUTE_PGM_RSRC2:TRAP_HANDLER: 0
; COMPUTE_PGM_RSRC2:TGID_X_EN: 1
; COMPUTE_PGM_RSRC2:TGID_Y_EN: 1
; COMPUTE_PGM_RSRC2:TGID_Z_EN: 1
; COMPUTE_PGM_RSRC2:TIDIG_COMP_CNT: 2
	.section	.text._ZL26rocblas_hemvn_kernel_lowerILb0ELi64ELi4ELi33ELi32ELi16ElPKfS1_PfEviT6_lT7_lT5_lS4_lS5_lS3_lT8_i,"axG",@progbits,_ZL26rocblas_hemvn_kernel_lowerILb0ELi64ELi4ELi33ELi32ELi16ElPKfS1_PfEviT6_lT7_lT5_lS4_lS5_lS3_lT8_i,comdat
	.globl	_ZL26rocblas_hemvn_kernel_lowerILb0ELi64ELi4ELi33ELi32ELi16ElPKfS1_PfEviT6_lT7_lT5_lS4_lS5_lS3_lT8_i ; -- Begin function _ZL26rocblas_hemvn_kernel_lowerILb0ELi64ELi4ELi33ELi32ELi16ElPKfS1_PfEviT6_lT7_lT5_lS4_lS5_lS3_lT8_i
	.p2align	8
	.type	_ZL26rocblas_hemvn_kernel_lowerILb0ELi64ELi4ELi33ELi32ELi16ElPKfS1_PfEviT6_lT7_lT5_lS4_lS5_lS3_lT8_i,@function
_ZL26rocblas_hemvn_kernel_lowerILb0ELi64ELi4ELi33ELi32ELi16ElPKfS1_PfEviT6_lT7_lT5_lS4_lS5_lS3_lT8_i: ; @_ZL26rocblas_hemvn_kernel_lowerILb0ELi64ELi4ELi33ELi32ELi16ElPKfS1_PfEviT6_lT7_lT5_lS4_lS5_lS3_lT8_i
; %bb.0:
	s_clause 0x1
	s_load_b64 s[2:3], s[0:1], 0x84
	s_load_b32 s33, s[0:1], 0x70
	s_lshr_b32 s28, ttmp7, 16
	s_wait_kmcnt 0x0
	s_lshr_b32 s4, s2, 16
	s_and_b32 s2, s2, 0xffff
	s_and_b32 s3, s3, 0xffff
	s_mul_i32 s2, s4, s2
	s_delay_alu instid0(SALU_CYCLE_1) | instskip(NEXT) | instid1(SALU_CYCLE_1)
	s_mul_i32 s2, s2, s3
	s_cmp_lg_u32 s2, 0x100
	s_cselect_b32 s2, -1, 0
	s_cmp_ge_u32 s28, s33
	s_cselect_b32 s3, -1, 0
	s_delay_alu instid0(SALU_CYCLE_1) | instskip(NEXT) | instid1(SALU_CYCLE_1)
	s_or_b32 s2, s2, s3
	s_and_b32 vcc_lo, exec_lo, s2
	s_cbranch_vccnz .LBB81_79
; %bb.1:
	s_clause 0x2
	s_load_b256 s[20:27], s[0:1], 0x48
	s_load_b32 s2, s[0:1], 0x0
	s_load_b512 s[36:51], s[0:1], 0x8
	v_dual_mov_b32 v17, 0 :: v_dual_and_b32 v28, 0x3ff, v0
	s_lshl_b32 s18, ttmp9, 6
	v_bfe_u32 v11, v0, 10, 10
	s_add_nc_u64 s[6:7], s[0:1], 0x78
	s_delay_alu instid0(VALU_DEP_2)
	v_add_nc_u32_e32 v1, s18, v28
	s_load_b64 s[4:5], s[0:1], 0x68
	s_load_b32 s30, s[6:7], 0x0
	v_and_b32_e32 v16, 31, v0
	v_lshl_add_u32 v12, v11, 6, v28
	s_mov_b32 s31, 0
	v_ashrrev_i32_e32 v2, 31, v1
	v_lshl_add_u32 v42, v11, 4, 0x10c0
	v_lshlrev_b32_e32 v13, 2, v16
	v_lshrrev_b32_e32 v10, 5, v12
	v_and_b32_e32 v25, 0x7ff0, v12
	v_cmp_gt_u32_e64 s10, 32, v12
	v_lshlrev_b32_e32 v54, 2, v16
	s_wait_kmcnt 0x0
	v_mul_lo_u32 v7, s20, v2
	v_mul_lo_u32 v8, s21, v1
	v_mad_co_u64_u32 v[3:4], null, s20, v1, 0
	v_mad_co_u64_u32 v[5:6], null, s44, v10, v[16:17]
	s_lshl_b64 s[0:1], s[50:51], 2
	s_ashr_i32 s3, s2, 31
	s_add_nc_u64 s[0:1], s[48:49], s[0:1]
	s_lshr_b32 s8, s3, 26
	v_add3_u32 v4, v4, v7, v8
	s_add_co_i32 s8, s2, s8
	s_add_co_i32 s9, s30, -1
	s_and_not1_b32 s8, s8, 63
	s_lshl_b64 s[6:7], s[42:43], 2
	v_lshlrev_b64_e32 v[3:4], 2, v[3:4]
	s_sub_co_i32 s8, s2, s8
	s_cmp_eq_u32 ttmp9, s9
	s_add_nc_u64 s[6:7], s[40:41], s[6:7]
	s_cselect_b32 s34, s8, 0
	s_mul_i32 s8, s2, ttmp9
	v_add_co_u32 v29, vcc_lo, s0, v3
	s_delay_alu instid0(VALU_DEP_1)
	v_add_co_ci_u32_e64 v30, null, s1, v4, vcc_lo
	v_mad_co_u64_u32 v[3:4], null, s45, v10, v[6:7]
	s_cmp_eq_u32 s34, 0
	v_cmp_gt_i32_e32 vcc_lo, s34, v28
	s_cselect_b32 s1, -1, 0
	s_ashr_i32 s9, s8, 31
	s_ashr_i32 s19, s18, 31
	s_mul_u64 s[40:41], s[30:31], s[2:3]
	v_mov_b32_e32 v6, v3
	s_lshl_b64 s[2:3], s[8:9], 2
	s_wait_alu 0xfffe
	s_lshl_b64 s[8:9], s[18:19], 2
	s_add_nc_u64 s[42:43], s[4:5], s[2:3]
	s_add_nc_u64 s[2:3], s[6:7], s[8:9]
	v_lshlrev_b64_e32 v[6:7], 2, v[5:6]
	s_or_b32 s92, s1, vcc_lo
	v_lshl_or_b32 v36, v16, 7, v13
	v_lshlrev_b32_e32 v18, 4, v10
	s_mul_u64 s[54:55], s[44:45], s[18:19]
	v_lshlrev_b32_e32 v15, 2, v10
	v_add_co_u32 v4, vcc_lo, s2, v6
	s_wait_alu 0xfffd
	v_add_co_ci_u32_e64 v6, null, s3, v7, vcc_lo
	s_lshl_b64 s[2:3], s[54:55], 2
	v_add_nc_u32_e32 v8, 16, v10
	s_wait_alu 0xfffe
	v_add_co_u32 v34, vcc_lo, v4, s2
	v_add_nc_u32_e32 v4, 8, v10
	v_add_nc_u32_e32 v9, 24, v10
	;; [unrolled: 1-line block ×4, first 2 shown]
	v_lshlrev_b32_e32 v18, 2, v11
	s_cmp_lg_u32 s34, 0
	v_or_b32_e32 v19, 1, v15
	s_cselect_b32 s17, -1, 0
	s_sub_co_i32 s15, s34, 32
	v_cmp_gt_i32_e64 s4, s34, v8
	v_cmp_gt_i32_e64 s5, s34, v9
	v_cmp_gt_i32_e64 s12, s15, v10
	v_cmp_gt_i32_e64 s13, s15, v4
	v_cmp_gt_i32_e64 s14, s15, v8
	v_cmp_gt_i32_e64 s15, s15, v9
	v_mad_co_u64_u32 v[8:9], null, s44, v18, 0
	v_or_b32_e32 v21, 2, v15
	v_cmp_lt_u32_e64 s7, v19, v16
	v_mul_u32_u24_e32 v23, 0x84, v19
	v_mul_u32_u24_e32 v19, 33, v16
	v_lshlrev_b32_e32 v31, 2, v28
	s_wait_alu 0xfffd
	v_add_co_ci_u32_e64 v35, null, s3, v6, vcc_lo
	v_cmp_gt_i32_e64 s3, s34, v4
	v_cmp_lt_u32_e64 s8, v21, v16
	v_or_b32_e32 v21, 32, v16
	v_lshl_add_u32 v39, v19, 2, v15
	v_cmp_le_i32_e32 vcc_lo, s34, v28
	v_mov_b32_e32 v4, v9
	v_sub_co_u32 v6, s2, 0, v16
	v_mul_u32_u24_e32 v14, 0x84, v10
	s_wait_alu 0xf1ff
	v_sub_co_ci_u32_e64 v7, null, 0, 0, s2
	v_cmp_gt_i32_e64 s2, s34, v10
	v_mul_u32_u24_e32 v20, 0x210, v10
	v_cmp_gt_i32_e64 s11, s34, v21
	v_cmp_eq_u32_e64 s16, 1, v10
	v_mul_i32_i24_e32 v21, -12, v10
	v_mad_u32_u24 v40, v10, 12, v39
	s_and_b32 s17, s17, vcc_lo
	v_mad_co_u64_u32 v[9:10], null, s45, v18, v[4:5]
	v_sub_co_u32 v4, vcc_lo, 0, v5
	v_and_b32_e32 v10, 15, v0
	s_wait_alu 0xfffd
	v_sub_co_ci_u32_e64 v5, null, 0, v3, vcc_lo
	v_lshrrev_b32_e32 v3, 2, v12
	v_and_b32_e32 v0, 48, v0
	v_or_b32_e32 v22, 3, v15
	v_mul_u32_u24_e32 v24, 0x10c, v10
	v_or_b32_e32 v18, 60, v31
	v_mad_u32_u24 v43, 0x430, v11, v31
	v_and_b32_e32 v3, 0x1ffc, v3
	v_lshlrev_b32_e32 v0, 2, v0
	v_cmp_eq_u32_e64 s0, 0, v11
	s_mul_u64 s[18:19], s[20:21], s[18:19]
	s_lshl_b64 s[48:49], s[44:45], 5
	v_cmp_lt_u32_e64 s9, v22, v16
	v_mad_u32_u24 v46, 0x10c, v10, v18
	v_lshlrev_b64_e32 v[18:19], 2, v[6:7]
	v_add_nc_u32_e32 v50, v13, v20
	v_add_nc_u32_e32 v51, v13, v23
	;; [unrolled: 1-line block ×3, first 2 shown]
	v_lshlrev_b64_e32 v[20:21], 2, v[4:5]
	v_lshlrev_b64_e32 v[22:23], 2, v[8:9]
	v_add_nc_u32_e32 v53, v24, v25
	v_lshlrev_b64_e32 v[24:25], 2, v[1:2]
	v_cndmask_b32_e64 v32, 0, 1, s1
	v_add_nc_u32_e32 v33, 0x11c0, v31
	s_lshl_b64 s[50:51], s[44:45], 6
	v_cmp_gt_i32_e64 s1, s34, v16
	s_ashr_i32 s35, s34, 31
	v_cmp_lt_u32_e64 s6, v15, v16
	s_xor_b32 s29, s17, -1
	s_wait_alu 0xfffe
	s_sub_nc_u64 s[86:87], 0, s[18:19]
	v_add_nc_u32_e32 v41, 0x10c0, v31
	v_mad_u32_u24 v44, 0x10c, v10, v3
	v_cmp_gt_u32_e64 s18, 64, v12
	v_mad_u32_u24 v45, 0x10c, v10, v0
	v_mad_i32_i24 v47, 0xfffffcdc, v11, v43
	v_add_nc_u32_e32 v48, 0x11c0, v15
	v_add_nc_u32_e32 v49, v13, v14
	v_lshlrev_b32_e32 v55, 2, v28
	s_sub_nc_u64 s[84:85], 0, s[48:49]
	s_cmp_gt_i32 ttmp9, 0
	s_sub_nc_u64 s[88:89], 0, s[54:55]
	s_mul_u64 s[52:53], s[44:45], 0x60
	s_cselect_b32 s93, -1, 0
	s_and_b32 s94, s0, s29
	s_sub_nc_u64 s[54:55], 0, s[34:35]
	s_lshl_b64 s[56:57], s[44:45], 2
	s_lshl_b64 s[58:59], s[44:45], 8
	;; [unrolled: 1-line block ×3, first 2 shown]
	s_mul_u64 s[62:63], s[44:45], 12
	s_mul_u64 s[64:65], s[44:45], 0x48
	s_mul_u64 s[66:67], s[44:45], 0x4c
	s_mul_u64 s[68:69], s[44:45], 0x88
	s_mul_u64 s[70:71], s[44:45], 0x8c
	s_mul_u64 s[72:73], s[44:45], 0xc8
	s_mul_u64 s[74:75], s[44:45], 0xcc
	s_mul_u64 s[76:77], s[44:45], 0xc4
	s_mul_u64 s[78:79], s[44:45], 0xc0
	s_mul_u64 s[80:81], s[44:45], 0x84
	s_lshl_b64 s[82:83], s[44:45], 7
	s_mul_u64 s[44:45], s[44:45], 0x44
	s_lshl_b64 s[84:85], s[84:85], 2
	s_lshl_b64 s[86:87], s[86:87], 2
	;; [unrolled: 1-line block ×3, first 2 shown]
	s_branch .LBB81_4
.LBB81_2:                               ;   in Loop: Header=BB81_4 Depth=1
	s_wait_alu 0xfffe
	s_or_b32 exec_lo, exec_lo, s19
.LBB81_3:                               ;   in Loop: Header=BB81_4 Depth=1
	s_add_co_i32 s28, s28, 0x10000
	s_delay_alu instid0(SALU_CYCLE_1)
	s_cmp_lt_u32 s28, s33
	s_cbranch_scc0 .LBB81_79
.LBB81_4:                               ; =>This Loop Header: Depth=1
                                        ;     Child Loop BB81_67 Depth 2
	s_mov_b32 s29, s31
	s_delay_alu instid0(SALU_CYCLE_1)
	s_mul_u64 s[90:91], s[38:39], s[28:29]
	s_mul_u64 s[96:97], s[26:27], s[28:29]
	s_wait_alu 0xfffe
	s_lshl_b64 s[90:91], s[90:91], 2
	s_lshl_b64 s[96:97], s[96:97], 2
	s_wait_alu 0xfffe
	s_add_nc_u64 s[90:91], s[36:37], s[90:91]
	s_add_nc_u64 s[96:97], s[24:25], s[96:97]
	s_clause 0x1
	global_load_b32 v0, v17, s[90:91]
	global_load_b32 v1, v17, s[96:97]
	s_wait_loadcnt 0x1
	v_cmp_eq_f32_e64 s19, 0, v0
	s_wait_loadcnt 0x0
	v_cmp_eq_f32_e32 vcc_lo, 1.0, v1
	s_and_b32 s30, s19, vcc_lo
	s_wait_alu 0xfffe
	s_and_b32 vcc_lo, exec_lo, s30
	s_wait_alu 0xfffe
	s_cbranch_vccnz .LBB81_3
; %bb.5:                                ;   in Loop: Header=BB81_4 Depth=1
	s_and_b32 vcc_lo, exec_lo, s19
	s_wait_alu 0xfffe
	s_cbranch_vccnz .LBB81_3
; %bb.6:                                ;   in Loop: Header=BB81_4 Depth=1
	s_mul_u64 s[90:91], s[22:23], s[28:29]
	s_wait_alu 0xfffe
	s_lshl_b64 s[90:91], s[90:91], 2
	s_wait_alu 0xfffe
	v_add_co_u32 v4, vcc_lo, v29, s90
	s_wait_alu 0xfffd
	v_add_co_ci_u32_e64 v5, null, s91, v30, vcc_lo
	s_and_saveexec_b32 s19, s0
	s_cbranch_execz .LBB81_10
; %bb.7:                                ;   in Loop: Header=BB81_4 Depth=1
	v_mov_b32_e32 v0, 0
	s_and_saveexec_b32 s30, s92
	s_cbranch_execz .LBB81_9
; %bb.8:                                ;   in Loop: Header=BB81_4 Depth=1
	global_load_b32 v0, v[4:5], off
.LBB81_9:                               ;   in Loop: Header=BB81_4 Depth=1
	s_wait_alu 0xfffe
	s_or_b32 exec_lo, exec_lo, s30
	s_wait_loadcnt 0x0
	ds_store_b32 v33, v0
.LBB81_10:                              ;   in Loop: Header=BB81_4 Depth=1
	s_wait_alu 0xfffe
	s_or_b32 exec_lo, exec_lo, s19
	s_mul_u64 s[90:91], s[46:47], s[28:29]
	v_cmp_ne_u32_e32 vcc_lo, 1, v32
	s_wait_alu 0xfffe
	s_lshl_b64 s[90:91], s[90:91], 2
	s_wait_alu 0xfffe
	v_add_co_u32 v0, s19, v34, s90
	s_wait_alu 0xf1ff
	v_add_co_ci_u32_e64 v1, null, s91, v35, s19
	s_mov_b32 s19, -1
	s_cbranch_vccnz .LBB81_12
; %bb.11:                               ;   in Loop: Header=BB81_4 Depth=1
	v_add_co_u32 v2, vcc_lo, v0, s48
	s_wait_alu 0xfffd
	v_add_co_ci_u32_e64 v3, null, s49, v1, vcc_lo
	s_mov_b32 s19, 0
	v_add_co_u32 v6, vcc_lo, v2, s48
	s_wait_alu 0xfffd
	v_add_co_ci_u32_e64 v7, null, s49, v3, vcc_lo
	s_delay_alu instid0(VALU_DEP_2) | instskip(SKIP_1) | instid1(VALU_DEP_2)
	v_add_co_u32 v8, vcc_lo, v6, s48
	s_wait_alu 0xfffd
	v_add_co_ci_u32_e64 v9, null, s49, v7, vcc_lo
	s_clause 0x3
	global_load_b32 v10, v[0:1], off
	global_load_b32 v2, v[2:3], off
	;; [unrolled: 1-line block ×4, first 2 shown]
	s_wait_loadcnt 0x3
	ds_store_b32 v49, v10
	s_wait_loadcnt 0x2
	ds_store_b32 v49, v2 offset:1056
	s_wait_loadcnt 0x1
	ds_store_b32 v49, v3 offset:2112
	;; [unrolled: 2-line block ×3, first 2 shown]
.LBB81_12:                              ;   in Loop: Header=BB81_4 Depth=1
	s_wait_alu 0xfffe
	s_and_not1_b32 vcc_lo, exec_lo, s19
	s_wait_alu 0xfffe
	s_cbranch_vccnz .LBB81_22
; %bb.13:                               ;   in Loop: Header=BB81_4 Depth=1
	v_add_co_u32 v2, vcc_lo, v0, v18
	s_wait_alu 0xfffd
	v_add_co_ci_u32_e64 v3, null, v1, v19, vcc_lo
	s_lshl_b64 s[90:91], s[34:35], 2
	v_dual_mov_b32 v7, 0 :: v_dual_mov_b32 v6, 0
	s_wait_alu 0xfffe
	v_add_co_u32 v2, vcc_lo, v2, s90
	s_wait_alu 0xfffd
	v_add_co_ci_u32_e64 v3, null, s91, v3, vcc_lo
	s_delay_alu instid0(VALU_DEP_2) | instskip(SKIP_1) | instid1(VALU_DEP_2)
	v_add_co_u32 v2, vcc_lo, v2, -4
	s_wait_alu 0xfffd
	v_add_co_ci_u32_e64 v3, null, -1, v3, vcc_lo
	s_delay_alu instid0(VALU_DEP_2) | instskip(NEXT) | instid1(VALU_DEP_2)
	v_cndmask_b32_e64 v2, v2, v0, s1
	v_cndmask_b32_e64 v3, v3, v1, s1
	s_and_saveexec_b32 s19, s2
	s_cbranch_execz .LBB81_15
; %bb.14:                               ;   in Loop: Header=BB81_4 Depth=1
	global_load_b32 v6, v[2:3], off
.LBB81_15:                              ;   in Loop: Header=BB81_4 Depth=1
	s_wait_alu 0xfffe
	s_or_b32 exec_lo, exec_lo, s19
	s_wait_loadcnt 0x0
	ds_store_b32 v49, v6
	s_and_saveexec_b32 s19, s3
	s_cbranch_execz .LBB81_17
; %bb.16:                               ;   in Loop: Header=BB81_4 Depth=1
	v_add_co_u32 v6, vcc_lo, v2, s48
	s_wait_alu 0xfffd
	v_add_co_ci_u32_e64 v7, null, s49, v3, vcc_lo
	global_load_b32 v7, v[6:7], off
.LBB81_17:                              ;   in Loop: Header=BB81_4 Depth=1
	s_wait_alu 0xfffe
	s_or_b32 exec_lo, exec_lo, s19
	v_mov_b32_e32 v6, 0
	v_mov_b32_e32 v8, 0
	s_wait_loadcnt 0x0
	ds_store_b32 v49, v7 offset:1056
	s_and_saveexec_b32 s19, s4
	s_cbranch_execz .LBB81_19
; %bb.18:                               ;   in Loop: Header=BB81_4 Depth=1
	v_add_co_u32 v7, vcc_lo, v2, s50
	s_wait_alu 0xfffd
	v_add_co_ci_u32_e64 v8, null, s51, v3, vcc_lo
	global_load_b32 v8, v[7:8], off
.LBB81_19:                              ;   in Loop: Header=BB81_4 Depth=1
	s_wait_alu 0xfffe
	s_or_b32 exec_lo, exec_lo, s19
	s_wait_loadcnt 0x0
	ds_store_b32 v49, v8 offset:2112
	s_and_saveexec_b32 s19, s5
	s_cbranch_execz .LBB81_21
; %bb.20:                               ;   in Loop: Header=BB81_4 Depth=1
	v_add_co_u32 v6, vcc_lo, v2, s52
	s_wait_alu 0xfffd
	v_add_co_ci_u32_e64 v7, null, s53, v3, vcc_lo
	global_load_b32 v6, v[6:7], off
.LBB81_21:                              ;   in Loop: Header=BB81_4 Depth=1
	s_wait_alu 0xfffe
	s_or_b32 exec_lo, exec_lo, s19
	v_add_co_u32 v2, vcc_lo, v2, v54
	s_wait_alu 0xfffd
	v_add_co_ci_u32_e64 v3, null, 0, v3, vcc_lo
	s_lshl_b64 s[90:91], s[54:55], 2
	s_wait_loadcnt 0x0
	ds_store_b32 v49, v6 offset:3168
	s_wait_alu 0xfffe
	v_add_co_u32 v2, vcc_lo, v2, s90
	s_wait_alu 0xfffd
	v_add_co_ci_u32_e64 v3, null, s91, v3, vcc_lo
	s_delay_alu instid0(VALU_DEP_2) | instskip(SKIP_1) | instid1(VALU_DEP_2)
	v_add_co_u32 v2, vcc_lo, v2, 4
	s_wait_alu 0xfffd
	v_add_co_ci_u32_e64 v3, null, 0, v3, vcc_lo
	s_delay_alu instid0(VALU_DEP_2) | instskip(NEXT) | instid1(VALU_DEP_2)
	v_cndmask_b32_e64 v0, v2, v0, s1
	v_cndmask_b32_e64 v1, v3, v1, s1
.LBB81_22:                              ;   in Loop: Header=BB81_4 Depth=1
	s_wait_dscnt 0x0
	s_barrier_signal -1
	s_barrier_wait -1
	global_inv scope:SCOPE_SE
	s_and_saveexec_b32 s19, s6
	s_cbranch_execnz .LBB81_73
; %bb.23:                               ;   in Loop: Header=BB81_4 Depth=1
	s_wait_alu 0xfffe
	s_or_b32 exec_lo, exec_lo, s19
	s_and_saveexec_b32 s19, s7
	s_cbranch_execnz .LBB81_74
.LBB81_24:                              ;   in Loop: Header=BB81_4 Depth=1
	s_wait_alu 0xfffe
	s_or_b32 exec_lo, exec_lo, s19
	s_and_saveexec_b32 s19, s8
	s_cbranch_execnz .LBB81_75
.LBB81_25:                              ;   in Loop: Header=BB81_4 Depth=1
	s_wait_alu 0xfffe
	s_or_b32 exec_lo, exec_lo, s19
	s_and_saveexec_b32 s19, s9
	s_cbranch_execz .LBB81_27
.LBB81_26:                              ;   in Loop: Header=BB81_4 Depth=1
	ds_load_b32 v2, v51 offset:264
	s_wait_dscnt 0x0
	ds_store_b32 v37, v2 offset:12
.LBB81_27:                              ;   in Loop: Header=BB81_4 Depth=1
	s_wait_alu 0xfffe
	s_or_b32 exec_lo, exec_lo, s19
	s_wait_loadcnt_dscnt 0x0
	s_barrier_signal -1
	s_barrier_wait -1
	global_inv scope:SCOPE_SE
	ds_load_b32 v10, v50
	ds_load_b32 v11, v51 offset:264
	ds_load_b128 v[6:9], v38
	ds_load_2addr_b32 v[2:3], v51 offset1:33
	v_mov_b32_e32 v56, 0
	s_wait_loadcnt_dscnt 0x0
	s_barrier_signal -1
	s_barrier_wait -1
	global_inv scope:SCOPE_SE
	v_fma_f32 v6, v10, v6, 0
	s_delay_alu instid0(VALU_DEP_1) | instskip(NEXT) | instid1(VALU_DEP_1)
	v_fmac_f32_e32 v6, v2, v7
	v_fmac_f32_e32 v6, v3, v8
	s_delay_alu instid0(VALU_DEP_1)
	v_fmac_f32_e32 v6, v11, v9
	ds_store_b32 v39, v6
	s_wait_loadcnt_dscnt 0x0
	s_barrier_signal -1
	s_barrier_wait -1
	global_inv scope:SCOPE_SE
	s_and_saveexec_b32 s19, s10
	s_cbranch_execz .LBB81_29
; %bb.28:                               ;   in Loop: Header=BB81_4 Depth=1
	ds_load_2addr_b32 v[2:3], v36 offset1:1
	ds_load_2addr_b32 v[6:7], v36 offset0:2 offset1:3
	ds_load_2addr_b32 v[8:9], v36 offset0:4 offset1:5
	;; [unrolled: 1-line block ×3, first 2 shown]
	s_wait_dscnt 0x3
	v_add_f32_e32 v2, v2, v3
	s_wait_dscnt 0x2
	s_delay_alu instid0(VALU_DEP_1) | instskip(NEXT) | instid1(VALU_DEP_1)
	v_add_f32_e32 v2, v2, v6
	v_add_f32_e32 v2, v2, v7
	s_wait_dscnt 0x1
	s_delay_alu instid0(VALU_DEP_1) | instskip(NEXT) | instid1(VALU_DEP_1)
	v_add_f32_e32 v2, v2, v8
	;; [unrolled: 4-line block ×3, first 2 shown]
	v_add_f32_e32 v56, v2, v11
.LBB81_29:                              ;   in Loop: Header=BB81_4 Depth=1
	s_wait_alu 0xfffe
	s_or_b32 exec_lo, exec_lo, s19
	s_lshl_b64 s[90:91], s[48:49], 2
	v_cmp_ne_u32_e32 vcc_lo, 1, v32
	s_wait_alu 0xfffe
	v_add_co_u32 v0, s19, v0, s90
	s_wait_alu 0xf1ff
	v_add_co_ci_u32_e64 v1, null, s91, v1, s19
	s_and_b32 vcc_lo, exec_lo, vcc_lo
	s_mov_b32 s19, -1
	s_wait_loadcnt 0x0
	s_barrier_signal -1
	s_barrier_wait -1
	global_inv scope:SCOPE_SE
	s_wait_alu 0xfffe
	s_cbranch_vccnz .LBB81_31
; %bb.30:                               ;   in Loop: Header=BB81_4 Depth=1
	v_add_co_u32 v2, vcc_lo, v0, s48
	s_wait_alu 0xfffd
	v_add_co_ci_u32_e64 v3, null, s49, v1, vcc_lo
	s_mov_b32 s19, 0
	v_add_co_u32 v6, vcc_lo, v2, s48
	s_wait_alu 0xfffd
	v_add_co_ci_u32_e64 v7, null, s49, v3, vcc_lo
	s_delay_alu instid0(VALU_DEP_2) | instskip(SKIP_1) | instid1(VALU_DEP_2)
	v_add_co_u32 v8, vcc_lo, v6, s48
	s_wait_alu 0xfffd
	v_add_co_ci_u32_e64 v9, null, s49, v7, vcc_lo
	s_clause 0x3
	global_load_b32 v10, v[0:1], off offset:128
	global_load_b32 v2, v[2:3], off offset:128
	;; [unrolled: 1-line block ×4, first 2 shown]
	s_wait_loadcnt 0x3
	ds_store_b32 v49, v10
	s_wait_loadcnt 0x2
	ds_store_b32 v49, v2 offset:1056
	s_wait_loadcnt 0x1
	ds_store_b32 v49, v3 offset:2112
	;; [unrolled: 2-line block ×3, first 2 shown]
.LBB81_31:                              ;   in Loop: Header=BB81_4 Depth=1
	v_add_co_u32 v2, vcc_lo, 0x80, v0
	s_wait_alu 0xfffd
	v_add_co_ci_u32_e64 v3, null, 0, v1, vcc_lo
	s_wait_alu 0xfffe
	s_and_not1_b32 vcc_lo, exec_lo, s19
	s_wait_alu 0xfffe
	s_cbranch_vccnz .LBB81_41
; %bb.32:                               ;   in Loop: Header=BB81_4 Depth=1
	v_add_co_u32 v0, vcc_lo, v0, v18
	s_wait_alu 0xfffd
	v_add_co_ci_u32_e64 v1, null, v1, v19, vcc_lo
	s_lshl_b64 s[90:91], s[34:35], 2
	v_dual_mov_b32 v7, 0 :: v_dual_mov_b32 v6, 0
	s_wait_alu 0xfffe
	v_add_co_u32 v0, vcc_lo, v0, s90
	s_wait_alu 0xfffd
	v_add_co_ci_u32_e64 v1, null, s91, v1, vcc_lo
	s_delay_alu instid0(VALU_DEP_2) | instskip(SKIP_1) | instid1(VALU_DEP_2)
	v_add_co_u32 v0, vcc_lo, v0, -4
	s_wait_alu 0xfffd
	v_add_co_ci_u32_e64 v1, null, -1, v1, vcc_lo
	s_delay_alu instid0(VALU_DEP_2) | instskip(NEXT) | instid1(VALU_DEP_2)
	v_cndmask_b32_e64 v0, v0, v2, s11
	v_cndmask_b32_e64 v1, v1, v3, s11
	s_and_saveexec_b32 s19, s12
	s_cbranch_execz .LBB81_34
; %bb.33:                               ;   in Loop: Header=BB81_4 Depth=1
	global_load_b32 v6, v[0:1], off
.LBB81_34:                              ;   in Loop: Header=BB81_4 Depth=1
	s_wait_alu 0xfffe
	s_or_b32 exec_lo, exec_lo, s19
	s_wait_loadcnt 0x0
	ds_store_b32 v49, v6
	s_and_saveexec_b32 s19, s13
	s_cbranch_execz .LBB81_36
; %bb.35:                               ;   in Loop: Header=BB81_4 Depth=1
	v_add_co_u32 v6, vcc_lo, v0, s48
	s_wait_alu 0xfffd
	v_add_co_ci_u32_e64 v7, null, s49, v1, vcc_lo
	global_load_b32 v7, v[6:7], off
.LBB81_36:                              ;   in Loop: Header=BB81_4 Depth=1
	s_wait_alu 0xfffe
	s_or_b32 exec_lo, exec_lo, s19
	v_mov_b32_e32 v6, 0
	v_mov_b32_e32 v8, 0
	s_wait_loadcnt 0x0
	ds_store_b32 v49, v7 offset:1056
	s_and_saveexec_b32 s19, s14
	s_cbranch_execz .LBB81_38
; %bb.37:                               ;   in Loop: Header=BB81_4 Depth=1
	v_add_co_u32 v7, vcc_lo, v0, s50
	s_wait_alu 0xfffd
	v_add_co_ci_u32_e64 v8, null, s51, v1, vcc_lo
	global_load_b32 v8, v[7:8], off
.LBB81_38:                              ;   in Loop: Header=BB81_4 Depth=1
	s_wait_alu 0xfffe
	s_or_b32 exec_lo, exec_lo, s19
	s_wait_loadcnt 0x0
	ds_store_b32 v49, v8 offset:2112
	s_and_saveexec_b32 s19, s15
	s_cbranch_execz .LBB81_40
; %bb.39:                               ;   in Loop: Header=BB81_4 Depth=1
	v_add_co_u32 v6, vcc_lo, v0, s52
	s_wait_alu 0xfffd
	v_add_co_ci_u32_e64 v7, null, s53, v1, vcc_lo
	global_load_b32 v6, v[6:7], off
.LBB81_40:                              ;   in Loop: Header=BB81_4 Depth=1
	s_wait_alu 0xfffe
	s_or_b32 exec_lo, exec_lo, s19
	v_add_co_u32 v0, vcc_lo, v0, v54
	s_wait_alu 0xfffd
	v_add_co_ci_u32_e64 v1, null, 0, v1, vcc_lo
	s_lshl_b64 s[90:91], s[54:55], 2
	s_wait_loadcnt 0x0
	ds_store_b32 v49, v6 offset:3168
	s_wait_alu 0xfffe
	v_add_co_u32 v0, vcc_lo, v0, s90
	s_wait_alu 0xfffd
	v_add_co_ci_u32_e64 v1, null, s91, v1, vcc_lo
	s_delay_alu instid0(VALU_DEP_2) | instskip(SKIP_1) | instid1(VALU_DEP_2)
	v_add_co_u32 v0, vcc_lo, 0x84, v0
	s_wait_alu 0xfffd
	v_add_co_ci_u32_e64 v1, null, 0, v1, vcc_lo
	s_delay_alu instid0(VALU_DEP_2) | instskip(NEXT) | instid1(VALU_DEP_2)
	v_cndmask_b32_e64 v2, v0, v2, s11
	v_cndmask_b32_e64 v3, v1, v3, s11
.LBB81_41:                              ;   in Loop: Header=BB81_4 Depth=1
	s_wait_loadcnt_dscnt 0x0
	s_barrier_signal -1
	s_barrier_wait -1
	global_inv scope:SCOPE_SE
	s_and_saveexec_b32 s19, s6
	s_cbranch_execnz .LBB81_76
; %bb.42:                               ;   in Loop: Header=BB81_4 Depth=1
	s_wait_alu 0xfffe
	s_or_b32 exec_lo, exec_lo, s19
	s_and_saveexec_b32 s19, s7
	s_cbranch_execnz .LBB81_77
.LBB81_43:                              ;   in Loop: Header=BB81_4 Depth=1
	s_wait_alu 0xfffe
	s_or_b32 exec_lo, exec_lo, s19
	s_and_saveexec_b32 s19, s8
	s_cbranch_execnz .LBB81_78
.LBB81_44:                              ;   in Loop: Header=BB81_4 Depth=1
	s_wait_alu 0xfffe
	s_or_b32 exec_lo, exec_lo, s19
	s_and_saveexec_b32 s19, s9
	s_cbranch_execz .LBB81_46
.LBB81_45:                              ;   in Loop: Header=BB81_4 Depth=1
	ds_load_b32 v0, v51 offset:264
	s_wait_dscnt 0x0
	ds_store_b32 v37, v0 offset:12
.LBB81_46:                              ;   in Loop: Header=BB81_4 Depth=1
	s_wait_alu 0xfffe
	s_or_b32 exec_lo, exec_lo, s19
	s_wait_loadcnt_dscnt 0x0
	s_barrier_signal -1
	s_barrier_wait -1
	global_inv scope:SCOPE_SE
	ds_load_b32 v10, v50
	ds_load_b32 v11, v51 offset:264
	ds_load_b128 v[6:9], v38 offset:128
	ds_load_2addr_b32 v[0:1], v51 offset1:33
	s_wait_loadcnt_dscnt 0x0
	s_barrier_signal -1
	s_barrier_wait -1
	global_inv scope:SCOPE_SE
	v_fma_f32 v6, v10, v6, 0
	s_delay_alu instid0(VALU_DEP_1) | instskip(NEXT) | instid1(VALU_DEP_1)
	v_fmac_f32_e32 v6, v0, v7
	v_fmac_f32_e32 v6, v1, v8
	s_delay_alu instid0(VALU_DEP_1)
	v_fmac_f32_e32 v6, v11, v9
	ds_store_b32 v39, v6
	s_wait_loadcnt_dscnt 0x0
	s_barrier_signal -1
	s_barrier_wait -1
	global_inv scope:SCOPE_SE
	s_and_saveexec_b32 s19, s16
	s_cbranch_execz .LBB81_48
; %bb.47:                               ;   in Loop: Header=BB81_4 Depth=1
	ds_load_2addr_b32 v[0:1], v36 offset1:1
	ds_load_2addr_b32 v[6:7], v36 offset0:2 offset1:3
	ds_load_2addr_b32 v[8:9], v36 offset0:4 offset1:5
	;; [unrolled: 1-line block ×3, first 2 shown]
	s_wait_dscnt 0x3
	v_add_f32_e32 v0, v0, v1
	s_wait_dscnt 0x2
	s_delay_alu instid0(VALU_DEP_1) | instskip(NEXT) | instid1(VALU_DEP_1)
	v_add_f32_e32 v0, v0, v6
	v_add_f32_e32 v0, v0, v7
	s_wait_dscnt 0x1
	s_delay_alu instid0(VALU_DEP_1) | instskip(NEXT) | instid1(VALU_DEP_1)
	v_add_f32_e32 v0, v0, v8
	;; [unrolled: 4-line block ×3, first 2 shown]
	v_add_f32_e32 v56, v0, v11
.LBB81_48:                              ;   in Loop: Header=BB81_4 Depth=1
	s_wait_alu 0xfffe
	s_or_b32 exec_lo, exec_lo, s19
	v_cmp_ne_u32_e32 vcc_lo, 1, v32
	v_add_co_u32 v6, s19, v2, s84
	s_wait_alu 0xf1ff
	v_add_co_ci_u32_e64 v7, null, s85, v3, s19
	s_and_b32 vcc_lo, exec_lo, vcc_lo
	s_mov_b32 s19, -1
	s_wait_loadcnt 0x0
	s_barrier_signal -1
	s_barrier_wait -1
	global_inv scope:SCOPE_SE
	s_wait_alu 0xfffe
	s_cbranch_vccnz .LBB81_50
; %bb.49:                               ;   in Loop: Header=BB81_4 Depth=1
	v_add_co_u32 v0, vcc_lo, v6, s48
	s_wait_alu 0xfffd
	v_add_co_ci_u32_e64 v1, null, s49, v7, vcc_lo
	s_mov_b32 s19, 0
	v_add_co_u32 v2, vcc_lo, v0, s48
	s_wait_alu 0xfffd
	v_add_co_ci_u32_e64 v3, null, s49, v1, vcc_lo
	s_delay_alu instid0(VALU_DEP_2) | instskip(SKIP_1) | instid1(VALU_DEP_2)
	v_add_co_u32 v8, vcc_lo, v2, s48
	s_wait_alu 0xfffd
	v_add_co_ci_u32_e64 v9, null, s49, v3, vcc_lo
	s_clause 0x3
	global_load_b32 v10, v[6:7], off
	global_load_b32 v0, v[0:1], off
	;; [unrolled: 1-line block ×4, first 2 shown]
	s_wait_loadcnt 0x3
	ds_store_b32 v49, v10
	s_wait_loadcnt 0x2
	ds_store_b32 v49, v0 offset:1056
	s_wait_loadcnt 0x1
	ds_store_b32 v49, v1 offset:2112
	;; [unrolled: 2-line block ×3, first 2 shown]
.LBB81_50:                              ;   in Loop: Header=BB81_4 Depth=1
	s_wait_alu 0xfffe
	s_and_not1_b32 vcc_lo, exec_lo, s19
	s_wait_alu 0xfffe
	s_cbranch_vccnz .LBB81_60
; %bb.51:                               ;   in Loop: Header=BB81_4 Depth=1
	v_add_co_u32 v0, vcc_lo, v6, v18
	s_wait_alu 0xfffd
	v_add_co_ci_u32_e64 v1, null, v7, v19, vcc_lo
	s_lshl_b64 s[90:91], s[34:35], 2
	v_dual_mov_b32 v3, 0 :: v_dual_mov_b32 v2, 0
	s_wait_alu 0xfffe
	v_add_co_u32 v0, vcc_lo, v0, s90
	s_wait_alu 0xfffd
	v_add_co_ci_u32_e64 v1, null, s91, v1, vcc_lo
	s_delay_alu instid0(VALU_DEP_2) | instskip(SKIP_1) | instid1(VALU_DEP_2)
	v_add_co_u32 v0, vcc_lo, 0xffffff7c, v0
	s_wait_alu 0xfffd
	v_add_co_ci_u32_e64 v1, null, -1, v1, vcc_lo
	s_delay_alu instid0(VALU_DEP_2) | instskip(NEXT) | instid1(VALU_DEP_2)
	v_cndmask_b32_e64 v0, v0, v6, s11
	v_cndmask_b32_e64 v1, v1, v7, s11
	s_and_saveexec_b32 s19, s2
	s_cbranch_execz .LBB81_53
; %bb.52:                               ;   in Loop: Header=BB81_4 Depth=1
	global_load_b32 v2, v[0:1], off
.LBB81_53:                              ;   in Loop: Header=BB81_4 Depth=1
	s_wait_alu 0xfffe
	s_or_b32 exec_lo, exec_lo, s19
	s_wait_loadcnt 0x0
	ds_store_b32 v49, v2
	s_and_saveexec_b32 s19, s3
	s_cbranch_execz .LBB81_55
; %bb.54:                               ;   in Loop: Header=BB81_4 Depth=1
	v_add_co_u32 v2, vcc_lo, v0, s48
	s_wait_alu 0xfffd
	v_add_co_ci_u32_e64 v3, null, s49, v1, vcc_lo
	global_load_b32 v3, v[2:3], off
.LBB81_55:                              ;   in Loop: Header=BB81_4 Depth=1
	s_wait_alu 0xfffe
	s_or_b32 exec_lo, exec_lo, s19
	v_mov_b32_e32 v2, 0
	v_mov_b32_e32 v8, 0
	s_wait_loadcnt 0x0
	ds_store_b32 v49, v3 offset:1056
	s_and_saveexec_b32 s19, s4
	s_cbranch_execz .LBB81_57
; %bb.56:                               ;   in Loop: Header=BB81_4 Depth=1
	v_add_co_u32 v8, vcc_lo, v0, s50
	s_wait_alu 0xfffd
	v_add_co_ci_u32_e64 v9, null, s51, v1, vcc_lo
	global_load_b32 v8, v[8:9], off
.LBB81_57:                              ;   in Loop: Header=BB81_4 Depth=1
	s_wait_alu 0xfffe
	s_or_b32 exec_lo, exec_lo, s19
	s_wait_loadcnt 0x0
	ds_store_b32 v49, v8 offset:2112
	s_and_saveexec_b32 s19, s5
	s_cbranch_execz .LBB81_59
; %bb.58:                               ;   in Loop: Header=BB81_4 Depth=1
	v_add_co_u32 v2, vcc_lo, v0, s52
	s_wait_alu 0xfffd
	v_add_co_ci_u32_e64 v3, null, s53, v1, vcc_lo
	global_load_b32 v2, v[2:3], off
.LBB81_59:                              ;   in Loop: Header=BB81_4 Depth=1
	s_wait_alu 0xfffe
	s_or_b32 exec_lo, exec_lo, s19
	v_add_co_u32 v0, vcc_lo, v0, v54
	s_wait_alu 0xfffd
	v_add_co_ci_u32_e64 v1, null, 0, v1, vcc_lo
	s_lshl_b64 s[90:91], s[54:55], 2
	s_wait_loadcnt 0x0
	ds_store_b32 v49, v2 offset:3168
	s_wait_alu 0xfffe
	v_add_co_u32 v0, vcc_lo, v0, s90
	s_wait_alu 0xfffd
	v_add_co_ci_u32_e64 v1, null, s91, v1, vcc_lo
	s_delay_alu instid0(VALU_DEP_2) | instskip(SKIP_1) | instid1(VALU_DEP_2)
	v_add_co_u32 v0, vcc_lo, 0x84, v0
	s_wait_alu 0xfffd
	v_add_co_ci_u32_e64 v1, null, 0, v1, vcc_lo
	s_delay_alu instid0(VALU_DEP_2) | instskip(NEXT) | instid1(VALU_DEP_2)
	v_cndmask_b32_e64 v6, v0, v6, s11
	v_cndmask_b32_e64 v7, v1, v7, s11
.LBB81_60:                              ;   in Loop: Header=BB81_4 Depth=1
	s_wait_loadcnt_dscnt 0x0
	s_barrier_signal -1
	s_barrier_wait -1
	global_inv scope:SCOPE_SE
	ds_load_b32 v0, v49
	ds_load_b32 v1, v52
	ds_load_2addr_b32 v[12:13], v48 offset0:8 offset1:16
	ds_load_b32 v14, v49 offset:1056
	ds_load_b32 v15, v49 offset:2112
	;; [unrolled: 1-line block ×4, first 2 shown]
	s_wait_dscnt 0x5
	v_fma_f32 v27, v0, v1, 0
	ds_load_2addr_b32 v[10:11], v40 offset1:1
	ds_load_b128 v[0:3], v38 offset:128
	ds_load_2addr_b32 v[8:9], v40 offset0:2 offset1:3
	s_wait_loadcnt_dscnt 0x0
	s_barrier_signal -1
	s_barrier_wait -1
	v_fmac_f32_e32 v27, v14, v12
	global_inv scope:SCOPE_SE
	v_fmac_f32_e32 v27, v15, v13
	s_delay_alu instid0(VALU_DEP_1)
	v_fmac_f32_e32 v27, v16, v26
	ds_store_b32 v39, v27
	s_wait_loadcnt_dscnt 0x0
	s_barrier_signal -1
	s_barrier_wait -1
	global_inv scope:SCOPE_SE
	s_and_saveexec_b32 s19, s16
	s_cbranch_execz .LBB81_62
; %bb.61:                               ;   in Loop: Header=BB81_4 Depth=1
	ds_load_2addr_b32 v[12:13], v36 offset1:1
	ds_load_2addr_b32 v[14:15], v36 offset0:2 offset1:3
	ds_load_2addr_b32 v[26:27], v36 offset0:4 offset1:5
	;; [unrolled: 1-line block ×3, first 2 shown]
	s_wait_dscnt 0x3
	v_add_f32_e32 v12, v56, v12
	s_delay_alu instid0(VALU_DEP_1) | instskip(SKIP_1) | instid1(VALU_DEP_1)
	v_add_f32_e32 v12, v12, v13
	s_wait_dscnt 0x2
	v_add_f32_e32 v12, v12, v14
	s_delay_alu instid0(VALU_DEP_1) | instskip(SKIP_1) | instid1(VALU_DEP_1)
	v_add_f32_e32 v12, v12, v15
	;; [unrolled: 4-line block ×3, first 2 shown]
	s_wait_dscnt 0x0
	v_add_f32_e32 v12, v12, v57
	s_delay_alu instid0(VALU_DEP_1)
	v_add_f32_e32 v56, v12, v58
.LBB81_62:                              ;   in Loop: Header=BB81_4 Depth=1
	s_wait_alu 0xfffe
	s_or_b32 exec_lo, exec_lo, s19
	v_fma_f32 v0, v10, v0, 0
	s_wait_loadcnt 0x0
	s_barrier_signal -1
	s_barrier_wait -1
	global_inv scope:SCOPE_SE
	v_fmac_f32_e32 v0, v11, v1
	s_delay_alu instid0(VALU_DEP_1) | instskip(NEXT) | instid1(VALU_DEP_1)
	v_fmac_f32_e32 v0, v8, v2
	v_fmac_f32_e32 v0, v9, v3
	ds_store_b32 v39, v0
	s_wait_loadcnt_dscnt 0x0
	s_barrier_signal -1
	s_barrier_wait -1
	global_inv scope:SCOPE_SE
	s_and_saveexec_b32 s19, s10
	s_cbranch_execz .LBB81_64
; %bb.63:                               ;   in Loop: Header=BB81_4 Depth=1
	ds_load_2addr_b32 v[0:1], v36 offset1:1
	ds_load_2addr_b32 v[2:3], v36 offset0:2 offset1:3
	ds_load_2addr_b32 v[8:9], v36 offset0:4 offset1:5
	;; [unrolled: 1-line block ×3, first 2 shown]
	s_wait_dscnt 0x3
	v_add_f32_e32 v0, v56, v0
	s_delay_alu instid0(VALU_DEP_1) | instskip(SKIP_1) | instid1(VALU_DEP_1)
	v_add_f32_e32 v0, v0, v1
	s_wait_dscnt 0x2
	v_add_f32_e32 v0, v0, v2
	s_delay_alu instid0(VALU_DEP_1) | instskip(SKIP_1) | instid1(VALU_DEP_1)
	v_add_f32_e32 v0, v0, v3
	s_wait_dscnt 0x1
	v_add_f32_e32 v0, v0, v8
	s_delay_alu instid0(VALU_DEP_1) | instskip(SKIP_1) | instid1(VALU_DEP_1)
	v_add_f32_e32 v0, v0, v9
	s_wait_dscnt 0x0
	v_add_f32_e32 v0, v0, v10
	s_delay_alu instid0(VALU_DEP_1)
	v_add_f32_e32 v56, v0, v11
.LBB81_64:                              ;   in Loop: Header=BB81_4 Depth=1
	s_wait_alu 0xfffe
	s_or_b32 exec_lo, exec_lo, s19
	s_mul_u64 s[90:91], s[40:41], s[28:29]
	s_and_not1_b32 vcc_lo, exec_lo, s93
	s_wait_alu 0xfffe
	s_lshl_b64 s[90:91], s[90:91], 2
	s_wait_loadcnt 0x0
	s_wait_alu 0xfffe
	s_add_nc_u64 s[90:91], s[42:43], s[90:91]
	s_barrier_signal -1
	s_barrier_wait -1
	global_inv scope:SCOPE_SE
	s_cbranch_vccnz .LBB81_71
; %bb.65:                               ;   in Loop: Header=BB81_4 Depth=1
	v_add_co_u32 v0, vcc_lo, v6, s88
	s_wait_alu 0xfffd
	v_add_co_ci_u32_e64 v1, null, s89, v7, vcc_lo
	s_lshl_b64 s[96:97], s[34:35], 2
	v_add_co_u32 v0, vcc_lo, v0, v20
	s_wait_alu 0xfffd
	v_add_co_ci_u32_e64 v1, null, v1, v21, vcc_lo
	s_mov_b32 s19, ttmp9
	v_add_co_u32 v0, vcc_lo, v0, v22
	s_wait_alu 0xfffd
	v_add_co_ci_u32_e64 v1, null, v1, v23, vcc_lo
	s_mov_b32 s30, 0
	s_wait_alu 0xfffe
	v_add_co_u32 v2, vcc_lo, v0, s96
	s_wait_alu 0xfffd
	v_add_co_ci_u32_e64 v3, null, s97, v1, vcc_lo
	v_add_co_u32 v0, vcc_lo, v0, v55
	s_wait_alu 0xfffd
	v_add_co_ci_u32_e64 v1, null, 0, v1, vcc_lo
	v_add_co_u32 v2, vcc_lo, 0xffffff7c, v2
	s_wait_alu 0xfffd
	v_add_co_ci_u32_e64 v3, null, -1, v3, vcc_lo
	v_add_co_u32 v0, vcc_lo, 0xffffff80, v0
	s_wait_alu 0xfffd
	v_add_co_ci_u32_e64 v1, null, -1, v1, vcc_lo
	v_add_co_u32 v57, vcc_lo, v4, s86
	s_wait_alu 0xfffd
	v_add_co_ci_u32_e64 v58, null, s87, v5, vcc_lo
	s_delay_alu instid0(VALU_DEP_3)
	v_cndmask_b32_e64 v27, v1, v3, s17
	v_cndmask_b32_e64 v26, v0, v2, s17
	s_branch .LBB81_67
.LBB81_66:                              ;   in Loop: Header=BB81_67 Depth=2
	s_or_b32 exec_lo, exec_lo, s29
	v_fmac_f32_e32 v56, v62, v0
	v_add_co_u32 v26, vcc_lo, v26, s58
	s_wait_alu 0xfffd
	v_add_co_ci_u32_e64 v27, null, s59, v27, vcc_lo
	s_delay_alu instid0(VALU_DEP_3)
	v_fmac_f32_e32 v56, v60, v1
	s_wait_alu 0xfffe
	s_add_co_i32 s19, s19, -1
	s_add_co_i32 s30, s30, 64
	s_wait_alu 0xfffe
	s_cmp_eq_u32 s19, 0
	s_wait_loadcnt 0x0
	s_wait_storecnt 0x0
	v_fmac_f32_e32 v56, v59, v2
	s_barrier_signal -1
	s_barrier_wait -1
	global_inv scope:SCOPE_SE
	v_fmac_f32_e32 v56, v61, v3
	s_delay_alu instid0(VALU_DEP_1) | instskip(NEXT) | instid1(VALU_DEP_1)
	v_fmac_f32_e32 v56, v66, v4
	v_fmac_f32_e32 v56, v64, v5
	s_delay_alu instid0(VALU_DEP_1) | instskip(NEXT) | instid1(VALU_DEP_1)
	v_fmac_f32_e32 v56, v63, v6
	;; [unrolled: 3-line block ×6, first 2 shown]
	v_fmac_f32_e32 v56, v71, v15
	s_cbranch_scc1 .LBB81_71
.LBB81_67:                              ;   Parent Loop BB81_4 Depth=1
                                        ; =>  This Inner Loop Header: Depth=2
	s_and_saveexec_b32 s29, s0
	s_cbranch_execz .LBB81_69
; %bb.68:                               ;   in Loop: Header=BB81_67 Depth=2
	s_mul_u64 s[96:97], s[20:21], s[30:31]
	s_wait_alu 0xfffe
	s_lshl_b64 s[96:97], s[96:97], 2
	s_wait_alu 0xfffe
	v_add_co_u32 v0, vcc_lo, v57, s96
	s_wait_alu 0xfffd
	v_add_co_ci_u32_e64 v1, null, s97, v58, vcc_lo
	global_load_b32 v0, v[0:1], off
	s_wait_loadcnt 0x0
	ds_store_b32 v41, v0
.LBB81_69:                              ;   in Loop: Header=BB81_67 Depth=2
	s_or_b32 exec_lo, exec_lo, s29
	v_add_co_u32 v0, vcc_lo, v26, s56
	s_wait_alu 0xfffd
	v_add_co_ci_u32_e64 v1, null, s57, v27, vcc_lo
	v_add_co_u32 v2, vcc_lo, v26, s60
	s_wait_alu 0xfffd
	v_add_co_ci_u32_e64 v3, null, s61, v27, vcc_lo
	;; [unrolled: 3-line block ×3, first 2 shown]
	s_wait_loadcnt_dscnt 0x0
	s_barrier_signal -1
	s_barrier_wait -1
	global_inv scope:SCOPE_SE
	s_clause 0x3
	global_load_b32 v62, v[26:27], off
	global_load_b32 v60, v[0:1], off
	global_load_b32 v59, v[2:3], off
	global_load_b32 v61, v[4:5], off
	ds_load_b32 v10, v33
	ds_load_b128 v[0:3], v42
	v_add_co_u32 v4, vcc_lo, v26, s50
	s_wait_alu 0xfffd
	v_add_co_ci_u32_e64 v5, null, s51, v27, vcc_lo
	v_add_co_u32 v6, vcc_lo, v26, s44
	s_wait_alu 0xfffd
	v_add_co_ci_u32_e64 v7, null, s45, v27, vcc_lo
	;; [unrolled: 3-line block ×3, first 2 shown]
	s_wait_loadcnt_dscnt 0x301
	v_mul_f32_e32 v12, v62, v10
	s_wait_loadcnt 0x2
	v_mul_f32_e32 v13, v60, v10
	s_wait_loadcnt 0x1
	;; [unrolled: 2-line block ×3, first 2 shown]
	v_mul_f32_e32 v15, v61, v10
	v_add_co_u32 v10, vcc_lo, v26, s66
	s_wait_alu 0xfffd
	v_add_co_ci_u32_e64 v11, null, s67, v27, vcc_lo
	ds_store_2addr_b32 v43, v12, v13 offset1:67
	ds_store_2addr_b32 v43, v14, v15 offset0:134 offset1:201
	s_wait_dscnt 0x0
	s_barrier_signal -1
	s_barrier_wait -1
	global_inv scope:SCOPE_SE
	ds_load_2addr_b32 v[75:76], v53 offset1:1
	ds_load_2addr_b32 v[77:78], v53 offset0:2 offset1:3
	s_wait_loadcnt_dscnt 0x0
	s_barrier_signal -1
	s_barrier_wait -1
	global_inv scope:SCOPE_SE
	s_clause 0x3
	global_load_b32 v66, v[4:5], off
	global_load_b32 v64, v[6:7], off
	;; [unrolled: 1-line block ×4, first 2 shown]
	ds_load_b32 v14, v33
	ds_load_b128 v[4:7], v42 offset:64
	v_add_co_u32 v8, vcc_lo, v26, s82
	s_wait_alu 0xfffd
	v_add_co_ci_u32_e64 v9, null, s83, v27, vcc_lo
	v_add_co_u32 v10, vcc_lo, v26, s80
	s_wait_alu 0xfffd
	v_add_co_ci_u32_e64 v11, null, s81, v27, vcc_lo
	;; [unrolled: 3-line block ×3, first 2 shown]
	s_wait_loadcnt_dscnt 0x301
	v_mul_f32_e32 v16, v66, v14
	s_wait_loadcnt 0x2
	v_mul_f32_e32 v67, v64, v14
	s_wait_loadcnt 0x1
	;; [unrolled: 2-line block ×3, first 2 shown]
	v_mul_f32_e32 v69, v65, v14
	v_add_co_u32 v14, vcc_lo, v26, s70
	s_wait_alu 0xfffd
	v_add_co_ci_u32_e64 v15, null, s71, v27, vcc_lo
	ds_store_2addr_b32 v43, v16, v67 offset1:67
	ds_store_2addr_b32 v43, v68, v69 offset0:134 offset1:201
	s_wait_dscnt 0x0
	s_barrier_signal -1
	s_barrier_wait -1
	global_inv scope:SCOPE_SE
	ds_load_2addr_b32 v[79:80], v53 offset1:1
	ds_load_2addr_b32 v[81:82], v53 offset0:2 offset1:3
	s_wait_loadcnt_dscnt 0x0
	s_barrier_signal -1
	s_barrier_wait -1
	global_inv scope:SCOPE_SE
	s_clause 0x3
	global_load_b32 v70, v[8:9], off
	global_load_b32 v68, v[10:11], off
	;; [unrolled: 1-line block ×4, first 2 shown]
	ds_load_b32 v16, v33
	ds_load_b128 v[8:11], v42 offset:128
	v_add_co_u32 v12, vcc_lo, v26, s78
	s_wait_alu 0xfffd
	v_add_co_ci_u32_e64 v13, null, s79, v27, vcc_lo
	v_add_co_u32 v14, vcc_lo, v26, s76
	s_wait_alu 0xfffd
	v_add_co_ci_u32_e64 v15, null, s77, v27, vcc_lo
	;; [unrolled: 3-line block ×4, first 2 shown]
	s_wait_loadcnt_dscnt 0x301
	v_mul_f32_e32 v73, v70, v16
	s_wait_loadcnt 0x2
	v_mul_f32_e32 v74, v68, v16
	s_wait_loadcnt 0x1
	;; [unrolled: 2-line block ×3, first 2 shown]
	v_mul_f32_e32 v16, v69, v16
	ds_store_2addr_b32 v43, v73, v74 offset1:67
	ds_store_2addr_b32 v43, v85, v16 offset0:134 offset1:201
	s_wait_dscnt 0x0
	s_barrier_signal -1
	s_barrier_wait -1
	global_inv scope:SCOPE_SE
	ds_load_2addr_b32 v[85:86], v53 offset1:1
	ds_load_2addr_b32 v[87:88], v53 offset0:2 offset1:3
	s_wait_loadcnt_dscnt 0x0
	s_barrier_signal -1
	s_barrier_wait -1
	global_inv scope:SCOPE_SE
	s_clause 0x3
	global_load_b32 v74, v[12:13], off
	global_load_b32 v73, v[14:15], off
	;; [unrolled: 1-line block ×4, first 2 shown]
	ds_load_b32 v16, v33
	ds_load_b128 v[12:15], v42 offset:192
	s_wait_loadcnt_dscnt 0x301
	v_mul_f32_e32 v83, v74, v16
	s_wait_loadcnt 0x2
	v_mul_f32_e32 v84, v73, v16
	s_wait_loadcnt 0x1
	;; [unrolled: 2-line block ×3, first 2 shown]
	v_mul_f32_e32 v16, v71, v16
	ds_store_2addr_b32 v43, v83, v84 offset1:67
	ds_store_2addr_b32 v43, v89, v16 offset0:134 offset1:201
	s_wait_dscnt 0x0
	s_barrier_signal -1
	s_barrier_wait -1
	global_inv scope:SCOPE_SE
	ds_load_2addr_b32 v[83:84], v53 offset1:1
	ds_load_2addr_b32 v[89:90], v53 offset0:2 offset1:3
	v_add_f32_e32 v16, 0, v75
	v_add_f32_e32 v75, 0, v79
	;; [unrolled: 1-line block ×3, first 2 shown]
	s_wait_loadcnt_dscnt 0x0
	s_barrier_signal -1
	v_add_f32_e32 v16, v16, v76
	v_add_f32_e32 v75, v75, v80
	;; [unrolled: 1-line block ×3, first 2 shown]
	s_barrier_wait -1
	global_inv scope:SCOPE_SE
	v_add_f32_e32 v16, v16, v77
	v_dual_add_f32 v75, v75, v81 :: v_dual_add_f32 v76, v76, v87
	s_delay_alu instid0(VALU_DEP_2) | instskip(NEXT) | instid1(VALU_DEP_2)
	v_add_f32_e32 v16, v16, v78
	v_dual_add_f32 v75, v75, v82 :: v_dual_add_f32 v76, v76, v88
	v_add_f32_e32 v83, 0, v83
	s_delay_alu instid0(VALU_DEP_1) | instskip(NEXT) | instid1(VALU_DEP_1)
	v_add_f32_e32 v79, v83, v84
	v_add_f32_e32 v77, v79, v89
	s_delay_alu instid0(VALU_DEP_1)
	v_add_f32_e32 v77, v77, v90
	ds_store_2addr_b32 v44, v16, v75 offset1:16
	ds_store_2addr_b32 v44, v76, v77 offset0:32 offset1:48
	s_wait_loadcnt_dscnt 0x0
	s_barrier_signal -1
	s_barrier_wait -1
	global_inv scope:SCOPE_SE
	s_and_saveexec_b32 s29, s18
	s_cbranch_execz .LBB81_66
; %bb.70:                               ;   in Loop: Header=BB81_67 Depth=2
	ds_load_2addr_b32 v[75:76], v45 offset1:1
	ds_load_2addr_b32 v[77:78], v45 offset0:2 offset1:3
	ds_load_2addr_b32 v[79:80], v45 offset0:4 offset1:5
	;; [unrolled: 1-line block ×3, first 2 shown]
	s_wait_dscnt 0x3
	v_add_f32_e32 v16, v75, v76
	ds_load_2addr_b32 v[75:76], v45 offset0:8 offset1:9
	s_wait_dscnt 0x3
	v_add_f32_e32 v16, v16, v77
	s_delay_alu instid0(VALU_DEP_1) | instskip(SKIP_3) | instid1(VALU_DEP_1)
	v_add_f32_e32 v16, v16, v78
	ds_load_2addr_b32 v[77:78], v45 offset0:10 offset1:11
	s_wait_dscnt 0x3
	v_add_f32_e32 v16, v16, v79
	v_add_f32_e32 v16, v16, v80
	s_wait_dscnt 0x2
	s_delay_alu instid0(VALU_DEP_1) | instskip(SKIP_4) | instid1(VALU_DEP_1)
	v_add_f32_e32 v16, v16, v81
	ds_load_2addr_b32 v[79:80], v45 offset0:12 offset1:13
	ds_load_b32 v81, v45 offset:56
	v_add_f32_e32 v16, v16, v82
	s_wait_dscnt 0x3
	v_add_f32_e32 v16, v16, v75
	s_delay_alu instid0(VALU_DEP_1) | instskip(SKIP_1) | instid1(VALU_DEP_1)
	v_add_f32_e32 v16, v16, v76
	s_wait_dscnt 0x2
	v_add_f32_e32 v16, v16, v77
	ds_load_b32 v77, v46
	v_add_f32_e32 v16, v16, v78
	s_wait_dscnt 0x2
	s_delay_alu instid0(VALU_DEP_1) | instskip(NEXT) | instid1(VALU_DEP_1)
	v_add_f32_e32 v16, v16, v79
	v_add_f32_e32 v75, v16, v80
	v_add_nc_u32_e32 v16, s30, v28
	s_wait_dscnt 0x1
	s_delay_alu instid0(VALU_DEP_2) | instskip(NEXT) | instid1(VALU_DEP_2)
	v_add_f32_e32 v78, v75, v81
	v_lshlrev_b64_e32 v[75:76], 2, v[16:17]
	s_wait_dscnt 0x0
	s_delay_alu instid0(VALU_DEP_2) | instskip(SKIP_1) | instid1(VALU_DEP_2)
	v_add_f32_e32 v16, v78, v77
	s_wait_alu 0xfffe
	v_add_co_u32 v75, vcc_lo, s90, v75
	s_wait_alu 0xfffd
	v_add_co_ci_u32_e64 v76, null, s91, v76, vcc_lo
	global_store_b32 v[75:76], v16, off
	s_branch .LBB81_66
.LBB81_71:                              ;   in Loop: Header=BB81_4 Depth=1
	ds_store_b32 v47, v56
	s_wait_loadcnt_dscnt 0x0
	s_barrier_signal -1
	s_barrier_wait -1
	global_inv scope:SCOPE_SE
	s_and_saveexec_b32 s19, s94
	s_cbranch_execz .LBB81_2
; %bb.72:                               ;   in Loop: Header=BB81_4 Depth=1
	ds_load_2addr_b32 v[0:1], v31 offset1:67
	ds_load_2addr_b32 v[2:3], v31 offset0:134 offset1:201
	s_wait_dscnt 0x1
	v_add_f32_e32 v0, v0, v1
	s_wait_dscnt 0x0
	s_delay_alu instid0(VALU_DEP_1) | instskip(NEXT) | instid1(VALU_DEP_1)
	v_add_f32_e32 v0, v0, v2
	v_add_f32_e32 v2, v0, v3
	s_wait_alu 0xfffe
	v_add_co_u32 v0, vcc_lo, s90, v24
	s_wait_alu 0xfffd
	v_add_co_ci_u32_e64 v1, null, s91, v25, vcc_lo
	global_store_b32 v[0:1], v2, off
	s_branch .LBB81_2
.LBB81_73:                              ;   in Loop: Header=BB81_4 Depth=1
	ds_load_b32 v2, v50
	s_wait_dscnt 0x0
	ds_store_b32 v37, v2
	s_wait_alu 0xfffe
	s_or_b32 exec_lo, exec_lo, s19
	s_and_saveexec_b32 s19, s7
	s_cbranch_execz .LBB81_24
.LBB81_74:                              ;   in Loop: Header=BB81_4 Depth=1
	ds_load_b32 v2, v51
	s_wait_dscnt 0x0
	ds_store_b32 v37, v2 offset:4
	s_wait_alu 0xfffe
	s_or_b32 exec_lo, exec_lo, s19
	s_and_saveexec_b32 s19, s8
	s_cbranch_execz .LBB81_25
.LBB81_75:                              ;   in Loop: Header=BB81_4 Depth=1
	ds_load_b32 v2, v51 offset:132
	s_wait_dscnt 0x0
	ds_store_b32 v37, v2 offset:8
	s_wait_alu 0xfffe
	s_or_b32 exec_lo, exec_lo, s19
	s_and_saveexec_b32 s19, s9
	s_cbranch_execnz .LBB81_26
	s_branch .LBB81_27
.LBB81_76:                              ;   in Loop: Header=BB81_4 Depth=1
	ds_load_b32 v0, v50
	s_wait_dscnt 0x0
	ds_store_b32 v37, v0
	s_wait_alu 0xfffe
	s_or_b32 exec_lo, exec_lo, s19
	s_and_saveexec_b32 s19, s7
	s_cbranch_execz .LBB81_43
.LBB81_77:                              ;   in Loop: Header=BB81_4 Depth=1
	ds_load_b32 v0, v51
	s_wait_dscnt 0x0
	ds_store_b32 v37, v0 offset:4
	s_wait_alu 0xfffe
	s_or_b32 exec_lo, exec_lo, s19
	s_and_saveexec_b32 s19, s8
	s_cbranch_execz .LBB81_44
.LBB81_78:                              ;   in Loop: Header=BB81_4 Depth=1
	ds_load_b32 v0, v51 offset:132
	s_wait_dscnt 0x0
	ds_store_b32 v37, v0 offset:8
	s_wait_alu 0xfffe
	s_or_b32 exec_lo, exec_lo, s19
	s_and_saveexec_b32 s19, s9
	s_cbranch_execnz .LBB81_45
	s_branch .LBB81_46
.LBB81_79:
	s_endpgm
	.section	.rodata,"a",@progbits
	.p2align	6, 0x0
	.amdhsa_kernel _ZL26rocblas_hemvn_kernel_lowerILb0ELi64ELi4ELi33ELi32ELi16ElPKfS1_PfEviT6_lT7_lT5_lS4_lS5_lS3_lT8_i
		.amdhsa_group_segment_fixed_size 4800
		.amdhsa_private_segment_fixed_size 0
		.amdhsa_kernarg_size 376
		.amdhsa_user_sgpr_count 2
		.amdhsa_user_sgpr_dispatch_ptr 0
		.amdhsa_user_sgpr_queue_ptr 0
		.amdhsa_user_sgpr_kernarg_segment_ptr 1
		.amdhsa_user_sgpr_dispatch_id 0
		.amdhsa_user_sgpr_private_segment_size 0
		.amdhsa_wavefront_size32 1
		.amdhsa_uses_dynamic_stack 0
		.amdhsa_enable_private_segment 0
		.amdhsa_system_sgpr_workgroup_id_x 1
		.amdhsa_system_sgpr_workgroup_id_y 0
		.amdhsa_system_sgpr_workgroup_id_z 1
		.amdhsa_system_sgpr_workgroup_info 0
		.amdhsa_system_vgpr_workitem_id 1
		.amdhsa_next_free_vgpr 91
		.amdhsa_next_free_sgpr 98
		.amdhsa_reserve_vcc 1
		.amdhsa_float_round_mode_32 0
		.amdhsa_float_round_mode_16_64 0
		.amdhsa_float_denorm_mode_32 3
		.amdhsa_float_denorm_mode_16_64 3
		.amdhsa_fp16_overflow 0
		.amdhsa_workgroup_processor_mode 1
		.amdhsa_memory_ordered 1
		.amdhsa_forward_progress 1
		.amdhsa_inst_pref_size 54
		.amdhsa_round_robin_scheduling 0
		.amdhsa_exception_fp_ieee_invalid_op 0
		.amdhsa_exception_fp_denorm_src 0
		.amdhsa_exception_fp_ieee_div_zero 0
		.amdhsa_exception_fp_ieee_overflow 0
		.amdhsa_exception_fp_ieee_underflow 0
		.amdhsa_exception_fp_ieee_inexact 0
		.amdhsa_exception_int_div_zero 0
	.end_amdhsa_kernel
	.section	.text._ZL26rocblas_hemvn_kernel_lowerILb0ELi64ELi4ELi33ELi32ELi16ElPKfS1_PfEviT6_lT7_lT5_lS4_lS5_lS3_lT8_i,"axG",@progbits,_ZL26rocblas_hemvn_kernel_lowerILb0ELi64ELi4ELi33ELi32ELi16ElPKfS1_PfEviT6_lT7_lT5_lS4_lS5_lS3_lT8_i,comdat
.Lfunc_end81:
	.size	_ZL26rocblas_hemvn_kernel_lowerILb0ELi64ELi4ELi33ELi32ELi16ElPKfS1_PfEviT6_lT7_lT5_lS4_lS5_lS3_lT8_i, .Lfunc_end81-_ZL26rocblas_hemvn_kernel_lowerILb0ELi64ELi4ELi33ELi32ELi16ElPKfS1_PfEviT6_lT7_lT5_lS4_lS5_lS3_lT8_i
                                        ; -- End function
	.set _ZL26rocblas_hemvn_kernel_lowerILb0ELi64ELi4ELi33ELi32ELi16ElPKfS1_PfEviT6_lT7_lT5_lS4_lS5_lS3_lT8_i.num_vgpr, 91
	.set _ZL26rocblas_hemvn_kernel_lowerILb0ELi64ELi4ELi33ELi32ELi16ElPKfS1_PfEviT6_lT7_lT5_lS4_lS5_lS3_lT8_i.num_agpr, 0
	.set _ZL26rocblas_hemvn_kernel_lowerILb0ELi64ELi4ELi33ELi32ELi16ElPKfS1_PfEviT6_lT7_lT5_lS4_lS5_lS3_lT8_i.numbered_sgpr, 98
	.set _ZL26rocblas_hemvn_kernel_lowerILb0ELi64ELi4ELi33ELi32ELi16ElPKfS1_PfEviT6_lT7_lT5_lS4_lS5_lS3_lT8_i.num_named_barrier, 0
	.set _ZL26rocblas_hemvn_kernel_lowerILb0ELi64ELi4ELi33ELi32ELi16ElPKfS1_PfEviT6_lT7_lT5_lS4_lS5_lS3_lT8_i.private_seg_size, 0
	.set _ZL26rocblas_hemvn_kernel_lowerILb0ELi64ELi4ELi33ELi32ELi16ElPKfS1_PfEviT6_lT7_lT5_lS4_lS5_lS3_lT8_i.uses_vcc, 1
	.set _ZL26rocblas_hemvn_kernel_lowerILb0ELi64ELi4ELi33ELi32ELi16ElPKfS1_PfEviT6_lT7_lT5_lS4_lS5_lS3_lT8_i.uses_flat_scratch, 0
	.set _ZL26rocblas_hemvn_kernel_lowerILb0ELi64ELi4ELi33ELi32ELi16ElPKfS1_PfEviT6_lT7_lT5_lS4_lS5_lS3_lT8_i.has_dyn_sized_stack, 0
	.set _ZL26rocblas_hemvn_kernel_lowerILb0ELi64ELi4ELi33ELi32ELi16ElPKfS1_PfEviT6_lT7_lT5_lS4_lS5_lS3_lT8_i.has_recursion, 0
	.set _ZL26rocblas_hemvn_kernel_lowerILb0ELi64ELi4ELi33ELi32ELi16ElPKfS1_PfEviT6_lT7_lT5_lS4_lS5_lS3_lT8_i.has_indirect_call, 0
	.section	.AMDGPU.csdata,"",@progbits
; Kernel info:
; codeLenInByte = 6880
; TotalNumSgprs: 100
; NumVgprs: 91
; ScratchSize: 0
; MemoryBound: 0
; FloatMode: 240
; IeeeMode: 1
; LDSByteSize: 4800 bytes/workgroup (compile time only)
; SGPRBlocks: 0
; VGPRBlocks: 11
; NumSGPRsForWavesPerEU: 100
; NumVGPRsForWavesPerEU: 91
; Occupancy: 16
; WaveLimiterHint : 0
; COMPUTE_PGM_RSRC2:SCRATCH_EN: 0
; COMPUTE_PGM_RSRC2:USER_SGPR: 2
; COMPUTE_PGM_RSRC2:TRAP_HANDLER: 0
; COMPUTE_PGM_RSRC2:TGID_X_EN: 1
; COMPUTE_PGM_RSRC2:TGID_Y_EN: 0
; COMPUTE_PGM_RSRC2:TGID_Z_EN: 1
; COMPUTE_PGM_RSRC2:TIDIG_COMP_CNT: 1
	.section	.text._ZL36rocblas_hemvn_kernel_lower_block_sumILi64ElPKfPffEviT1_lS3_lT2_lT0_lPT3_i,"axG",@progbits,_ZL36rocblas_hemvn_kernel_lower_block_sumILi64ElPKfPffEviT1_lS3_lT2_lT0_lPT3_i,comdat
	.globl	_ZL36rocblas_hemvn_kernel_lower_block_sumILi64ElPKfPffEviT1_lS3_lT2_lT0_lPT3_i ; -- Begin function _ZL36rocblas_hemvn_kernel_lower_block_sumILi64ElPKfPffEviT1_lS3_lT2_lT0_lPT3_i
	.p2align	8
	.type	_ZL36rocblas_hemvn_kernel_lower_block_sumILi64ElPKfPffEviT1_lS3_lT2_lT0_lPT3_i,@function
_ZL36rocblas_hemvn_kernel_lower_block_sumILi64ElPKfPffEviT1_lS3_lT2_lT0_lPT3_i: ; @_ZL36rocblas_hemvn_kernel_lower_block_sumILi64ElPKfPffEviT1_lS3_lT2_lT0_lPT3_i
; %bb.0:
	s_load_b32 s3, s[0:1], 0x50
	s_lshr_b32 s20, ttmp7, 16
	s_wait_kmcnt 0x0
	s_cmp_ge_u32 s20, s3
	s_cbranch_scc1 .LBB82_25
; %bb.1:
	s_clause 0x1
	s_load_b32 s22, s[0:1], 0x0
	s_load_b256 s[4:11], s[0:1], 0x30
	s_lshl_b32 s2, ttmp9, 6
	s_load_b64 s[24:25], s[0:1], 0x28
	v_or_b32_e32 v0, s2, v0
	s_load_b256 s[12:19], s[0:1], 0x8
	s_ashr_i32 s2, s2, 31
	s_add_nc_u64 s[0:1], s[0:1], 0x58
	s_mov_b32 s21, 0
	s_wait_kmcnt 0x0
	v_mad_co_u64_u32 v[1:2], null, s22, ttmp9, v[0:1]
	v_mul_lo_u32 v5, s7, v0
	v_mad_co_u64_u32 v[3:4], null, s6, v0, 0
	s_wait_alu 0xfffe
	s_mul_i32 s2, s6, s2
	s_lshl_b64 s[4:5], s[4:5], 2
	s_ashr_i32 s23, s22, 31
	s_delay_alu instid0(VALU_DEP_3)
	v_ashrrev_i32_e32 v2, 31, v1
	s_add_nc_u64 s[4:5], s[24:25], s[4:5]
	s_wait_alu 0xfffe
	s_lshl_b64 s[6:7], s[22:23], 2
	v_add3_u32 v4, v4, s2, v5
	v_cmp_gt_i32_e64 s2, s22, v0
	v_lshlrev_b64_e32 v[5:6], 2, v[1:2]
	s_delay_alu instid0(VALU_DEP_3) | instskip(NEXT) | instid1(VALU_DEP_2)
	v_lshlrev_b64_e32 v[0:1], 2, v[3:4]
	v_add_co_u32 v2, vcc_lo, s10, v5
	s_delay_alu instid0(VALU_DEP_1)
	v_add_co_ci_u32_e64 v3, null, s11, v6, vcc_lo
	s_branch .LBB82_4
.LBB82_2:                               ;   in Loop: Header=BB82_4 Depth=1
	s_wait_alu 0xfffe
	s_or_b32 exec_lo, exec_lo, s22
.LBB82_3:                               ;   in Loop: Header=BB82_4 Depth=1
	s_add_co_i32 s20, s20, 0x10000
	s_wait_alu 0xfffe
	s_cmp_lt_u32 s20, s3
	s_cbranch_scc0 .LBB82_25
.LBB82_4:                               ; =>This Loop Header: Depth=1
                                        ;     Child Loop BB82_16 Depth 2
	s_mul_u64 s[10:11], s[14:15], s[20:21]
	s_mul_u64 s[22:23], s[18:19], s[20:21]
	s_wait_alu 0xfffe
	s_lshl_b64 s[10:11], s[10:11], 2
	s_wait_alu 0xfffe
	s_add_nc_u64 s[10:11], s[12:13], s[10:11]
	s_load_b32 s24, s[10:11], 0x0
	s_lshl_b64 s[10:11], s[22:23], 2
	s_wait_alu 0xfffe
	s_add_nc_u64 s[10:11], s[16:17], s[10:11]
	s_load_b32 s25, s[10:11], 0x0
	s_wait_kmcnt 0x0
	s_cmp_eq_f32 s24, 0
	s_cselect_b32 s10, -1, 0
	s_cmp_eq_f32 s25, 1.0
	s_cselect_b32 s11, -1, 0
	s_wait_alu 0xfffe
	s_and_b32 s10, s10, s11
	s_wait_alu 0xfffe
	s_and_b32 vcc_lo, exec_lo, s10
	s_wait_alu 0xfffe
	s_cbranch_vccnz .LBB82_3
; %bb.5:                                ;   in Loop: Header=BB82_4 Depth=1
	s_mul_u64 s[10:11], s[8:9], s[20:21]
	s_wait_alu 0xfffe
	s_lshl_b64 s[10:11], s[10:11], 2
	s_cmp_neq_f32 s24, 0
	s_wait_alu 0xfffe
	s_add_nc_u64 s[10:11], s[4:5], s[10:11]
	s_cbranch_scc1 .LBB82_9
; %bb.6:                                ;   in Loop: Header=BB82_4 Depth=1
	s_mov_b32 s22, 0
	s_mov_b32 s26, 0
                                        ; implicit-def: $vgpr4
	s_and_saveexec_b32 s23, s2
	s_cbranch_execz .LBB82_10
; %bb.7:                                ;   in Loop: Header=BB82_4 Depth=1
	s_cmp_eq_f32 s25, 0
	s_cbranch_scc1 .LBB82_11
; %bb.8:                                ;   in Loop: Header=BB82_4 Depth=1
	s_wait_alu 0xfffe
	v_add_co_u32 v4, vcc_lo, s10, v0
	s_wait_alu 0xfffd
	v_add_co_ci_u32_e64 v5, null, s11, v1, vcc_lo
	global_load_b32 v4, v[4:5], off
	s_wait_loadcnt 0x0
	v_mul_f32_e32 v4, s25, v4
	s_branch .LBB82_12
.LBB82_9:                               ;   in Loop: Header=BB82_4 Depth=1
	s_mov_b32 s26, 0
                                        ; implicit-def: $vgpr4
	s_cbranch_execnz .LBB82_13
	s_branch .LBB82_22
.LBB82_10:                              ;   in Loop: Header=BB82_4 Depth=1
	s_wait_alu 0xfffe
	s_or_b32 exec_lo, exec_lo, s23
	s_delay_alu instid0(SALU_CYCLE_1)
	s_and_b32 vcc_lo, exec_lo, s22
	s_wait_alu 0xfffe
	s_cbranch_vccnz .LBB82_13
	s_branch .LBB82_22
.LBB82_11:                              ;   in Loop: Header=BB82_4 Depth=1
	v_mov_b32_e32 v4, 0
.LBB82_12:                              ;   in Loop: Header=BB82_4 Depth=1
	s_mov_b32 s26, exec_lo
	s_wait_alu 0xfffe
	s_or_b32 exec_lo, exec_lo, s23
	s_delay_alu instid0(SALU_CYCLE_1)
	s_and_b32 vcc_lo, exec_lo, s22
	s_wait_alu 0xfffe
	s_cbranch_vccz .LBB82_22
.LBB82_13:                              ;   in Loop: Header=BB82_4 Depth=1
                                        ; implicit-def: $vgpr4
	s_and_saveexec_b32 s27, s2
	s_cbranch_execz .LBB82_21
; %bb.14:                               ;   in Loop: Header=BB82_4 Depth=1
	s_load_b32 s22, s[0:1], 0x0
	v_mov_b32_e32 v6, 0
	s_wait_kmcnt 0x0
	s_cmp_ge_i32 ttmp9, s22
	s_cbranch_scc1 .LBB82_17
; %bb.15:                               ;   in Loop: Header=BB82_4 Depth=1
	s_mov_b32 s23, s21
	s_mov_b32 s28, ttmp9
	s_wait_alu 0xfffe
	s_mul_u64 s[30:31], s[6:7], s[22:23]
	s_wait_alu 0xfffe
	v_mad_co_u64_u32 v[4:5], null, s30, s20, v[2:3]
	s_delay_alu instid0(VALU_DEP_1)
	v_mad_co_u64_u32 v[5:6], null, s31, s20, v[5:6]
	v_mov_b32_e32 v6, 0
.LBB82_16:                              ;   Parent Loop BB82_4 Depth=1
                                        ; =>  This Inner Loop Header: Depth=2
	global_load_b32 v7, v[4:5], off
	v_add_co_u32 v4, vcc_lo, v4, s6
	s_wait_alu 0xfffd
	v_add_co_ci_u32_e64 v5, null, s7, v5, vcc_lo
	s_add_co_i32 s28, s28, 1
	s_delay_alu instid0(SALU_CYCLE_1)
	s_cmp_ge_i32 s28, s22
	s_wait_loadcnt 0x0
	v_add_f32_e32 v6, v6, v7
	s_cbranch_scc0 .LBB82_16
.LBB82_17:                              ;   in Loop: Header=BB82_4 Depth=1
	s_cmp_eq_f32 s25, 0
	s_cbranch_scc0 .LBB82_24
; %bb.18:                               ;   in Loop: Header=BB82_4 Depth=1
	s_delay_alu instid0(VALU_DEP_1)
	v_mul_f32_e32 v4, s24, v6
	s_cbranch_execnz .LBB82_20
.LBB82_19:                              ;   in Loop: Header=BB82_4 Depth=1
	v_add_co_u32 v4, vcc_lo, s10, v0
	s_wait_alu 0xfffd
	v_add_co_ci_u32_e64 v5, null, s11, v1, vcc_lo
	global_load_b32 v4, v[4:5], off
	s_wait_loadcnt 0x0
	v_mul_f32_e32 v4, s25, v4
	s_delay_alu instid0(VALU_DEP_1)
	v_fmac_f32_e32 v4, s24, v6
.LBB82_20:                              ;   in Loop: Header=BB82_4 Depth=1
	s_or_b32 s26, s26, exec_lo
.LBB82_21:                              ;   in Loop: Header=BB82_4 Depth=1
	s_or_b32 exec_lo, exec_lo, s27
.LBB82_22:                              ;   in Loop: Header=BB82_4 Depth=1
	s_and_saveexec_b32 s22, s26
	s_cbranch_execz .LBB82_2
; %bb.23:                               ;   in Loop: Header=BB82_4 Depth=1
	s_wait_alu 0xfffe
	v_add_co_u32 v5, vcc_lo, s10, v0
	s_wait_alu 0xfffd
	v_add_co_ci_u32_e64 v6, null, s11, v1, vcc_lo
	global_store_b32 v[5:6], v4, off
	s_branch .LBB82_2
.LBB82_24:                              ;   in Loop: Header=BB82_4 Depth=1
                                        ; implicit-def: $vgpr4
	s_branch .LBB82_19
.LBB82_25:
	s_endpgm
	.section	.rodata,"a",@progbits
	.p2align	6, 0x0
	.amdhsa_kernel _ZL36rocblas_hemvn_kernel_lower_block_sumILi64ElPKfPffEviT1_lS3_lT2_lT0_lPT3_i
		.amdhsa_group_segment_fixed_size 0
		.amdhsa_private_segment_fixed_size 0
		.amdhsa_kernarg_size 344
		.amdhsa_user_sgpr_count 2
		.amdhsa_user_sgpr_dispatch_ptr 0
		.amdhsa_user_sgpr_queue_ptr 0
		.amdhsa_user_sgpr_kernarg_segment_ptr 1
		.amdhsa_user_sgpr_dispatch_id 0
		.amdhsa_user_sgpr_private_segment_size 0
		.amdhsa_wavefront_size32 1
		.amdhsa_uses_dynamic_stack 0
		.amdhsa_enable_private_segment 0
		.amdhsa_system_sgpr_workgroup_id_x 1
		.amdhsa_system_sgpr_workgroup_id_y 0
		.amdhsa_system_sgpr_workgroup_id_z 1
		.amdhsa_system_sgpr_workgroup_info 0
		.amdhsa_system_vgpr_workitem_id 0
		.amdhsa_next_free_vgpr 8
		.amdhsa_next_free_sgpr 32
		.amdhsa_reserve_vcc 1
		.amdhsa_float_round_mode_32 0
		.amdhsa_float_round_mode_16_64 0
		.amdhsa_float_denorm_mode_32 3
		.amdhsa_float_denorm_mode_16_64 3
		.amdhsa_fp16_overflow 0
		.amdhsa_workgroup_processor_mode 1
		.amdhsa_memory_ordered 1
		.amdhsa_forward_progress 1
		.amdhsa_inst_pref_size 6
		.amdhsa_round_robin_scheduling 0
		.amdhsa_exception_fp_ieee_invalid_op 0
		.amdhsa_exception_fp_denorm_src 0
		.amdhsa_exception_fp_ieee_div_zero 0
		.amdhsa_exception_fp_ieee_overflow 0
		.amdhsa_exception_fp_ieee_underflow 0
		.amdhsa_exception_fp_ieee_inexact 0
		.amdhsa_exception_int_div_zero 0
	.end_amdhsa_kernel
	.section	.text._ZL36rocblas_hemvn_kernel_lower_block_sumILi64ElPKfPffEviT1_lS3_lT2_lT0_lPT3_i,"axG",@progbits,_ZL36rocblas_hemvn_kernel_lower_block_sumILi64ElPKfPffEviT1_lS3_lT2_lT0_lPT3_i,comdat
.Lfunc_end82:
	.size	_ZL36rocblas_hemvn_kernel_lower_block_sumILi64ElPKfPffEviT1_lS3_lT2_lT0_lPT3_i, .Lfunc_end82-_ZL36rocblas_hemvn_kernel_lower_block_sumILi64ElPKfPffEviT1_lS3_lT2_lT0_lPT3_i
                                        ; -- End function
	.set _ZL36rocblas_hemvn_kernel_lower_block_sumILi64ElPKfPffEviT1_lS3_lT2_lT0_lPT3_i.num_vgpr, 8
	.set _ZL36rocblas_hemvn_kernel_lower_block_sumILi64ElPKfPffEviT1_lS3_lT2_lT0_lPT3_i.num_agpr, 0
	.set _ZL36rocblas_hemvn_kernel_lower_block_sumILi64ElPKfPffEviT1_lS3_lT2_lT0_lPT3_i.numbered_sgpr, 32
	.set _ZL36rocblas_hemvn_kernel_lower_block_sumILi64ElPKfPffEviT1_lS3_lT2_lT0_lPT3_i.num_named_barrier, 0
	.set _ZL36rocblas_hemvn_kernel_lower_block_sumILi64ElPKfPffEviT1_lS3_lT2_lT0_lPT3_i.private_seg_size, 0
	.set _ZL36rocblas_hemvn_kernel_lower_block_sumILi64ElPKfPffEviT1_lS3_lT2_lT0_lPT3_i.uses_vcc, 1
	.set _ZL36rocblas_hemvn_kernel_lower_block_sumILi64ElPKfPffEviT1_lS3_lT2_lT0_lPT3_i.uses_flat_scratch, 0
	.set _ZL36rocblas_hemvn_kernel_lower_block_sumILi64ElPKfPffEviT1_lS3_lT2_lT0_lPT3_i.has_dyn_sized_stack, 0
	.set _ZL36rocblas_hemvn_kernel_lower_block_sumILi64ElPKfPffEviT1_lS3_lT2_lT0_lPT3_i.has_recursion, 0
	.set _ZL36rocblas_hemvn_kernel_lower_block_sumILi64ElPKfPffEviT1_lS3_lT2_lT0_lPT3_i.has_indirect_call, 0
	.section	.AMDGPU.csdata,"",@progbits
; Kernel info:
; codeLenInByte = 760
; TotalNumSgprs: 34
; NumVgprs: 8
; ScratchSize: 0
; MemoryBound: 0
; FloatMode: 240
; IeeeMode: 1
; LDSByteSize: 0 bytes/workgroup (compile time only)
; SGPRBlocks: 0
; VGPRBlocks: 0
; NumSGPRsForWavesPerEU: 34
; NumVGPRsForWavesPerEU: 8
; Occupancy: 16
; WaveLimiterHint : 0
; COMPUTE_PGM_RSRC2:SCRATCH_EN: 0
; COMPUTE_PGM_RSRC2:USER_SGPR: 2
; COMPUTE_PGM_RSRC2:TRAP_HANDLER: 0
; COMPUTE_PGM_RSRC2:TGID_X_EN: 1
; COMPUTE_PGM_RSRC2:TGID_Y_EN: 0
; COMPUTE_PGM_RSRC2:TGID_Z_EN: 1
; COMPUTE_PGM_RSRC2:TIDIG_COMP_CNT: 0
	.section	.text._ZL26rocblas_hemvn_kernel_lowerILb0ELi64ELi4ELi33ELi32ELi16EiPKfS1_PfEviT6_lT7_lT5_lS4_lS5_lS3_lT8_i,"axG",@progbits,_ZL26rocblas_hemvn_kernel_lowerILb0ELi64ELi4ELi33ELi32ELi16EiPKfS1_PfEviT6_lT7_lT5_lS4_lS5_lS3_lT8_i,comdat
	.globl	_ZL26rocblas_hemvn_kernel_lowerILb0ELi64ELi4ELi33ELi32ELi16EiPKfS1_PfEviT6_lT7_lT5_lS4_lS5_lS3_lT8_i ; -- Begin function _ZL26rocblas_hemvn_kernel_lowerILb0ELi64ELi4ELi33ELi32ELi16EiPKfS1_PfEviT6_lT7_lT5_lS4_lS5_lS3_lT8_i
	.p2align	8
	.type	_ZL26rocblas_hemvn_kernel_lowerILb0ELi64ELi4ELi33ELi32ELi16EiPKfS1_PfEviT6_lT7_lT5_lS4_lS5_lS3_lT8_i,@function
_ZL26rocblas_hemvn_kernel_lowerILb0ELi64ELi4ELi33ELi32ELi16EiPKfS1_PfEviT6_lT7_lT5_lS4_lS5_lS3_lT8_i: ; @_ZL26rocblas_hemvn_kernel_lowerILb0ELi64ELi4ELi33ELi32ELi16EiPKfS1_PfEviT6_lT7_lT5_lS4_lS5_lS3_lT8_i
; %bb.0:
	s_clause 0x1
	s_load_b64 s[2:3], s[0:1], 0x84
	s_load_b32 s33, s[0:1], 0x70
	s_lshr_b32 s34, ttmp7, 16
	s_wait_kmcnt 0x0
	s_lshr_b32 s4, s2, 16
	s_and_b32 s2, s2, 0xffff
	s_and_b32 s3, s3, 0xffff
	s_mul_i32 s2, s4, s2
	s_delay_alu instid0(SALU_CYCLE_1) | instskip(NEXT) | instid1(SALU_CYCLE_1)
	s_mul_i32 s2, s2, s3
	s_cmp_lg_u32 s2, 0x100
	s_cselect_b32 s2, -1, 0
	s_cmp_ge_u32 s34, s33
	s_cselect_b32 s3, -1, 0
	s_delay_alu instid0(SALU_CYCLE_1) | instskip(NEXT) | instid1(SALU_CYCLE_1)
	s_or_b32 s2, s2, s3
	s_and_b32 vcc_lo, exec_lo, s2
	s_cbranch_vccnz .LBB83_79
; %bb.1:
	s_clause 0x4
	s_load_b96 s[16:18], s[0:1], 0x40
	s_load_b32 s2, s[0:1], 0x0
	s_load_b32 s82, s[0:1], 0x28
	s_load_b256 s[20:27], s[0:1], 0x8
	s_load_b128 s[28:31], s[0:1], 0x30
	v_dual_mov_b32 v17, 0 :: v_dual_and_b32 v30, 0x3ff, v0
	s_lshl_b32 s48, ttmp9, 6
	s_add_nc_u64 s[4:5], s[0:1], 0x78
	s_load_b32 s4, s[4:5], 0x0
	s_load_b256 s[36:43], s[0:1], 0x50
	v_add_nc_u32_e32 v1, s48, v30
	v_bfe_u32 v2, v0, 10, 10
	v_and_b32_e32 v3, 31, v0
	s_mov_b32 s35, 0
	v_lshlrev_b32_e32 v33, 2, v30
	s_mov_b32 s5, s35
	v_lshl_add_u32 v12, v2, 6, v30
	v_lshlrev_b32_e32 v13, 2, v3
	v_mul_u32_u24_e32 v22, 33, v3
	s_wait_kmcnt 0x0
	v_mul_lo_u32 v4, s18, v1
	s_ashr_i32 s3, s2, 31
	s_lshl_b64 s[6:7], s[16:17], 2
	s_lshr_b32 s1, s3, 26
	s_add_nc_u64 s[10:11], s[30:31], s[6:7]
	s_add_co_i32 s1, s2, s1
	v_lshrrev_b32_e32 v8, 5, v12
	s_and_not1_b32 s1, s1, 63
	v_ashrrev_i32_e32 v5, 31, v4
	s_add_co_i32 s6, s4, -1
	s_ashr_i32 s83, s82, 31
	s_lshl_b64 s[8:9], s[26:27], 2
	s_sub_co_i32 s1, s2, s1
	v_lshlrev_b64_e32 v[4:5], 2, v[4:5]
	s_cmp_eq_u32 ttmp9, s6
	s_add_nc_u64 s[6:7], s[24:25], s[8:9]
	s_cselect_b32 s26, s1, 0
	s_mul_i32 s8, s2, ttmp9
	s_cmp_eq_u32 s26, 0
	v_add_co_u32 v31, s1, s10, v4
	s_delay_alu instid0(VALU_DEP_1)
	v_add_co_ci_u32_e64 v32, null, s11, v5, s1
	v_mad_co_u64_u32 v[4:5], null, s82, v8, v[3:4]
	s_cselect_b32 s1, -1, 0
	s_ashr_i32 s49, s48, 31
	v_cmp_gt_i32_e32 vcc_lo, s26, v30
	s_mul_u64 s[24:25], s[4:5], s[2:3]
	s_wait_alu 0xfffe
	s_lshl_b64 s[2:3], s[48:49], 2
	v_lshlrev_b32_e32 v15, 2, v8
	v_ashrrev_i32_e32 v5, 31, v4
	v_lshl_or_b32 v38, v3, 7, v13
	v_lshlrev_b32_e32 v16, 4, v8
	s_mul_i32 s50, s82, s48
	s_add_nc_u64 s[2:3], s[6:7], s[2:3]
	v_lshlrev_b64_e32 v[6:7], 2, v[4:5]
	s_or_b32 s96, s1, vcc_lo
	s_ashr_i32 s9, s8, 31
	s_ashr_i32 s51, s50, 31
	s_lshl_b64 s[8:9], s[8:9], 2
	v_add_nc_u32_e32 v39, v38, v16
	v_add_co_u32 v6, vcc_lo, s2, v6
	s_delay_alu instid0(VALU_DEP_1)
	v_add_co_ci_u32_e64 v7, null, s3, v7, vcc_lo
	s_lshl_b64 s[2:3], s[50:51], 2
	v_add_nc_u32_e32 v40, 0x11c0, v16
	v_lshl_add_u32 v41, v22, 2, v15
	v_or_b32_e32 v16, 32, v3
	s_cmp_lg_u32 s26, 0
	s_wait_alu 0xfffe
	v_add_co_u32 v36, vcc_lo, v6, s2
	s_cselect_b32 s17, -1, 0
	v_sub_co_u32 v6, s2, 0, v3
	s_sub_co_i32 s15, s26, 32
	s_wait_alu 0xfffd
	v_add_co_ci_u32_e64 v37, null, s3, v7, vcc_lo
	v_mul_u32_u24_e32 v14, 0x84, v8
	v_add_nc_u32_e32 v9, 8, v8
	v_sub_co_ci_u32_e64 v7, null, 0, 0, s2
	v_cmp_gt_i32_e64 s2, s26, v8
	v_add_nc_u32_e32 v10, 16, v8
	v_add_nc_u32_e32 v11, 24, v8
	v_mul_u32_u24_e32 v20, 0x210, v8
	v_cmp_gt_i32_e64 s11, s26, v16
	v_cmp_gt_i32_e64 s12, s15, v8
	v_cmp_eq_u32_e64 s16, 1, v8
	v_mul_i32_i24_e32 v16, -12, v8
	v_mad_u32_u24 v42, v8, 12, v41
	v_mul_lo_u32 v8, v2, s82
	v_or_b32_e32 v18, 1, v15
	v_or_b32_e32 v19, 2, v15
	v_cmp_le_i32_e32 vcc_lo, s26, v30
	s_mul_i32 s48, s18, s48
	s_add_nc_u64 s[30:31], s[42:43], s[8:9]
	v_or_b32_e32 v21, 3, v15
	v_cmp_lt_u32_e64 s7, v18, v3
	v_mul_u32_u24_e32 v23, 0x84, v18
	v_cmp_lt_u32_e64 s8, v19, v3
	v_and_b32_e32 v18, 15, v0
	v_lshl_add_u32 v8, v8, 2, v30
	v_lshrrev_b32_e32 v19, 2, v12
	v_and_b32_e32 v0, 48, v0
	v_mad_u32_u24 v45, 0x430, v2, v33
	s_wait_alu 0xfffe
	s_ashr_i32 s49, s48, 31
	v_cmp_gt_i32_e64 s4, s26, v10
	v_cmp_gt_i32_e64 s14, s15, v10
	s_and_b32 s17, s17, vcc_lo
	s_wait_alu 0xfffe
	s_sub_nc_u64 s[88:89], 0, s[48:49]
	v_sub_co_u32 v4, vcc_lo, 0, v4
	v_sub_co_u32 v10, s48, 0, v30
	v_cmp_eq_u32_e64 s0, 0, v2
	v_cmp_gt_i32_e64 s3, s26, v9
	v_cmp_gt_i32_e64 s5, s26, v11
	v_cmp_lt_u32_e64 s9, v21, v3
	v_cmp_gt_i32_e64 s13, s15, v9
	v_cmp_gt_i32_e64 s15, s15, v11
	s_wait_alu 0xfffd
	v_sub_co_ci_u32_e64 v5, null, 0, v5, vcc_lo
	v_ashrrev_i32_e32 v9, 31, v8
	s_wait_alu 0xf1ff
	v_sub_co_ci_u32_e64 v11, null, 0, 0, s48
	v_lshl_add_u32 v44, v2, 4, 0x10c0
	v_and_b32_e32 v19, 0x1ffc, v19
	v_mul_u32_u24_e32 v26, 0x10c, v18
	v_lshlrev_b32_e32 v0, 2, v0
	v_or_b32_e32 v21, 60, v33
	v_and_b32_e32 v27, 0x7ff0, v12
	v_mad_i32_i24 v49, 0xfffffcdc, v2, v45
	v_ashrrev_i32_e32 v2, 31, v1
	s_lshl_b32 s42, s82, 3
	s_lshl_b32 s44, s82, 4
	s_mul_i32 s46, s82, 24
	s_lshl_b32 s84, s82, 5
	s_ashr_i32 s43, s42, 31
	s_ashr_i32 s45, s44, 31
	;; [unrolled: 1-line block ×5, first 2 shown]
	s_xor_b32 s19, s17, -1
	s_cmp_gt_i32 ttmp9, 0
	v_mad_u32_u24 v46, 0x10c, v18, v19
	v_mad_u32_u24 v47, 0x10c, v18, v0
	;; [unrolled: 1-line block ×3, first 2 shown]
	v_lshlrev_b64_e32 v[18:19], 2, v[6:7]
	v_add_nc_u32_e32 v52, v13, v20
	v_add_nc_u32_e32 v53, v13, v23
	v_lshlrev_b64_e32 v[20:21], 2, v[4:5]
	v_lshlrev_b64_e32 v[22:23], 2, v[8:9]
	;; [unrolled: 1-line block ×3, first 2 shown]
	v_add_nc_u32_e32 v55, v26, v27
	v_lshlrev_b64_e32 v[26:27], 2, v[1:2]
	v_cndmask_b32_e64 v34, 0, 1, s1
	v_add_nc_u32_e32 v35, 0x11c0, v33
	v_cmp_gt_i32_e64 s1, s26, v3
	v_cmp_lt_u32_e64 s6, v15, v3
	v_cmp_gt_u32_e64 s10, 32, v12
	s_cselect_b32 s97, -1, 0
	s_lshl_b32 s98, s18, 6
	v_add_nc_u32_e32 v43, 0x10c0, v33
	v_cmp_gt_u32_e64 s18, 64, v12
	v_add_nc_u32_e32 v50, 0x11c0, v15
	v_add_nc_u32_e32 v51, v13, v14
	;; [unrolled: 1-line block ×3, first 2 shown]
	v_lshlrev_b32_e32 v56, 2, v3
	s_sub_nc_u64 s[86:87], 0, s[84:85]
	s_sub_nc_u64 s[90:91], 0, s[50:51]
	s_wait_alu 0xfffe
	s_and_b32 s99, s0, s19
	s_lshl_b64 s[48:49], s[82:83], 5
	s_sub_nc_u64 s[50:51], 0, s[26:27]
	s_lshl_b64 s[52:53], s[82:83], 2
	s_lshl_b64 s[54:55], s[82:83], 8
	;; [unrolled: 1-line block ×3, first 2 shown]
	s_mul_u64 s[58:59], s[82:83], 12
	s_mul_u64 s[60:61], s[82:83], 0x48
	;; [unrolled: 1-line block ×10, first 2 shown]
	s_lshl_b64 s[78:79], s[82:83], 7
	s_mul_u64 s[80:81], s[82:83], 0x44
	s_lshl_b64 s[82:83], s[82:83], 6
	s_lshl_b64 s[84:85], s[84:85], 2
	;; [unrolled: 1-line block ×5, first 2 shown]
	s_branch .LBB83_4
.LBB83_2:                               ;   in Loop: Header=BB83_4 Depth=1
	s_wait_alu 0xfffe
	s_or_b32 exec_lo, exec_lo, s19
.LBB83_3:                               ;   in Loop: Header=BB83_4 Depth=1
	s_add_co_i32 s34, s34, 0x10000
	s_delay_alu instid0(SALU_CYCLE_1)
	s_cmp_lt_u32 s34, s33
	s_cbranch_scc0 .LBB83_79
.LBB83_4:                               ; =>This Loop Header: Depth=1
                                        ;     Child Loop BB83_67 Depth 2
	s_mul_u64 s[92:93], s[22:23], s[34:35]
	s_mul_u64 s[94:95], s[40:41], s[34:35]
	s_wait_alu 0xfffe
	s_lshl_b64 s[92:93], s[92:93], 2
	s_lshl_b64 s[94:95], s[94:95], 2
	s_wait_alu 0xfffe
	s_add_nc_u64 s[92:93], s[20:21], s[92:93]
	s_add_nc_u64 s[94:95], s[38:39], s[94:95]
	s_clause 0x1
	global_load_b32 v0, v17, s[92:93]
	global_load_b32 v1, v17, s[94:95]
	s_wait_loadcnt 0x1
	v_cmp_eq_f32_e64 s19, 0, v0
	s_wait_loadcnt 0x0
	v_cmp_eq_f32_e32 vcc_lo, 1.0, v1
	s_and_b32 s92, s19, vcc_lo
	s_wait_alu 0xfffe
	s_and_b32 vcc_lo, exec_lo, s92
	s_wait_alu 0xfffe
	s_cbranch_vccnz .LBB83_3
; %bb.5:                                ;   in Loop: Header=BB83_4 Depth=1
	s_and_b32 vcc_lo, exec_lo, s19
	s_wait_alu 0xfffe
	s_cbranch_vccnz .LBB83_3
; %bb.6:                                ;   in Loop: Header=BB83_4 Depth=1
	s_mul_u64 s[92:93], s[36:37], s[34:35]
	s_wait_alu 0xfffe
	s_lshl_b64 s[92:93], s[92:93], 2
	s_wait_alu 0xfffe
	v_add_co_u32 v4, vcc_lo, v31, s92
	s_wait_alu 0xfffd
	v_add_co_ci_u32_e64 v5, null, s93, v32, vcc_lo
	s_and_saveexec_b32 s19, s0
	s_cbranch_execz .LBB83_10
; %bb.7:                                ;   in Loop: Header=BB83_4 Depth=1
	v_mov_b32_e32 v0, 0
	s_and_saveexec_b32 s92, s96
	s_cbranch_execz .LBB83_9
; %bb.8:                                ;   in Loop: Header=BB83_4 Depth=1
	global_load_b32 v0, v[4:5], off
.LBB83_9:                               ;   in Loop: Header=BB83_4 Depth=1
	s_wait_alu 0xfffe
	s_or_b32 exec_lo, exec_lo, s92
	s_wait_loadcnt 0x0
	ds_store_b32 v35, v0
.LBB83_10:                              ;   in Loop: Header=BB83_4 Depth=1
	s_wait_alu 0xfffe
	s_or_b32 exec_lo, exec_lo, s19
	s_mul_u64 s[92:93], s[28:29], s[34:35]
	v_cmp_ne_u32_e32 vcc_lo, 1, v34
	s_wait_alu 0xfffe
	s_lshl_b64 s[92:93], s[92:93], 2
	s_wait_alu 0xfffe
	v_add_co_u32 v0, s19, v36, s92
	s_wait_alu 0xf1ff
	v_add_co_ci_u32_e64 v1, null, s93, v37, s19
	s_mov_b32 s19, -1
	s_cbranch_vccnz .LBB83_12
; %bb.11:                               ;   in Loop: Header=BB83_4 Depth=1
	s_lshl_b64 s[92:93], s[42:43], 2
	s_mov_b32 s19, 0
	s_wait_alu 0xfffe
	v_add_co_u32 v2, vcc_lo, v0, s92
	s_wait_alu 0xfffd
	v_add_co_ci_u32_e64 v3, null, s93, v1, vcc_lo
	s_delay_alu instid0(VALU_DEP_2) | instskip(SKIP_1) | instid1(VALU_DEP_2)
	v_add_co_u32 v6, vcc_lo, v2, s48
	s_wait_alu 0xfffd
	v_add_co_ci_u32_e64 v7, null, s49, v3, vcc_lo
	s_delay_alu instid0(VALU_DEP_2) | instskip(SKIP_1) | instid1(VALU_DEP_2)
	v_add_co_u32 v8, vcc_lo, v6, s48
	s_wait_alu 0xfffd
	v_add_co_ci_u32_e64 v9, null, s49, v7, vcc_lo
	s_clause 0x3
	global_load_b32 v10, v[0:1], off
	global_load_b32 v2, v[2:3], off
	global_load_b32 v3, v[6:7], off
	global_load_b32 v6, v[8:9], off
	s_wait_loadcnt 0x3
	ds_store_b32 v51, v10
	s_wait_loadcnt 0x2
	ds_store_b32 v51, v2 offset:1056
	s_wait_loadcnt 0x1
	ds_store_b32 v51, v3 offset:2112
	;; [unrolled: 2-line block ×3, first 2 shown]
.LBB83_12:                              ;   in Loop: Header=BB83_4 Depth=1
	s_wait_alu 0xfffe
	s_and_not1_b32 vcc_lo, exec_lo, s19
	s_wait_alu 0xfffe
	s_cbranch_vccnz .LBB83_22
; %bb.13:                               ;   in Loop: Header=BB83_4 Depth=1
	v_add_co_u32 v2, vcc_lo, v0, v18
	s_wait_alu 0xfffd
	v_add_co_ci_u32_e64 v3, null, v1, v19, vcc_lo
	s_lshl_b64 s[92:93], s[26:27], 2
	v_dual_mov_b32 v7, 0 :: v_dual_mov_b32 v6, 0
	s_wait_alu 0xfffe
	v_add_co_u32 v2, vcc_lo, v2, s92
	s_wait_alu 0xfffd
	v_add_co_ci_u32_e64 v3, null, s93, v3, vcc_lo
	s_delay_alu instid0(VALU_DEP_2) | instskip(SKIP_1) | instid1(VALU_DEP_2)
	v_add_co_u32 v2, vcc_lo, v2, -4
	s_wait_alu 0xfffd
	v_add_co_ci_u32_e64 v3, null, -1, v3, vcc_lo
	s_delay_alu instid0(VALU_DEP_2) | instskip(NEXT) | instid1(VALU_DEP_2)
	v_cndmask_b32_e64 v2, v2, v0, s1
	v_cndmask_b32_e64 v3, v3, v1, s1
	s_and_saveexec_b32 s19, s2
	s_cbranch_execz .LBB83_15
; %bb.14:                               ;   in Loop: Header=BB83_4 Depth=1
	global_load_b32 v6, v[2:3], off
.LBB83_15:                              ;   in Loop: Header=BB83_4 Depth=1
	s_wait_alu 0xfffe
	s_or_b32 exec_lo, exec_lo, s19
	s_wait_loadcnt 0x0
	ds_store_b32 v51, v6
	s_and_saveexec_b32 s19, s3
	s_cbranch_execz .LBB83_17
; %bb.16:                               ;   in Loop: Header=BB83_4 Depth=1
	s_lshl_b64 s[92:93], s[42:43], 2
	s_wait_alu 0xfffe
	v_add_co_u32 v6, vcc_lo, v2, s92
	s_wait_alu 0xfffd
	v_add_co_ci_u32_e64 v7, null, s93, v3, vcc_lo
	global_load_b32 v7, v[6:7], off
.LBB83_17:                              ;   in Loop: Header=BB83_4 Depth=1
	s_wait_alu 0xfffe
	s_or_b32 exec_lo, exec_lo, s19
	v_mov_b32_e32 v6, 0
	v_mov_b32_e32 v8, 0
	s_wait_loadcnt 0x0
	ds_store_b32 v51, v7 offset:1056
	s_and_saveexec_b32 s19, s4
	s_cbranch_execz .LBB83_19
; %bb.18:                               ;   in Loop: Header=BB83_4 Depth=1
	s_lshl_b64 s[92:93], s[44:45], 2
	s_wait_alu 0xfffe
	v_add_co_u32 v7, vcc_lo, v2, s92
	s_wait_alu 0xfffd
	v_add_co_ci_u32_e64 v8, null, s93, v3, vcc_lo
	global_load_b32 v8, v[7:8], off
.LBB83_19:                              ;   in Loop: Header=BB83_4 Depth=1
	s_wait_alu 0xfffe
	s_or_b32 exec_lo, exec_lo, s19
	s_wait_loadcnt 0x0
	ds_store_b32 v51, v8 offset:2112
	s_and_saveexec_b32 s19, s5
	s_cbranch_execz .LBB83_21
; %bb.20:                               ;   in Loop: Header=BB83_4 Depth=1
	s_lshl_b64 s[92:93], s[46:47], 2
	s_wait_alu 0xfffe
	v_add_co_u32 v6, vcc_lo, v2, s92
	s_wait_alu 0xfffd
	v_add_co_ci_u32_e64 v7, null, s93, v3, vcc_lo
	global_load_b32 v6, v[6:7], off
.LBB83_21:                              ;   in Loop: Header=BB83_4 Depth=1
	s_wait_alu 0xfffe
	s_or_b32 exec_lo, exec_lo, s19
	v_add_co_u32 v2, vcc_lo, v2, v56
	s_wait_alu 0xfffd
	v_add_co_ci_u32_e64 v3, null, 0, v3, vcc_lo
	s_lshl_b64 s[92:93], s[50:51], 2
	s_wait_loadcnt 0x0
	ds_store_b32 v51, v6 offset:3168
	s_wait_alu 0xfffe
	v_add_co_u32 v2, vcc_lo, v2, s92
	s_wait_alu 0xfffd
	v_add_co_ci_u32_e64 v3, null, s93, v3, vcc_lo
	s_delay_alu instid0(VALU_DEP_2) | instskip(SKIP_1) | instid1(VALU_DEP_2)
	v_add_co_u32 v2, vcc_lo, v2, 4
	s_wait_alu 0xfffd
	v_add_co_ci_u32_e64 v3, null, 0, v3, vcc_lo
	s_delay_alu instid0(VALU_DEP_2) | instskip(NEXT) | instid1(VALU_DEP_2)
	v_cndmask_b32_e64 v0, v2, v0, s1
	v_cndmask_b32_e64 v1, v3, v1, s1
.LBB83_22:                              ;   in Loop: Header=BB83_4 Depth=1
	s_wait_dscnt 0x0
	s_barrier_signal -1
	s_barrier_wait -1
	global_inv scope:SCOPE_SE
	s_and_saveexec_b32 s19, s6
	s_cbranch_execnz .LBB83_73
; %bb.23:                               ;   in Loop: Header=BB83_4 Depth=1
	s_wait_alu 0xfffe
	s_or_b32 exec_lo, exec_lo, s19
	s_and_saveexec_b32 s19, s7
	s_cbranch_execnz .LBB83_74
.LBB83_24:                              ;   in Loop: Header=BB83_4 Depth=1
	s_wait_alu 0xfffe
	s_or_b32 exec_lo, exec_lo, s19
	s_and_saveexec_b32 s19, s8
	s_cbranch_execnz .LBB83_75
.LBB83_25:                              ;   in Loop: Header=BB83_4 Depth=1
	s_wait_alu 0xfffe
	s_or_b32 exec_lo, exec_lo, s19
	s_and_saveexec_b32 s19, s9
	s_cbranch_execz .LBB83_27
.LBB83_26:                              ;   in Loop: Header=BB83_4 Depth=1
	ds_load_b32 v2, v53 offset:264
	s_wait_dscnt 0x0
	ds_store_b32 v39, v2 offset:12
.LBB83_27:                              ;   in Loop: Header=BB83_4 Depth=1
	s_wait_alu 0xfffe
	s_or_b32 exec_lo, exec_lo, s19
	s_wait_loadcnt_dscnt 0x0
	s_barrier_signal -1
	s_barrier_wait -1
	global_inv scope:SCOPE_SE
	ds_load_b32 v10, v52
	ds_load_b32 v11, v53 offset:264
	ds_load_b128 v[6:9], v40
	ds_load_2addr_b32 v[2:3], v53 offset1:33
	s_wait_loadcnt_dscnt 0x0
	s_barrier_signal -1
	s_barrier_wait -1
	global_inv scope:SCOPE_SE
	v_mov_b32_e32 v57, 0
	v_fma_f32 v6, v10, v6, 0
	s_delay_alu instid0(VALU_DEP_1) | instskip(NEXT) | instid1(VALU_DEP_1)
	v_fmac_f32_e32 v6, v2, v7
	v_fmac_f32_e32 v6, v3, v8
	s_delay_alu instid0(VALU_DEP_1)
	v_fmac_f32_e32 v6, v11, v9
	ds_store_b32 v41, v6
	s_wait_loadcnt_dscnt 0x0
	s_barrier_signal -1
	s_barrier_wait -1
	global_inv scope:SCOPE_SE
	s_and_saveexec_b32 s19, s10
	s_cbranch_execz .LBB83_29
; %bb.28:                               ;   in Loop: Header=BB83_4 Depth=1
	ds_load_2addr_b32 v[2:3], v38 offset1:1
	ds_load_2addr_b32 v[6:7], v38 offset0:2 offset1:3
	ds_load_2addr_b32 v[8:9], v38 offset0:4 offset1:5
	;; [unrolled: 1-line block ×3, first 2 shown]
	s_wait_dscnt 0x3
	v_add_f32_e32 v2, v2, v3
	s_wait_dscnt 0x2
	s_delay_alu instid0(VALU_DEP_1) | instskip(NEXT) | instid1(VALU_DEP_1)
	v_add_f32_e32 v2, v2, v6
	v_add_f32_e32 v2, v2, v7
	s_wait_dscnt 0x1
	s_delay_alu instid0(VALU_DEP_1) | instskip(NEXT) | instid1(VALU_DEP_1)
	v_add_f32_e32 v2, v2, v8
	;; [unrolled: 4-line block ×3, first 2 shown]
	v_add_f32_e32 v57, v2, v11
.LBB83_29:                              ;   in Loop: Header=BB83_4 Depth=1
	s_wait_alu 0xfffe
	s_or_b32 exec_lo, exec_lo, s19
	v_cmp_ne_u32_e32 vcc_lo, 1, v34
	v_add_co_u32 v0, s19, v0, s84
	s_wait_alu 0xf1ff
	v_add_co_ci_u32_e64 v1, null, s85, v1, s19
	s_and_b32 vcc_lo, exec_lo, vcc_lo
	s_mov_b32 s19, -1
	s_wait_loadcnt 0x0
	s_barrier_signal -1
	s_barrier_wait -1
	global_inv scope:SCOPE_SE
	s_wait_alu 0xfffe
	s_cbranch_vccnz .LBB83_31
; %bb.30:                               ;   in Loop: Header=BB83_4 Depth=1
	s_lshl_b64 s[92:93], s[42:43], 2
	s_mov_b32 s19, 0
	s_wait_alu 0xfffe
	v_add_co_u32 v2, vcc_lo, v0, s92
	s_wait_alu 0xfffd
	v_add_co_ci_u32_e64 v3, null, s93, v1, vcc_lo
	s_delay_alu instid0(VALU_DEP_2) | instskip(SKIP_1) | instid1(VALU_DEP_2)
	v_add_co_u32 v6, vcc_lo, v2, s48
	s_wait_alu 0xfffd
	v_add_co_ci_u32_e64 v7, null, s49, v3, vcc_lo
	s_delay_alu instid0(VALU_DEP_2) | instskip(SKIP_1) | instid1(VALU_DEP_2)
	v_add_co_u32 v8, vcc_lo, v6, s48
	s_wait_alu 0xfffd
	v_add_co_ci_u32_e64 v9, null, s49, v7, vcc_lo
	s_clause 0x3
	global_load_b32 v10, v[0:1], off offset:128
	global_load_b32 v2, v[2:3], off offset:128
	;; [unrolled: 1-line block ×4, first 2 shown]
	s_wait_loadcnt 0x3
	ds_store_b32 v51, v10
	s_wait_loadcnt 0x2
	ds_store_b32 v51, v2 offset:1056
	s_wait_loadcnt 0x1
	ds_store_b32 v51, v3 offset:2112
	;; [unrolled: 2-line block ×3, first 2 shown]
.LBB83_31:                              ;   in Loop: Header=BB83_4 Depth=1
	v_add_co_u32 v2, vcc_lo, 0x80, v0
	s_wait_alu 0xfffd
	v_add_co_ci_u32_e64 v3, null, 0, v1, vcc_lo
	s_and_not1_b32 vcc_lo, exec_lo, s19
	s_wait_alu 0xfffe
	s_cbranch_vccnz .LBB83_41
; %bb.32:                               ;   in Loop: Header=BB83_4 Depth=1
	v_add_co_u32 v0, vcc_lo, v0, v18
	s_wait_alu 0xfffd
	v_add_co_ci_u32_e64 v1, null, v1, v19, vcc_lo
	s_lshl_b64 s[92:93], s[26:27], 2
	v_dual_mov_b32 v7, 0 :: v_dual_mov_b32 v6, 0
	s_wait_alu 0xfffe
	v_add_co_u32 v0, vcc_lo, v0, s92
	s_wait_alu 0xfffd
	v_add_co_ci_u32_e64 v1, null, s93, v1, vcc_lo
	s_delay_alu instid0(VALU_DEP_2) | instskip(SKIP_1) | instid1(VALU_DEP_2)
	v_add_co_u32 v0, vcc_lo, v0, -4
	s_wait_alu 0xfffd
	v_add_co_ci_u32_e64 v1, null, -1, v1, vcc_lo
	s_delay_alu instid0(VALU_DEP_2) | instskip(NEXT) | instid1(VALU_DEP_2)
	v_cndmask_b32_e64 v0, v0, v2, s11
	v_cndmask_b32_e64 v1, v1, v3, s11
	s_and_saveexec_b32 s19, s12
	s_cbranch_execz .LBB83_34
; %bb.33:                               ;   in Loop: Header=BB83_4 Depth=1
	global_load_b32 v6, v[0:1], off
.LBB83_34:                              ;   in Loop: Header=BB83_4 Depth=1
	s_wait_alu 0xfffe
	s_or_b32 exec_lo, exec_lo, s19
	s_wait_loadcnt 0x0
	ds_store_b32 v51, v6
	s_and_saveexec_b32 s19, s13
	s_cbranch_execz .LBB83_36
; %bb.35:                               ;   in Loop: Header=BB83_4 Depth=1
	s_lshl_b64 s[92:93], s[42:43], 2
	s_wait_alu 0xfffe
	v_add_co_u32 v6, vcc_lo, v0, s92
	s_wait_alu 0xfffd
	v_add_co_ci_u32_e64 v7, null, s93, v1, vcc_lo
	global_load_b32 v7, v[6:7], off
.LBB83_36:                              ;   in Loop: Header=BB83_4 Depth=1
	s_wait_alu 0xfffe
	s_or_b32 exec_lo, exec_lo, s19
	v_mov_b32_e32 v6, 0
	v_mov_b32_e32 v8, 0
	s_wait_loadcnt 0x0
	ds_store_b32 v51, v7 offset:1056
	s_and_saveexec_b32 s19, s14
	s_cbranch_execz .LBB83_38
; %bb.37:                               ;   in Loop: Header=BB83_4 Depth=1
	s_lshl_b64 s[92:93], s[44:45], 2
	s_wait_alu 0xfffe
	v_add_co_u32 v7, vcc_lo, v0, s92
	s_wait_alu 0xfffd
	v_add_co_ci_u32_e64 v8, null, s93, v1, vcc_lo
	global_load_b32 v8, v[7:8], off
.LBB83_38:                              ;   in Loop: Header=BB83_4 Depth=1
	s_wait_alu 0xfffe
	s_or_b32 exec_lo, exec_lo, s19
	s_wait_loadcnt 0x0
	ds_store_b32 v51, v8 offset:2112
	s_and_saveexec_b32 s19, s15
	s_cbranch_execz .LBB83_40
; %bb.39:                               ;   in Loop: Header=BB83_4 Depth=1
	s_lshl_b64 s[92:93], s[46:47], 2
	s_wait_alu 0xfffe
	v_add_co_u32 v6, vcc_lo, v0, s92
	s_wait_alu 0xfffd
	v_add_co_ci_u32_e64 v7, null, s93, v1, vcc_lo
	global_load_b32 v6, v[6:7], off
.LBB83_40:                              ;   in Loop: Header=BB83_4 Depth=1
	s_wait_alu 0xfffe
	s_or_b32 exec_lo, exec_lo, s19
	v_add_co_u32 v0, vcc_lo, v0, v56
	s_wait_alu 0xfffd
	v_add_co_ci_u32_e64 v1, null, 0, v1, vcc_lo
	s_lshl_b64 s[92:93], s[50:51], 2
	s_wait_loadcnt 0x0
	ds_store_b32 v51, v6 offset:3168
	s_wait_alu 0xfffe
	v_add_co_u32 v0, vcc_lo, v0, s92
	s_wait_alu 0xfffd
	v_add_co_ci_u32_e64 v1, null, s93, v1, vcc_lo
	s_delay_alu instid0(VALU_DEP_2) | instskip(SKIP_1) | instid1(VALU_DEP_2)
	v_add_co_u32 v0, vcc_lo, 0x84, v0
	s_wait_alu 0xfffd
	v_add_co_ci_u32_e64 v1, null, 0, v1, vcc_lo
	s_delay_alu instid0(VALU_DEP_2) | instskip(NEXT) | instid1(VALU_DEP_2)
	v_cndmask_b32_e64 v2, v0, v2, s11
	v_cndmask_b32_e64 v3, v1, v3, s11
.LBB83_41:                              ;   in Loop: Header=BB83_4 Depth=1
	s_wait_loadcnt_dscnt 0x0
	s_barrier_signal -1
	s_barrier_wait -1
	global_inv scope:SCOPE_SE
	s_and_saveexec_b32 s19, s6
	s_cbranch_execnz .LBB83_76
; %bb.42:                               ;   in Loop: Header=BB83_4 Depth=1
	s_wait_alu 0xfffe
	s_or_b32 exec_lo, exec_lo, s19
	s_and_saveexec_b32 s19, s7
	s_cbranch_execnz .LBB83_77
.LBB83_43:                              ;   in Loop: Header=BB83_4 Depth=1
	s_wait_alu 0xfffe
	s_or_b32 exec_lo, exec_lo, s19
	s_and_saveexec_b32 s19, s8
	s_cbranch_execnz .LBB83_78
.LBB83_44:                              ;   in Loop: Header=BB83_4 Depth=1
	s_wait_alu 0xfffe
	s_or_b32 exec_lo, exec_lo, s19
	s_and_saveexec_b32 s19, s9
	s_cbranch_execz .LBB83_46
.LBB83_45:                              ;   in Loop: Header=BB83_4 Depth=1
	ds_load_b32 v0, v53 offset:264
	s_wait_dscnt 0x0
	ds_store_b32 v39, v0 offset:12
.LBB83_46:                              ;   in Loop: Header=BB83_4 Depth=1
	s_wait_alu 0xfffe
	s_or_b32 exec_lo, exec_lo, s19
	s_wait_loadcnt_dscnt 0x0
	s_barrier_signal -1
	s_barrier_wait -1
	global_inv scope:SCOPE_SE
	ds_load_b32 v10, v52
	ds_load_b32 v11, v53 offset:264
	ds_load_b128 v[6:9], v40 offset:128
	ds_load_2addr_b32 v[0:1], v53 offset1:33
	s_wait_loadcnt_dscnt 0x0
	s_barrier_signal -1
	s_barrier_wait -1
	global_inv scope:SCOPE_SE
	v_fma_f32 v6, v10, v6, 0
	s_delay_alu instid0(VALU_DEP_1) | instskip(NEXT) | instid1(VALU_DEP_1)
	v_fmac_f32_e32 v6, v0, v7
	v_fmac_f32_e32 v6, v1, v8
	s_delay_alu instid0(VALU_DEP_1)
	v_fmac_f32_e32 v6, v11, v9
	ds_store_b32 v41, v6
	s_wait_loadcnt_dscnt 0x0
	s_barrier_signal -1
	s_barrier_wait -1
	global_inv scope:SCOPE_SE
	s_and_saveexec_b32 s19, s16
	s_cbranch_execz .LBB83_48
; %bb.47:                               ;   in Loop: Header=BB83_4 Depth=1
	ds_load_2addr_b32 v[0:1], v38 offset1:1
	ds_load_2addr_b32 v[6:7], v38 offset0:2 offset1:3
	ds_load_2addr_b32 v[8:9], v38 offset0:4 offset1:5
	;; [unrolled: 1-line block ×3, first 2 shown]
	s_wait_dscnt 0x3
	v_add_f32_e32 v0, v0, v1
	s_wait_dscnt 0x2
	s_delay_alu instid0(VALU_DEP_1) | instskip(NEXT) | instid1(VALU_DEP_1)
	v_add_f32_e32 v0, v0, v6
	v_add_f32_e32 v0, v0, v7
	s_wait_dscnt 0x1
	s_delay_alu instid0(VALU_DEP_1) | instskip(NEXT) | instid1(VALU_DEP_1)
	v_add_f32_e32 v0, v0, v8
	;; [unrolled: 4-line block ×3, first 2 shown]
	v_add_f32_e32 v57, v0, v11
.LBB83_48:                              ;   in Loop: Header=BB83_4 Depth=1
	s_wait_alu 0xfffe
	s_or_b32 exec_lo, exec_lo, s19
	v_cmp_ne_u32_e32 vcc_lo, 1, v34
	v_add_co_u32 v6, s19, v2, s86
	s_wait_alu 0xf1ff
	v_add_co_ci_u32_e64 v7, null, s87, v3, s19
	s_and_b32 vcc_lo, exec_lo, vcc_lo
	s_mov_b32 s19, -1
	s_wait_loadcnt 0x0
	s_barrier_signal -1
	s_barrier_wait -1
	global_inv scope:SCOPE_SE
	s_wait_alu 0xfffe
	s_cbranch_vccnz .LBB83_50
; %bb.49:                               ;   in Loop: Header=BB83_4 Depth=1
	s_lshl_b64 s[92:93], s[42:43], 2
	s_mov_b32 s19, 0
	s_wait_alu 0xfffe
	v_add_co_u32 v0, vcc_lo, v6, s92
	s_wait_alu 0xfffd
	v_add_co_ci_u32_e64 v1, null, s93, v7, vcc_lo
	s_delay_alu instid0(VALU_DEP_2) | instskip(SKIP_1) | instid1(VALU_DEP_2)
	v_add_co_u32 v2, vcc_lo, v0, s48
	s_wait_alu 0xfffd
	v_add_co_ci_u32_e64 v3, null, s49, v1, vcc_lo
	s_delay_alu instid0(VALU_DEP_2) | instskip(SKIP_1) | instid1(VALU_DEP_2)
	v_add_co_u32 v8, vcc_lo, v2, s48
	s_wait_alu 0xfffd
	v_add_co_ci_u32_e64 v9, null, s49, v3, vcc_lo
	s_clause 0x3
	global_load_b32 v10, v[6:7], off
	global_load_b32 v0, v[0:1], off
	;; [unrolled: 1-line block ×4, first 2 shown]
	s_wait_loadcnt 0x3
	ds_store_b32 v51, v10
	s_wait_loadcnt 0x2
	ds_store_b32 v51, v0 offset:1056
	s_wait_loadcnt 0x1
	ds_store_b32 v51, v1 offset:2112
	;; [unrolled: 2-line block ×3, first 2 shown]
.LBB83_50:                              ;   in Loop: Header=BB83_4 Depth=1
	s_and_not1_b32 vcc_lo, exec_lo, s19
	s_wait_alu 0xfffe
	s_cbranch_vccnz .LBB83_60
; %bb.51:                               ;   in Loop: Header=BB83_4 Depth=1
	v_add_co_u32 v0, vcc_lo, v6, v18
	s_wait_alu 0xfffd
	v_add_co_ci_u32_e64 v1, null, v7, v19, vcc_lo
	s_lshl_b64 s[92:93], s[26:27], 2
	v_dual_mov_b32 v3, 0 :: v_dual_mov_b32 v2, 0
	s_wait_alu 0xfffe
	v_add_co_u32 v0, vcc_lo, v0, s92
	s_wait_alu 0xfffd
	v_add_co_ci_u32_e64 v1, null, s93, v1, vcc_lo
	s_delay_alu instid0(VALU_DEP_2) | instskip(SKIP_1) | instid1(VALU_DEP_2)
	v_add_co_u32 v0, vcc_lo, 0xffffff7c, v0
	s_wait_alu 0xfffd
	v_add_co_ci_u32_e64 v1, null, -1, v1, vcc_lo
	s_delay_alu instid0(VALU_DEP_2) | instskip(NEXT) | instid1(VALU_DEP_2)
	v_cndmask_b32_e64 v0, v0, v6, s11
	v_cndmask_b32_e64 v1, v1, v7, s11
	s_and_saveexec_b32 s19, s2
	s_cbranch_execz .LBB83_53
; %bb.52:                               ;   in Loop: Header=BB83_4 Depth=1
	global_load_b32 v2, v[0:1], off
.LBB83_53:                              ;   in Loop: Header=BB83_4 Depth=1
	s_wait_alu 0xfffe
	s_or_b32 exec_lo, exec_lo, s19
	s_wait_loadcnt 0x0
	ds_store_b32 v51, v2
	s_and_saveexec_b32 s19, s3
	s_cbranch_execz .LBB83_55
; %bb.54:                               ;   in Loop: Header=BB83_4 Depth=1
	s_lshl_b64 s[92:93], s[42:43], 2
	s_wait_alu 0xfffe
	v_add_co_u32 v2, vcc_lo, v0, s92
	s_wait_alu 0xfffd
	v_add_co_ci_u32_e64 v3, null, s93, v1, vcc_lo
	global_load_b32 v3, v[2:3], off
.LBB83_55:                              ;   in Loop: Header=BB83_4 Depth=1
	s_wait_alu 0xfffe
	s_or_b32 exec_lo, exec_lo, s19
	v_mov_b32_e32 v2, 0
	v_mov_b32_e32 v8, 0
	s_wait_loadcnt 0x0
	ds_store_b32 v51, v3 offset:1056
	s_and_saveexec_b32 s19, s4
	s_cbranch_execz .LBB83_57
; %bb.56:                               ;   in Loop: Header=BB83_4 Depth=1
	s_lshl_b64 s[92:93], s[44:45], 2
	s_wait_alu 0xfffe
	v_add_co_u32 v8, vcc_lo, v0, s92
	s_wait_alu 0xfffd
	v_add_co_ci_u32_e64 v9, null, s93, v1, vcc_lo
	global_load_b32 v8, v[8:9], off
.LBB83_57:                              ;   in Loop: Header=BB83_4 Depth=1
	s_wait_alu 0xfffe
	s_or_b32 exec_lo, exec_lo, s19
	s_wait_loadcnt 0x0
	ds_store_b32 v51, v8 offset:2112
	s_and_saveexec_b32 s19, s5
	s_cbranch_execz .LBB83_59
; %bb.58:                               ;   in Loop: Header=BB83_4 Depth=1
	s_lshl_b64 s[92:93], s[46:47], 2
	s_wait_alu 0xfffe
	v_add_co_u32 v2, vcc_lo, v0, s92
	s_wait_alu 0xfffd
	v_add_co_ci_u32_e64 v3, null, s93, v1, vcc_lo
	global_load_b32 v2, v[2:3], off
.LBB83_59:                              ;   in Loop: Header=BB83_4 Depth=1
	s_wait_alu 0xfffe
	s_or_b32 exec_lo, exec_lo, s19
	v_add_co_u32 v0, vcc_lo, v0, v56
	s_wait_alu 0xfffd
	v_add_co_ci_u32_e64 v1, null, 0, v1, vcc_lo
	s_lshl_b64 s[92:93], s[50:51], 2
	s_wait_loadcnt 0x0
	ds_store_b32 v51, v2 offset:3168
	s_wait_alu 0xfffe
	v_add_co_u32 v0, vcc_lo, v0, s92
	s_wait_alu 0xfffd
	v_add_co_ci_u32_e64 v1, null, s93, v1, vcc_lo
	s_delay_alu instid0(VALU_DEP_2) | instskip(SKIP_1) | instid1(VALU_DEP_2)
	v_add_co_u32 v0, vcc_lo, 0x84, v0
	s_wait_alu 0xfffd
	v_add_co_ci_u32_e64 v1, null, 0, v1, vcc_lo
	s_delay_alu instid0(VALU_DEP_2) | instskip(NEXT) | instid1(VALU_DEP_2)
	v_cndmask_b32_e64 v6, v0, v6, s11
	v_cndmask_b32_e64 v7, v1, v7, s11
.LBB83_60:                              ;   in Loop: Header=BB83_4 Depth=1
	s_wait_loadcnt_dscnt 0x0
	s_barrier_signal -1
	s_barrier_wait -1
	global_inv scope:SCOPE_SE
	ds_load_b32 v0, v51
	ds_load_b32 v1, v54
	ds_load_2addr_b32 v[12:13], v50 offset0:8 offset1:16
	ds_load_b32 v14, v51 offset:1056
	ds_load_b32 v15, v51 offset:2112
	;; [unrolled: 1-line block ×4, first 2 shown]
	s_wait_dscnt 0x5
	v_fma_f32 v29, v0, v1, 0
	ds_load_2addr_b32 v[10:11], v42 offset1:1
	ds_load_b128 v[0:3], v40 offset:128
	ds_load_2addr_b32 v[8:9], v42 offset0:2 offset1:3
	s_wait_loadcnt_dscnt 0x0
	s_barrier_signal -1
	s_barrier_wait -1
	v_fmac_f32_e32 v29, v14, v12
	global_inv scope:SCOPE_SE
	v_fmac_f32_e32 v29, v15, v13
	s_delay_alu instid0(VALU_DEP_1)
	v_fmac_f32_e32 v29, v16, v28
	ds_store_b32 v41, v29
	s_wait_loadcnt_dscnt 0x0
	s_barrier_signal -1
	s_barrier_wait -1
	global_inv scope:SCOPE_SE
	s_and_saveexec_b32 s19, s16
	s_cbranch_execz .LBB83_62
; %bb.61:                               ;   in Loop: Header=BB83_4 Depth=1
	ds_load_2addr_b32 v[12:13], v38 offset1:1
	ds_load_2addr_b32 v[14:15], v38 offset0:2 offset1:3
	ds_load_2addr_b32 v[28:29], v38 offset0:4 offset1:5
	;; [unrolled: 1-line block ×3, first 2 shown]
	s_wait_dscnt 0x3
	v_add_f32_e32 v12, v57, v12
	s_delay_alu instid0(VALU_DEP_1) | instskip(SKIP_1) | instid1(VALU_DEP_1)
	v_add_f32_e32 v12, v12, v13
	s_wait_dscnt 0x2
	v_add_f32_e32 v12, v12, v14
	s_delay_alu instid0(VALU_DEP_1) | instskip(SKIP_1) | instid1(VALU_DEP_1)
	v_add_f32_e32 v12, v12, v15
	;; [unrolled: 4-line block ×3, first 2 shown]
	s_wait_dscnt 0x0
	v_add_f32_e32 v12, v12, v58
	s_delay_alu instid0(VALU_DEP_1)
	v_add_f32_e32 v57, v12, v59
.LBB83_62:                              ;   in Loop: Header=BB83_4 Depth=1
	s_wait_alu 0xfffe
	s_or_b32 exec_lo, exec_lo, s19
	v_fma_f32 v0, v10, v0, 0
	s_wait_loadcnt 0x0
	s_barrier_signal -1
	s_barrier_wait -1
	global_inv scope:SCOPE_SE
	v_fmac_f32_e32 v0, v11, v1
	s_delay_alu instid0(VALU_DEP_1) | instskip(NEXT) | instid1(VALU_DEP_1)
	v_fmac_f32_e32 v0, v8, v2
	v_fmac_f32_e32 v0, v9, v3
	ds_store_b32 v41, v0
	s_wait_loadcnt_dscnt 0x0
	s_barrier_signal -1
	s_barrier_wait -1
	global_inv scope:SCOPE_SE
	s_and_saveexec_b32 s19, s10
	s_cbranch_execz .LBB83_64
; %bb.63:                               ;   in Loop: Header=BB83_4 Depth=1
	ds_load_2addr_b32 v[0:1], v38 offset1:1
	ds_load_2addr_b32 v[2:3], v38 offset0:2 offset1:3
	ds_load_2addr_b32 v[8:9], v38 offset0:4 offset1:5
	ds_load_2addr_b32 v[10:11], v38 offset0:6 offset1:7
	s_wait_dscnt 0x3
	v_add_f32_e32 v0, v57, v0
	s_delay_alu instid0(VALU_DEP_1) | instskip(SKIP_1) | instid1(VALU_DEP_1)
	v_add_f32_e32 v0, v0, v1
	s_wait_dscnt 0x2
	v_add_f32_e32 v0, v0, v2
	s_delay_alu instid0(VALU_DEP_1) | instskip(SKIP_1) | instid1(VALU_DEP_1)
	v_add_f32_e32 v0, v0, v3
	;; [unrolled: 4-line block ×3, first 2 shown]
	s_wait_dscnt 0x0
	v_add_f32_e32 v0, v0, v10
	s_delay_alu instid0(VALU_DEP_1)
	v_add_f32_e32 v57, v0, v11
.LBB83_64:                              ;   in Loop: Header=BB83_4 Depth=1
	s_wait_alu 0xfffe
	s_or_b32 exec_lo, exec_lo, s19
	s_mul_u64 s[92:93], s[24:25], s[34:35]
	s_and_not1_b32 vcc_lo, exec_lo, s97
	s_wait_alu 0xfffe
	s_lshl_b64 s[92:93], s[92:93], 2
	s_wait_loadcnt 0x0
	s_wait_alu 0xfffe
	s_add_nc_u64 s[92:93], s[30:31], s[92:93]
	s_barrier_signal -1
	s_barrier_wait -1
	global_inv scope:SCOPE_SE
	s_cbranch_vccnz .LBB83_71
; %bb.65:                               ;   in Loop: Header=BB83_4 Depth=1
	v_add_co_u32 v0, vcc_lo, v6, s90
	s_wait_alu 0xfffd
	v_add_co_ci_u32_e64 v1, null, s91, v7, vcc_lo
	s_lshl_b64 s[94:95], s[26:27], 2
	v_add_co_u32 v0, vcc_lo, v0, v20
	s_wait_alu 0xfffd
	v_add_co_ci_u32_e64 v1, null, v1, v21, vcc_lo
	v_mov_b32_e32 v16, v30
	s_delay_alu instid0(VALU_DEP_3) | instskip(SKIP_1) | instid1(VALU_DEP_3)
	v_add_co_u32 v0, vcc_lo, v0, v22
	s_wait_alu 0xfffd
	v_add_co_ci_u32_e64 v1, null, v1, v23, vcc_lo
	s_mov_b32 s19, ttmp9
	v_add_co_u32 v2, vcc_lo, v0, v24
	s_wait_alu 0xfffd
	v_add_co_ci_u32_e64 v3, null, v1, v25, vcc_lo
	s_wait_alu 0xfffe
	s_delay_alu instid0(VALU_DEP_2) | instskip(SKIP_1) | instid1(VALU_DEP_2)
	v_add_co_u32 v2, vcc_lo, v2, s94
	s_wait_alu 0xfffd
	v_add_co_ci_u32_e64 v3, null, s95, v3, vcc_lo
	v_add_co_u32 v0, vcc_lo, 0xffffff80, v0
	s_wait_alu 0xfffd
	v_add_co_ci_u32_e64 v1, null, -1, v1, vcc_lo
	v_add_co_u32 v2, vcc_lo, 0xffffff7c, v2
	s_wait_alu 0xfffd
	v_add_co_ci_u32_e64 v3, null, -1, v3, vcc_lo
	v_add_co_u32 v58, vcc_lo, v4, s88
	s_wait_alu 0xfffd
	v_add_co_ci_u32_e64 v59, null, s89, v5, vcc_lo
	s_delay_alu instid0(VALU_DEP_3)
	v_cndmask_b32_e64 v29, v1, v3, s17
	v_cndmask_b32_e64 v28, v0, v2, s17
	s_mov_b32 s94, 0
	s_branch .LBB83_67
.LBB83_66:                              ;   in Loop: Header=BB83_67 Depth=2
	s_wait_alu 0xfffe
	s_or_b32 exec_lo, exec_lo, s95
	v_fmac_f32_e32 v57, v63, v0
	v_add_co_u32 v28, vcc_lo, v28, s54
	s_wait_alu 0xfffd
	v_add_co_ci_u32_e64 v29, null, s55, v29, vcc_lo
	s_delay_alu instid0(VALU_DEP_3)
	v_dual_fmac_f32 v57, v61, v1 :: v_dual_add_nc_u32 v16, 64, v16
	s_add_co_i32 s19, s19, -1
	s_add_co_i32 s94, s94, s98
	s_wait_alu 0xfffe
	s_cmp_eq_u32 s19, 0
	v_fmac_f32_e32 v57, v60, v2
	s_wait_loadcnt 0x0
	s_wait_storecnt 0x0
	s_barrier_signal -1
	s_barrier_wait -1
	global_inv scope:SCOPE_SE
	v_fmac_f32_e32 v57, v62, v3
	s_delay_alu instid0(VALU_DEP_1) | instskip(NEXT) | instid1(VALU_DEP_1)
	v_fmac_f32_e32 v57, v67, v4
	v_fmac_f32_e32 v57, v65, v5
	s_delay_alu instid0(VALU_DEP_1) | instskip(NEXT) | instid1(VALU_DEP_1)
	v_fmac_f32_e32 v57, v64, v6
	;; [unrolled: 3-line block ×6, first 2 shown]
	v_fmac_f32_e32 v57, v72, v15
	s_cbranch_scc1 .LBB83_71
.LBB83_67:                              ;   Parent Loop BB83_4 Depth=1
                                        ; =>  This Inner Loop Header: Depth=2
	s_and_saveexec_b32 s100, s0
	s_cbranch_execz .LBB83_69
; %bb.68:                               ;   in Loop: Header=BB83_67 Depth=2
	s_wait_alu 0xfffe
	s_ashr_i32 s95, s94, 31
	s_wait_alu 0xfffe
	s_lshl_b64 s[102:103], s[94:95], 2
	s_wait_alu 0xfffe
	v_add_co_u32 v0, vcc_lo, v58, s102
	s_wait_alu 0xfffd
	v_add_co_ci_u32_e64 v1, null, s103, v59, vcc_lo
	global_load_b32 v0, v[0:1], off
	s_wait_loadcnt 0x0
	ds_store_b32 v43, v0
.LBB83_69:                              ;   in Loop: Header=BB83_67 Depth=2
	s_or_b32 exec_lo, exec_lo, s100
	v_add_co_u32 v0, vcc_lo, v28, s52
	s_wait_alu 0xfffd
	v_add_co_ci_u32_e64 v1, null, s53, v29, vcc_lo
	v_add_co_u32 v2, vcc_lo, v28, s56
	s_wait_alu 0xfffd
	v_add_co_ci_u32_e64 v3, null, s57, v29, vcc_lo
	;; [unrolled: 3-line block ×3, first 2 shown]
	s_wait_loadcnt_dscnt 0x0
	s_barrier_signal -1
	s_barrier_wait -1
	global_inv scope:SCOPE_SE
	s_clause 0x3
	global_load_b32 v63, v[28:29], off
	global_load_b32 v61, v[0:1], off
	;; [unrolled: 1-line block ×4, first 2 shown]
	ds_load_b32 v10, v35
	ds_load_b128 v[0:3], v44
	v_add_co_u32 v4, vcc_lo, v28, s82
	s_wait_alu 0xfffd
	v_add_co_ci_u32_e64 v5, null, s83, v29, vcc_lo
	v_add_co_u32 v6, vcc_lo, v28, s80
	s_wait_alu 0xfffd
	v_add_co_ci_u32_e64 v7, null, s81, v29, vcc_lo
	;; [unrolled: 3-line block ×3, first 2 shown]
	s_wait_loadcnt_dscnt 0x301
	v_mul_f32_e32 v12, v63, v10
	s_wait_loadcnt 0x2
	v_mul_f32_e32 v13, v61, v10
	s_wait_loadcnt 0x1
	;; [unrolled: 2-line block ×3, first 2 shown]
	v_mul_f32_e32 v15, v62, v10
	v_add_co_u32 v10, vcc_lo, v28, s62
	s_wait_alu 0xfffd
	v_add_co_ci_u32_e64 v11, null, s63, v29, vcc_lo
	ds_store_2addr_b32 v45, v12, v13 offset1:67
	ds_store_2addr_b32 v45, v14, v15 offset0:134 offset1:201
	s_wait_dscnt 0x0
	s_barrier_signal -1
	s_barrier_wait -1
	global_inv scope:SCOPE_SE
	ds_load_2addr_b32 v[76:77], v55 offset1:1
	ds_load_2addr_b32 v[78:79], v55 offset0:2 offset1:3
	s_wait_loadcnt_dscnt 0x0
	s_barrier_signal -1
	s_barrier_wait -1
	global_inv scope:SCOPE_SE
	s_clause 0x3
	global_load_b32 v67, v[4:5], off
	global_load_b32 v65, v[6:7], off
	global_load_b32 v64, v[8:9], off
	global_load_b32 v66, v[10:11], off
	ds_load_b32 v14, v35
	ds_load_b128 v[4:7], v44 offset:64
	v_add_co_u32 v8, vcc_lo, v28, s78
	s_wait_alu 0xfffd
	v_add_co_ci_u32_e64 v9, null, s79, v29, vcc_lo
	v_add_co_u32 v10, vcc_lo, v28, s76
	s_wait_alu 0xfffd
	v_add_co_ci_u32_e64 v11, null, s77, v29, vcc_lo
	;; [unrolled: 3-line block ×3, first 2 shown]
	v_add_f32_e32 v76, 0, v76
	s_wait_loadcnt_dscnt 0x301
	v_mul_f32_e32 v68, v67, v14
	s_wait_loadcnt 0x2
	v_mul_f32_e32 v69, v65, v14
	s_wait_loadcnt 0x1
	;; [unrolled: 2-line block ×3, first 2 shown]
	v_mul_f32_e32 v71, v66, v14
	v_add_co_u32 v14, vcc_lo, v28, s66
	s_wait_alu 0xfffd
	v_add_co_ci_u32_e64 v15, null, s67, v29, vcc_lo
	ds_store_2addr_b32 v45, v68, v69 offset1:67
	ds_store_2addr_b32 v45, v70, v71 offset0:134 offset1:201
	s_wait_dscnt 0x0
	s_barrier_signal -1
	s_barrier_wait -1
	global_inv scope:SCOPE_SE
	ds_load_2addr_b32 v[80:81], v55 offset1:1
	ds_load_2addr_b32 v[82:83], v55 offset0:2 offset1:3
	s_wait_loadcnt_dscnt 0x0
	s_barrier_signal -1
	s_barrier_wait -1
	global_inv scope:SCOPE_SE
	s_clause 0x3
	global_load_b32 v71, v[8:9], off
	global_load_b32 v69, v[10:11], off
	global_load_b32 v68, v[12:13], off
	global_load_b32 v70, v[14:15], off
	ds_load_b32 v74, v35
	ds_load_b128 v[8:11], v44 offset:128
	v_add_co_u32 v12, vcc_lo, v28, s74
	s_wait_alu 0xfffd
	v_add_co_ci_u32_e64 v13, null, s75, v29, vcc_lo
	v_add_co_u32 v14, vcc_lo, v28, s72
	s_wait_alu 0xfffd
	v_add_co_ci_u32_e64 v15, null, s73, v29, vcc_lo
	;; [unrolled: 3-line block ×4, first 2 shown]
	v_add_f32_e32 v80, 0, v80
	v_add_f32_e32 v76, v76, v77
	s_delay_alu instid0(VALU_DEP_2) | instskip(NEXT) | instid1(VALU_DEP_1)
	v_add_f32_e32 v77, v80, v81
	v_add_f32_e32 v77, v77, v82
	s_delay_alu instid0(VALU_DEP_1) | instskip(SKIP_1) | instid1(VALU_DEP_1)
	v_dual_add_f32 v76, v76, v78 :: v_dual_add_f32 v77, v77, v83
	s_wait_loadcnt_dscnt 0x301
	v_dual_add_f32 v76, v76, v79 :: v_dual_mul_f32 v75, v71, v74
	s_wait_loadcnt 0x2
	v_mul_f32_e32 v86, v69, v74
	s_wait_loadcnt 0x1
	v_mul_f32_e32 v87, v68, v74
	s_wait_loadcnt 0x0
	v_mul_f32_e32 v74, v70, v74
	ds_store_2addr_b32 v45, v75, v86 offset1:67
	ds_store_2addr_b32 v45, v87, v74 offset0:134 offset1:201
	s_wait_dscnt 0x0
	s_barrier_signal -1
	s_barrier_wait -1
	global_inv scope:SCOPE_SE
	ds_load_2addr_b32 v[86:87], v55 offset1:1
	ds_load_2addr_b32 v[88:89], v55 offset0:2 offset1:3
	s_wait_loadcnt_dscnt 0x0
	s_barrier_signal -1
	s_barrier_wait -1
	global_inv scope:SCOPE_SE
	s_clause 0x3
	global_load_b32 v75, v[12:13], off
	global_load_b32 v74, v[14:15], off
	;; [unrolled: 1-line block ×4, first 2 shown]
	ds_load_b32 v84, v35
	ds_load_b128 v[12:15], v44 offset:192
	v_add_f32_e32 v86, 0, v86
	s_delay_alu instid0(VALU_DEP_1) | instskip(NEXT) | instid1(VALU_DEP_1)
	v_add_f32_e32 v80, v86, v87
	v_add_f32_e32 v78, v80, v88
	s_wait_loadcnt_dscnt 0x301
	s_delay_alu instid0(VALU_DEP_1)
	v_dual_add_f32 v78, v78, v89 :: v_dual_mul_f32 v85, v75, v84
	s_wait_loadcnt 0x2
	v_mul_f32_e32 v90, v74, v84
	s_wait_loadcnt 0x1
	v_mul_f32_e32 v91, v73, v84
	;; [unrolled: 2-line block ×3, first 2 shown]
	ds_store_2addr_b32 v45, v85, v90 offset1:67
	ds_store_2addr_b32 v45, v91, v84 offset0:134 offset1:201
	s_wait_dscnt 0x0
	s_barrier_signal -1
	s_barrier_wait -1
	global_inv scope:SCOPE_SE
	ds_load_2addr_b32 v[84:85], v55 offset1:1
	ds_load_2addr_b32 v[90:91], v55 offset0:2 offset1:3
	s_wait_loadcnt_dscnt 0x0
	s_barrier_signal -1
	s_barrier_wait -1
	global_inv scope:SCOPE_SE
	v_add_f32_e32 v84, 0, v84
	s_delay_alu instid0(VALU_DEP_1) | instskip(NEXT) | instid1(VALU_DEP_1)
	v_add_f32_e32 v81, v84, v85
	v_add_f32_e32 v80, v81, v90
	s_delay_alu instid0(VALU_DEP_1)
	v_add_f32_e32 v79, v80, v91
	ds_store_2addr_b32 v46, v76, v77 offset1:16
	ds_store_2addr_b32 v46, v78, v79 offset0:32 offset1:48
	s_wait_loadcnt_dscnt 0x0
	s_barrier_signal -1
	s_barrier_wait -1
	global_inv scope:SCOPE_SE
	s_and_saveexec_b32 s95, s18
	s_cbranch_execz .LBB83_66
; %bb.70:                               ;   in Loop: Header=BB83_67 Depth=2
	ds_load_2addr_b32 v[76:77], v47 offset1:1
	ds_load_2addr_b32 v[78:79], v47 offset0:2 offset1:3
	ds_load_2addr_b32 v[80:81], v47 offset0:4 offset1:5
	;; [unrolled: 1-line block ×3, first 2 shown]
	s_wait_dscnt 0x3
	v_add_f32_e32 v76, v76, v77
	s_wait_dscnt 0x2
	s_delay_alu instid0(VALU_DEP_1) | instskip(NEXT) | instid1(VALU_DEP_1)
	v_add_f32_e32 v76, v76, v78
	v_add_f32_e32 v78, v76, v79
	ds_load_2addr_b32 v[76:77], v47 offset0:8 offset1:9
	s_wait_dscnt 0x2
	v_add_f32_e32 v78, v78, v80
	s_delay_alu instid0(VALU_DEP_1) | instskip(SKIP_3) | instid1(VALU_DEP_1)
	v_add_f32_e32 v80, v78, v81
	ds_load_2addr_b32 v[78:79], v47 offset0:10 offset1:11
	s_wait_dscnt 0x2
	v_add_f32_e32 v80, v80, v82
	v_add_f32_e32 v82, v80, v83
	ds_load_2addr_b32 v[80:81], v47 offset0:12 offset1:13
	ds_load_b32 v83, v47 offset:56
	s_wait_dscnt 0x3
	v_add_f32_e32 v76, v82, v76
	s_delay_alu instid0(VALU_DEP_1) | instskip(SKIP_1) | instid1(VALU_DEP_1)
	v_add_f32_e32 v76, v76, v77
	s_wait_dscnt 0x2
	v_add_f32_e32 v76, v76, v78
	ds_load_b32 v78, v48
	v_add_f32_e32 v76, v76, v79
	s_wait_dscnt 0x2
	s_delay_alu instid0(VALU_DEP_1) | instskip(NEXT) | instid1(VALU_DEP_1)
	v_add_f32_e32 v76, v76, v80
	v_add_f32_e32 v76, v76, v81
	s_wait_dscnt 0x1
	s_delay_alu instid0(VALU_DEP_1) | instskip(SKIP_2) | instid1(VALU_DEP_2)
	v_add_f32_e32 v79, v76, v83
	v_lshlrev_b64_e32 v[76:77], 2, v[16:17]
	s_wait_dscnt 0x0
	v_add_f32_e32 v78, v79, v78
	s_wait_alu 0xfffe
	s_delay_alu instid0(VALU_DEP_2)
	v_add_co_u32 v76, vcc_lo, s92, v76
	s_wait_alu 0xfffd
	v_add_co_ci_u32_e64 v77, null, s93, v77, vcc_lo
	global_store_b32 v[76:77], v78, off
	s_branch .LBB83_66
.LBB83_71:                              ;   in Loop: Header=BB83_4 Depth=1
	ds_store_b32 v49, v57
	s_wait_loadcnt_dscnt 0x0
	s_barrier_signal -1
	s_barrier_wait -1
	global_inv scope:SCOPE_SE
	s_and_saveexec_b32 s19, s99
	s_cbranch_execz .LBB83_2
; %bb.72:                               ;   in Loop: Header=BB83_4 Depth=1
	ds_load_2addr_b32 v[0:1], v33 offset1:67
	ds_load_2addr_b32 v[2:3], v33 offset0:134 offset1:201
	s_wait_dscnt 0x1
	v_add_f32_e32 v0, v0, v1
	s_wait_dscnt 0x0
	s_delay_alu instid0(VALU_DEP_1) | instskip(NEXT) | instid1(VALU_DEP_1)
	v_add_f32_e32 v0, v0, v2
	v_add_f32_e32 v2, v0, v3
	s_wait_alu 0xfffe
	v_add_co_u32 v0, vcc_lo, s92, v26
	s_wait_alu 0xfffd
	v_add_co_ci_u32_e64 v1, null, s93, v27, vcc_lo
	global_store_b32 v[0:1], v2, off
	s_branch .LBB83_2
.LBB83_73:                              ;   in Loop: Header=BB83_4 Depth=1
	ds_load_b32 v2, v52
	s_wait_dscnt 0x0
	ds_store_b32 v39, v2
	s_wait_alu 0xfffe
	s_or_b32 exec_lo, exec_lo, s19
	s_and_saveexec_b32 s19, s7
	s_cbranch_execz .LBB83_24
.LBB83_74:                              ;   in Loop: Header=BB83_4 Depth=1
	ds_load_b32 v2, v53
	s_wait_dscnt 0x0
	ds_store_b32 v39, v2 offset:4
	s_wait_alu 0xfffe
	s_or_b32 exec_lo, exec_lo, s19
	s_and_saveexec_b32 s19, s8
	s_cbranch_execz .LBB83_25
.LBB83_75:                              ;   in Loop: Header=BB83_4 Depth=1
	ds_load_b32 v2, v53 offset:132
	s_wait_dscnt 0x0
	ds_store_b32 v39, v2 offset:8
	s_wait_alu 0xfffe
	s_or_b32 exec_lo, exec_lo, s19
	s_and_saveexec_b32 s19, s9
	s_cbranch_execnz .LBB83_26
	s_branch .LBB83_27
.LBB83_76:                              ;   in Loop: Header=BB83_4 Depth=1
	ds_load_b32 v0, v52
	s_wait_dscnt 0x0
	ds_store_b32 v39, v0
	s_wait_alu 0xfffe
	s_or_b32 exec_lo, exec_lo, s19
	s_and_saveexec_b32 s19, s7
	s_cbranch_execz .LBB83_43
.LBB83_77:                              ;   in Loop: Header=BB83_4 Depth=1
	ds_load_b32 v0, v53
	s_wait_dscnt 0x0
	ds_store_b32 v39, v0 offset:4
	s_wait_alu 0xfffe
	s_or_b32 exec_lo, exec_lo, s19
	s_and_saveexec_b32 s19, s8
	s_cbranch_execz .LBB83_44
.LBB83_78:                              ;   in Loop: Header=BB83_4 Depth=1
	ds_load_b32 v0, v53 offset:132
	s_wait_dscnt 0x0
	ds_store_b32 v39, v0 offset:8
	s_wait_alu 0xfffe
	s_or_b32 exec_lo, exec_lo, s19
	s_and_saveexec_b32 s19, s9
	s_cbranch_execnz .LBB83_45
	s_branch .LBB83_46
.LBB83_79:
	s_endpgm
	.section	.rodata,"a",@progbits
	.p2align	6, 0x0
	.amdhsa_kernel _ZL26rocblas_hemvn_kernel_lowerILb0ELi64ELi4ELi33ELi32ELi16EiPKfS1_PfEviT6_lT7_lT5_lS4_lS5_lS3_lT8_i
		.amdhsa_group_segment_fixed_size 4800
		.amdhsa_private_segment_fixed_size 0
		.amdhsa_kernarg_size 376
		.amdhsa_user_sgpr_count 2
		.amdhsa_user_sgpr_dispatch_ptr 0
		.amdhsa_user_sgpr_queue_ptr 0
		.amdhsa_user_sgpr_kernarg_segment_ptr 1
		.amdhsa_user_sgpr_dispatch_id 0
		.amdhsa_user_sgpr_private_segment_size 0
		.amdhsa_wavefront_size32 1
		.amdhsa_uses_dynamic_stack 0
		.amdhsa_enable_private_segment 0
		.amdhsa_system_sgpr_workgroup_id_x 1
		.amdhsa_system_sgpr_workgroup_id_y 0
		.amdhsa_system_sgpr_workgroup_id_z 1
		.amdhsa_system_sgpr_workgroup_info 0
		.amdhsa_system_vgpr_workitem_id 1
		.amdhsa_next_free_vgpr 92
		.amdhsa_next_free_sgpr 104
		.amdhsa_reserve_vcc 1
		.amdhsa_float_round_mode_32 0
		.amdhsa_float_round_mode_16_64 0
		.amdhsa_float_denorm_mode_32 3
		.amdhsa_float_denorm_mode_16_64 3
		.amdhsa_fp16_overflow 0
		.amdhsa_workgroup_processor_mode 1
		.amdhsa_memory_ordered 1
		.amdhsa_forward_progress 1
		.amdhsa_inst_pref_size 56
		.amdhsa_round_robin_scheduling 0
		.amdhsa_exception_fp_ieee_invalid_op 0
		.amdhsa_exception_fp_denorm_src 0
		.amdhsa_exception_fp_ieee_div_zero 0
		.amdhsa_exception_fp_ieee_overflow 0
		.amdhsa_exception_fp_ieee_underflow 0
		.amdhsa_exception_fp_ieee_inexact 0
		.amdhsa_exception_int_div_zero 0
	.end_amdhsa_kernel
	.section	.text._ZL26rocblas_hemvn_kernel_lowerILb0ELi64ELi4ELi33ELi32ELi16EiPKfS1_PfEviT6_lT7_lT5_lS4_lS5_lS3_lT8_i,"axG",@progbits,_ZL26rocblas_hemvn_kernel_lowerILb0ELi64ELi4ELi33ELi32ELi16EiPKfS1_PfEviT6_lT7_lT5_lS4_lS5_lS3_lT8_i,comdat
.Lfunc_end83:
	.size	_ZL26rocblas_hemvn_kernel_lowerILb0ELi64ELi4ELi33ELi32ELi16EiPKfS1_PfEviT6_lT7_lT5_lS4_lS5_lS3_lT8_i, .Lfunc_end83-_ZL26rocblas_hemvn_kernel_lowerILb0ELi64ELi4ELi33ELi32ELi16EiPKfS1_PfEviT6_lT7_lT5_lS4_lS5_lS3_lT8_i
                                        ; -- End function
	.set _ZL26rocblas_hemvn_kernel_lowerILb0ELi64ELi4ELi33ELi32ELi16EiPKfS1_PfEviT6_lT7_lT5_lS4_lS5_lS3_lT8_i.num_vgpr, 92
	.set _ZL26rocblas_hemvn_kernel_lowerILb0ELi64ELi4ELi33ELi32ELi16EiPKfS1_PfEviT6_lT7_lT5_lS4_lS5_lS3_lT8_i.num_agpr, 0
	.set _ZL26rocblas_hemvn_kernel_lowerILb0ELi64ELi4ELi33ELi32ELi16EiPKfS1_PfEviT6_lT7_lT5_lS4_lS5_lS3_lT8_i.numbered_sgpr, 104
	.set _ZL26rocblas_hemvn_kernel_lowerILb0ELi64ELi4ELi33ELi32ELi16EiPKfS1_PfEviT6_lT7_lT5_lS4_lS5_lS3_lT8_i.num_named_barrier, 0
	.set _ZL26rocblas_hemvn_kernel_lowerILb0ELi64ELi4ELi33ELi32ELi16EiPKfS1_PfEviT6_lT7_lT5_lS4_lS5_lS3_lT8_i.private_seg_size, 0
	.set _ZL26rocblas_hemvn_kernel_lowerILb0ELi64ELi4ELi33ELi32ELi16EiPKfS1_PfEviT6_lT7_lT5_lS4_lS5_lS3_lT8_i.uses_vcc, 1
	.set _ZL26rocblas_hemvn_kernel_lowerILb0ELi64ELi4ELi33ELi32ELi16EiPKfS1_PfEviT6_lT7_lT5_lS4_lS5_lS3_lT8_i.uses_flat_scratch, 0
	.set _ZL26rocblas_hemvn_kernel_lowerILb0ELi64ELi4ELi33ELi32ELi16EiPKfS1_PfEviT6_lT7_lT5_lS4_lS5_lS3_lT8_i.has_dyn_sized_stack, 0
	.set _ZL26rocblas_hemvn_kernel_lowerILb0ELi64ELi4ELi33ELi32ELi16EiPKfS1_PfEviT6_lT7_lT5_lS4_lS5_lS3_lT8_i.has_recursion, 0
	.set _ZL26rocblas_hemvn_kernel_lowerILb0ELi64ELi4ELi33ELi32ELi16EiPKfS1_PfEviT6_lT7_lT5_lS4_lS5_lS3_lT8_i.has_indirect_call, 0
	.section	.AMDGPU.csdata,"",@progbits
; Kernel info:
; codeLenInByte = 7044
; TotalNumSgprs: 106
; NumVgprs: 92
; ScratchSize: 0
; MemoryBound: 0
; FloatMode: 240
; IeeeMode: 1
; LDSByteSize: 4800 bytes/workgroup (compile time only)
; SGPRBlocks: 0
; VGPRBlocks: 11
; NumSGPRsForWavesPerEU: 106
; NumVGPRsForWavesPerEU: 92
; Occupancy: 16
; WaveLimiterHint : 0
; COMPUTE_PGM_RSRC2:SCRATCH_EN: 0
; COMPUTE_PGM_RSRC2:USER_SGPR: 2
; COMPUTE_PGM_RSRC2:TRAP_HANDLER: 0
; COMPUTE_PGM_RSRC2:TGID_X_EN: 1
; COMPUTE_PGM_RSRC2:TGID_Y_EN: 0
; COMPUTE_PGM_RSRC2:TGID_Z_EN: 1
; COMPUTE_PGM_RSRC2:TIDIG_COMP_CNT: 1
	.section	.text._ZL36rocblas_hemvn_kernel_lower_block_sumILi64EiPKfPffEviT1_lS3_lT2_lT0_lPT3_i,"axG",@progbits,_ZL36rocblas_hemvn_kernel_lower_block_sumILi64EiPKfPffEviT1_lS3_lT2_lT0_lPT3_i,comdat
	.globl	_ZL36rocblas_hemvn_kernel_lower_block_sumILi64EiPKfPffEviT1_lS3_lT2_lT0_lPT3_i ; -- Begin function _ZL36rocblas_hemvn_kernel_lower_block_sumILi64EiPKfPffEviT1_lS3_lT2_lT0_lPT3_i
	.p2align	8
	.type	_ZL36rocblas_hemvn_kernel_lower_block_sumILi64EiPKfPffEviT1_lS3_lT2_lT0_lPT3_i,@function
_ZL36rocblas_hemvn_kernel_lower_block_sumILi64EiPKfPffEviT1_lS3_lT2_lT0_lPT3_i: ; @_ZL36rocblas_hemvn_kernel_lower_block_sumILi64EiPKfPffEviT1_lS3_lT2_lT0_lPT3_i
; %bb.0:
	s_load_b32 s3, s[0:1], 0x50
	s_lshr_b32 s16, ttmp7, 16
	s_wait_kmcnt 0x0
	s_cmp_ge_u32 s16, s3
	s_cbranch_scc1 .LBB84_25
; %bb.1:
	s_clause 0x2
	s_load_b32 s24, s[0:1], 0x0
	s_load_b32 s2, s[0:1], 0x38
	s_load_b128 s[20:23], s[0:1], 0x28
	v_lshl_or_b32 v0, ttmp9, 6, v0
	s_clause 0x1
	s_load_b128 s[12:15], s[0:1], 0x40
	s_load_b256 s[4:11], s[0:1], 0x8
	s_add_nc_u64 s[0:1], s[0:1], 0x58
	s_mov_b32 s17, 0
	s_wait_kmcnt 0x0
	s_wait_alu 0xfffe
	v_mad_co_u64_u32 v[1:2], null, s24, ttmp9, v[0:1]
	v_mul_lo_u32 v3, s2, v0
	v_cmp_gt_i32_e64 s2, s24, v0
	s_lshl_b64 s[18:19], s[22:23], 2
	s_ashr_i32 s25, s24, 31
	s_add_nc_u64 s[18:19], s[20:21], s[18:19]
	v_ashrrev_i32_e32 v2, 31, v1
	v_ashrrev_i32_e32 v4, 31, v3
	s_delay_alu instid0(VALU_DEP_2) | instskip(NEXT) | instid1(VALU_DEP_2)
	v_lshlrev_b64_e32 v[5:6], 2, v[1:2]
	v_lshlrev_b64_e32 v[0:1], 2, v[3:4]
	s_delay_alu instid0(VALU_DEP_2) | instskip(NEXT) | instid1(VALU_DEP_1)
	v_add_co_u32 v2, vcc_lo, s14, v5
	v_add_co_ci_u32_e64 v3, null, s15, v6, vcc_lo
	s_wait_alu 0xfffe
	s_lshl_b64 s[14:15], s[24:25], 2
	s_branch .LBB84_4
.LBB84_2:                               ;   in Loop: Header=BB84_4 Depth=1
	s_or_b32 exec_lo, exec_lo, s22
.LBB84_3:                               ;   in Loop: Header=BB84_4 Depth=1
	s_add_co_i32 s16, s16, 0x10000
	s_wait_alu 0xfffe
	s_cmp_lt_u32 s16, s3
	s_cbranch_scc0 .LBB84_25
.LBB84_4:                               ; =>This Loop Header: Depth=1
                                        ;     Child Loop BB84_16 Depth 2
	s_mul_u64 s[20:21], s[6:7], s[16:17]
	s_mul_u64 s[22:23], s[10:11], s[16:17]
	s_wait_alu 0xfffe
	s_lshl_b64 s[20:21], s[20:21], 2
	s_wait_alu 0xfffe
	s_add_nc_u64 s[20:21], s[4:5], s[20:21]
	s_load_b32 s24, s[20:21], 0x0
	s_lshl_b64 s[20:21], s[22:23], 2
	s_wait_alu 0xfffe
	s_add_nc_u64 s[20:21], s[8:9], s[20:21]
	s_load_b32 s25, s[20:21], 0x0
	s_wait_kmcnt 0x0
	s_cmp_eq_f32 s24, 0
	s_cselect_b32 s20, -1, 0
	s_cmp_eq_f32 s25, 1.0
	s_cselect_b32 s21, -1, 0
	s_wait_alu 0xfffe
	s_and_b32 s20, s20, s21
	s_wait_alu 0xfffe
	s_and_b32 vcc_lo, exec_lo, s20
	s_wait_alu 0xfffe
	s_cbranch_vccnz .LBB84_3
; %bb.5:                                ;   in Loop: Header=BB84_4 Depth=1
	s_mul_u64 s[20:21], s[12:13], s[16:17]
	s_wait_alu 0xfffe
	s_lshl_b64 s[20:21], s[20:21], 2
	s_cmp_neq_f32 s24, 0
	s_wait_alu 0xfffe
	s_add_nc_u64 s[20:21], s[18:19], s[20:21]
	s_cbranch_scc1 .LBB84_9
; %bb.6:                                ;   in Loop: Header=BB84_4 Depth=1
	s_mov_b32 s22, 0
	s_mov_b32 s26, 0
                                        ; implicit-def: $vgpr4
	s_and_saveexec_b32 s23, s2
	s_cbranch_execz .LBB84_10
; %bb.7:                                ;   in Loop: Header=BB84_4 Depth=1
	s_cmp_eq_f32 s25, 0
	s_cbranch_scc1 .LBB84_11
; %bb.8:                                ;   in Loop: Header=BB84_4 Depth=1
	s_wait_alu 0xfffe
	v_add_co_u32 v4, vcc_lo, s20, v0
	s_wait_alu 0xfffd
	v_add_co_ci_u32_e64 v5, null, s21, v1, vcc_lo
	global_load_b32 v4, v[4:5], off
	s_wait_loadcnt 0x0
	v_mul_f32_e32 v4, s25, v4
	s_branch .LBB84_12
.LBB84_9:                               ;   in Loop: Header=BB84_4 Depth=1
	s_mov_b32 s26, 0
                                        ; implicit-def: $vgpr4
	s_cbranch_execnz .LBB84_13
	s_branch .LBB84_22
.LBB84_10:                              ;   in Loop: Header=BB84_4 Depth=1
	s_or_b32 exec_lo, exec_lo, s23
	s_delay_alu instid0(SALU_CYCLE_1)
	s_and_b32 vcc_lo, exec_lo, s22
	s_wait_alu 0xfffe
	s_cbranch_vccnz .LBB84_13
	s_branch .LBB84_22
.LBB84_11:                              ;   in Loop: Header=BB84_4 Depth=1
	v_mov_b32_e32 v4, 0
.LBB84_12:                              ;   in Loop: Header=BB84_4 Depth=1
	s_mov_b32 s26, exec_lo
	s_or_b32 exec_lo, exec_lo, s23
	s_delay_alu instid0(SALU_CYCLE_1)
	s_and_b32 vcc_lo, exec_lo, s22
	s_wait_alu 0xfffe
	s_cbranch_vccz .LBB84_22
.LBB84_13:                              ;   in Loop: Header=BB84_4 Depth=1
                                        ; implicit-def: $vgpr4
	s_and_saveexec_b32 s27, s2
	s_cbranch_execz .LBB84_21
; %bb.14:                               ;   in Loop: Header=BB84_4 Depth=1
	s_load_b32 s22, s[0:1], 0x0
	v_mov_b32_e32 v6, 0
	s_wait_kmcnt 0x0
	s_cmp_ge_i32 ttmp9, s22
	s_cbranch_scc1 .LBB84_17
; %bb.15:                               ;   in Loop: Header=BB84_4 Depth=1
	s_mov_b32 s23, s17
	s_mov_b32 s28, ttmp9
	s_mul_u64 s[30:31], s[14:15], s[22:23]
	s_wait_alu 0xfffe
	v_mad_co_u64_u32 v[4:5], null, s30, s16, v[2:3]
	s_delay_alu instid0(VALU_DEP_1)
	v_mad_co_u64_u32 v[5:6], null, s31, s16, v[5:6]
	v_mov_b32_e32 v6, 0
.LBB84_16:                              ;   Parent Loop BB84_4 Depth=1
                                        ; =>  This Inner Loop Header: Depth=2
	global_load_b32 v7, v[4:5], off
	v_add_co_u32 v4, vcc_lo, v4, s14
	s_wait_alu 0xfffd
	v_add_co_ci_u32_e64 v5, null, s15, v5, vcc_lo
	s_add_co_i32 s28, s28, 1
	s_delay_alu instid0(SALU_CYCLE_1)
	s_cmp_ge_i32 s28, s22
	s_wait_loadcnt 0x0
	v_add_f32_e32 v6, v6, v7
	s_cbranch_scc0 .LBB84_16
.LBB84_17:                              ;   in Loop: Header=BB84_4 Depth=1
	s_cmp_eq_f32 s25, 0
	s_cbranch_scc0 .LBB84_24
; %bb.18:                               ;   in Loop: Header=BB84_4 Depth=1
	s_delay_alu instid0(VALU_DEP_1)
	v_mul_f32_e32 v4, s24, v6
	s_cbranch_execnz .LBB84_20
.LBB84_19:                              ;   in Loop: Header=BB84_4 Depth=1
	v_add_co_u32 v4, vcc_lo, s20, v0
	s_wait_alu 0xfffd
	v_add_co_ci_u32_e64 v5, null, s21, v1, vcc_lo
	global_load_b32 v4, v[4:5], off
	s_wait_loadcnt 0x0
	v_mul_f32_e32 v4, s25, v4
	s_delay_alu instid0(VALU_DEP_1)
	v_fmac_f32_e32 v4, s24, v6
.LBB84_20:                              ;   in Loop: Header=BB84_4 Depth=1
	s_or_b32 s26, s26, exec_lo
.LBB84_21:                              ;   in Loop: Header=BB84_4 Depth=1
	s_or_b32 exec_lo, exec_lo, s27
.LBB84_22:                              ;   in Loop: Header=BB84_4 Depth=1
	s_and_saveexec_b32 s22, s26
	s_cbranch_execz .LBB84_2
; %bb.23:                               ;   in Loop: Header=BB84_4 Depth=1
	s_wait_alu 0xfffe
	v_add_co_u32 v5, vcc_lo, s20, v0
	s_wait_alu 0xfffd
	v_add_co_ci_u32_e64 v6, null, s21, v1, vcc_lo
	global_store_b32 v[5:6], v4, off
	s_branch .LBB84_2
.LBB84_24:                              ;   in Loop: Header=BB84_4 Depth=1
                                        ; implicit-def: $vgpr4
	s_branch .LBB84_19
.LBB84_25:
	s_endpgm
	.section	.rodata,"a",@progbits
	.p2align	6, 0x0
	.amdhsa_kernel _ZL36rocblas_hemvn_kernel_lower_block_sumILi64EiPKfPffEviT1_lS3_lT2_lT0_lPT3_i
		.amdhsa_group_segment_fixed_size 0
		.amdhsa_private_segment_fixed_size 0
		.amdhsa_kernarg_size 344
		.amdhsa_user_sgpr_count 2
		.amdhsa_user_sgpr_dispatch_ptr 0
		.amdhsa_user_sgpr_queue_ptr 0
		.amdhsa_user_sgpr_kernarg_segment_ptr 1
		.amdhsa_user_sgpr_dispatch_id 0
		.amdhsa_user_sgpr_private_segment_size 0
		.amdhsa_wavefront_size32 1
		.amdhsa_uses_dynamic_stack 0
		.amdhsa_enable_private_segment 0
		.amdhsa_system_sgpr_workgroup_id_x 1
		.amdhsa_system_sgpr_workgroup_id_y 0
		.amdhsa_system_sgpr_workgroup_id_z 1
		.amdhsa_system_sgpr_workgroup_info 0
		.amdhsa_system_vgpr_workitem_id 0
		.amdhsa_next_free_vgpr 8
		.amdhsa_next_free_sgpr 32
		.amdhsa_reserve_vcc 1
		.amdhsa_float_round_mode_32 0
		.amdhsa_float_round_mode_16_64 0
		.amdhsa_float_denorm_mode_32 3
		.amdhsa_float_denorm_mode_16_64 3
		.amdhsa_fp16_overflow 0
		.amdhsa_workgroup_processor_mode 1
		.amdhsa_memory_ordered 1
		.amdhsa_forward_progress 1
		.amdhsa_inst_pref_size 6
		.amdhsa_round_robin_scheduling 0
		.amdhsa_exception_fp_ieee_invalid_op 0
		.amdhsa_exception_fp_denorm_src 0
		.amdhsa_exception_fp_ieee_div_zero 0
		.amdhsa_exception_fp_ieee_overflow 0
		.amdhsa_exception_fp_ieee_underflow 0
		.amdhsa_exception_fp_ieee_inexact 0
		.amdhsa_exception_int_div_zero 0
	.end_amdhsa_kernel
	.section	.text._ZL36rocblas_hemvn_kernel_lower_block_sumILi64EiPKfPffEviT1_lS3_lT2_lT0_lPT3_i,"axG",@progbits,_ZL36rocblas_hemvn_kernel_lower_block_sumILi64EiPKfPffEviT1_lS3_lT2_lT0_lPT3_i,comdat
.Lfunc_end84:
	.size	_ZL36rocblas_hemvn_kernel_lower_block_sumILi64EiPKfPffEviT1_lS3_lT2_lT0_lPT3_i, .Lfunc_end84-_ZL36rocblas_hemvn_kernel_lower_block_sumILi64EiPKfPffEviT1_lS3_lT2_lT0_lPT3_i
                                        ; -- End function
	.set _ZL36rocblas_hemvn_kernel_lower_block_sumILi64EiPKfPffEviT1_lS3_lT2_lT0_lPT3_i.num_vgpr, 8
	.set _ZL36rocblas_hemvn_kernel_lower_block_sumILi64EiPKfPffEviT1_lS3_lT2_lT0_lPT3_i.num_agpr, 0
	.set _ZL36rocblas_hemvn_kernel_lower_block_sumILi64EiPKfPffEviT1_lS3_lT2_lT0_lPT3_i.numbered_sgpr, 32
	.set _ZL36rocblas_hemvn_kernel_lower_block_sumILi64EiPKfPffEviT1_lS3_lT2_lT0_lPT3_i.num_named_barrier, 0
	.set _ZL36rocblas_hemvn_kernel_lower_block_sumILi64EiPKfPffEviT1_lS3_lT2_lT0_lPT3_i.private_seg_size, 0
	.set _ZL36rocblas_hemvn_kernel_lower_block_sumILi64EiPKfPffEviT1_lS3_lT2_lT0_lPT3_i.uses_vcc, 1
	.set _ZL36rocblas_hemvn_kernel_lower_block_sumILi64EiPKfPffEviT1_lS3_lT2_lT0_lPT3_i.uses_flat_scratch, 0
	.set _ZL36rocblas_hemvn_kernel_lower_block_sumILi64EiPKfPffEviT1_lS3_lT2_lT0_lPT3_i.has_dyn_sized_stack, 0
	.set _ZL36rocblas_hemvn_kernel_lower_block_sumILi64EiPKfPffEviT1_lS3_lT2_lT0_lPT3_i.has_recursion, 0
	.set _ZL36rocblas_hemvn_kernel_lower_block_sumILi64EiPKfPffEviT1_lS3_lT2_lT0_lPT3_i.has_indirect_call, 0
	.section	.AMDGPU.csdata,"",@progbits
; Kernel info:
; codeLenInByte = 732
; TotalNumSgprs: 34
; NumVgprs: 8
; ScratchSize: 0
; MemoryBound: 0
; FloatMode: 240
; IeeeMode: 1
; LDSByteSize: 0 bytes/workgroup (compile time only)
; SGPRBlocks: 0
; VGPRBlocks: 0
; NumSGPRsForWavesPerEU: 34
; NumVGPRsForWavesPerEU: 8
; Occupancy: 16
; WaveLimiterHint : 0
; COMPUTE_PGM_RSRC2:SCRATCH_EN: 0
; COMPUTE_PGM_RSRC2:USER_SGPR: 2
; COMPUTE_PGM_RSRC2:TRAP_HANDLER: 0
; COMPUTE_PGM_RSRC2:TGID_X_EN: 1
; COMPUTE_PGM_RSRC2:TGID_Y_EN: 0
; COMPUTE_PGM_RSRC2:TGID_Z_EN: 1
; COMPUTE_PGM_RSRC2:TIDIG_COMP_CNT: 0
	.section	.text._ZL26rocblas_hemvn_kernel_lowerILb0ELi64ELi4ELi33ELi32ELi16ElfPKfPfEviT6_lT7_lT5_lS4_lS5_lS3_lT8_i,"axG",@progbits,_ZL26rocblas_hemvn_kernel_lowerILb0ELi64ELi4ELi33ELi32ELi16ElfPKfPfEviT6_lT7_lT5_lS4_lS5_lS3_lT8_i,comdat
	.globl	_ZL26rocblas_hemvn_kernel_lowerILb0ELi64ELi4ELi33ELi32ELi16ElfPKfPfEviT6_lT7_lT5_lS4_lS5_lS3_lT8_i ; -- Begin function _ZL26rocblas_hemvn_kernel_lowerILb0ELi64ELi4ELi33ELi32ELi16ElfPKfPfEviT6_lT7_lT5_lS4_lS5_lS3_lT8_i
	.p2align	8
	.type	_ZL26rocblas_hemvn_kernel_lowerILb0ELi64ELi4ELi33ELi32ELi16ElfPKfPfEviT6_lT7_lT5_lS4_lS5_lS3_lT8_i,@function
_ZL26rocblas_hemvn_kernel_lowerILb0ELi64ELi4ELi33ELi32ELi16ElfPKfPfEviT6_lT7_lT5_lS4_lS5_lS3_lT8_i: ; @_ZL26rocblas_hemvn_kernel_lowerILb0ELi64ELi4ELi33ELi32ELi16ElfPKfPfEviT6_lT7_lT5_lS4_lS5_lS3_lT8_i
; %bb.0:
	s_clause 0x1
	s_load_b64 s[2:3], s[0:1], 0x7c
	s_load_b32 s33, s[0:1], 0x68
	s_lshr_b32 s34, ttmp7, 16
	s_wait_kmcnt 0x0
	s_lshr_b32 s4, s2, 16
	s_and_b32 s2, s2, 0xffff
	s_and_b32 s3, s3, 0xffff
	s_mul_i32 s2, s4, s2
	s_delay_alu instid0(SALU_CYCLE_1) | instskip(NEXT) | instid1(SALU_CYCLE_1)
	s_mul_i32 s2, s2, s3
	s_cmp_lg_u32 s2, 0x100
	s_cselect_b32 s2, -1, 0
	s_cmp_ge_u32 s34, s33
	s_cselect_b32 s3, -1, 0
	s_delay_alu instid0(SALU_CYCLE_1) | instskip(NEXT) | instid1(SALU_CYCLE_1)
	s_or_b32 s2, s2, s3
	s_and_b32 vcc_lo, exec_lo, s2
	s_cbranch_vccnz .LBB85_79
; %bb.1:
	s_clause 0x2
	s_load_b512 s[16:31], s[0:1], 0x10
	s_load_b32 s8, s[0:1], 0x50
	s_load_b64 s[2:3], s[0:1], 0x0
	s_add_nc_u64 s[6:7], s[0:1], 0x70
	s_load_b64 s[4:5], s[0:1], 0x60
	s_load_b32 s36, s[6:7], 0x0
	v_dual_mov_b32 v17, 0 :: v_dual_and_b32 v28, 0x3ff, v0
	v_bfe_u32 v11, v0, 10, 10
	v_and_b32_e32 v16, 31, v0
	s_mov_b32 s37, 0
	s_delay_alu instid0(VALU_DEP_3) | instskip(NEXT) | instid1(VALU_DEP_3)
	v_lshlrev_b32_e32 v56, 2, v28
	v_lshl_add_u32 v12, v11, 6, v28
	v_cmp_eq_u32_e64 s0, 0, v11
	v_lshl_add_u32 v43, v11, 4, 0x10c0
	v_lshlrev_b32_e32 v55, 2, v16
	s_delay_alu instid0(VALU_DEP_4)
	v_lshrrev_b32_e32 v10, 5, v12
	v_and_b32_e32 v25, 0x7ff0, v12
	s_wait_kmcnt 0x0
	s_lshl_b64 s[6:7], s[26:27], 2
	s_lshl_b64 s[12:13], s[18:19], 2
	s_cmp_neq_f32 s8, 1.0
	v_mad_co_u64_u32 v[1:2], null, s20, v10, v[16:17]
	s_add_nc_u64 s[10:11], s[24:25], s[6:7]
	s_cselect_b32 s1, -1, 0
	s_cmp_neq_f32 s3, 0
	s_add_nc_u64 s[6:7], s[16:17], s[12:13]
	s_mul_i32 s8, s2, ttmp9
	v_lshlrev_b32_e32 v18, 4, v10
	s_cselect_b32 s9, -1, 0
	s_lshl_b32 s18, ttmp9, 6
	s_ashr_i32 s3, s2, 31
	v_add_nc_u32_e32 v3, s18, v28
	s_lshr_b32 s13, s3, 26
	s_add_co_i32 s12, s36, -1
	s_add_co_i32 s13, s2, s13
	s_or_b32 s84, s9, s1
	v_ashrrev_i32_e32 v4, 31, v3
	v_mul_lo_u32 v9, s29, v3
	v_mad_co_u64_u32 v[5:6], null, s28, v3, 0
	s_and_not1_b32 s13, s13, 63
	v_mul_lo_u32 v13, s28, v4
	v_mad_co_u64_u32 v[7:8], null, s21, v10, v[2:3]
	s_sub_co_i32 s1, s2, s13
	s_cmp_eq_u32 ttmp9, s12
	v_lshlrev_b32_e32 v29, 2, v28
	s_cselect_b32 s26, s1, 0
	v_cndmask_b32_e64 v31, 0, 1, s9
	v_add3_u32 v6, v6, v13, v9
	v_cmp_gt_i32_e32 vcc_lo, s26, v28
	s_cmp_eq_u32 s26, 0
	v_mov_b32_e32 v2, v7
	s_cselect_b32 s1, -1, 0
	v_lshlrev_b64_e32 v[5:6], 2, v[5:6]
	s_or_b32 s85, s1, vcc_lo
	s_ashr_i32 s9, s8, 31
	s_ashr_i32 s19, s18, 31
	v_lshlrev_b32_e32 v13, 2, v16
	s_mul_u64 s[24:25], s[36:37], s[2:3]
	v_add_co_u32 v33, vcc_lo, s10, v5
	s_delay_alu instid0(VALU_DEP_1)
	v_add_co_ci_u32_e64 v34, null, s11, v6, vcc_lo
	v_lshlrev_b64_e32 v[5:6], 2, v[1:2]
	s_wait_alu 0xfffe
	s_lshl_b64 s[2:3], s[8:9], 2
	s_lshl_b64 s[8:9], s[18:19], 2
	s_add_nc_u64 s[38:39], s[4:5], s[2:3]
	s_wait_alu 0xfffe
	s_add_nc_u64 s[2:3], s[6:7], s[8:9]
	v_lshl_or_b32 v37, v16, 7, v13
	v_add_co_u32 v2, vcc_lo, s2, v5
	s_mul_u64 s[46:47], s[20:21], s[18:19]
	s_wait_alu 0xfffd
	v_add_co_ci_u32_e64 v5, null, s3, v6, vcc_lo
	s_lshl_b64 s[2:3], s[46:47], 2
	v_lshlrev_b32_e32 v15, 2, v10
	s_wait_alu 0xfffe
	v_add_co_u32 v35, vcc_lo, v2, s2
	v_add_nc_u32_e32 v2, 8, v10
	v_add_nc_u32_e32 v8, 16, v10
	;; [unrolled: 1-line block ×5, first 2 shown]
	v_lshlrev_b32_e32 v18, 2, v11
	s_cmp_lg_u32 s26, 0
	v_or_b32_e32 v19, 1, v15
	s_cselect_b32 s17, -1, 0
	s_sub_co_i32 s15, s26, 32
	v_cmp_gt_i32_e64 s4, s26, v8
	v_cmp_gt_i32_e64 s5, s26, v9
	;; [unrolled: 1-line block ×6, first 2 shown]
	v_mad_co_u64_u32 v[8:9], null, s20, v18, 0
	v_or_b32_e32 v21, 2, v15
	v_cmp_lt_u32_e64 s7, v19, v16
	v_mul_u32_u24_e32 v23, 0x84, v19
	v_mul_u32_u24_e32 v19, 33, v16
	s_wait_alu 0xfffd
	v_add_co_ci_u32_e64 v36, null, s3, v5, vcc_lo
	v_cmp_gt_i32_e64 s3, s26, v2
	v_cmp_lt_u32_e64 s8, v21, v16
	v_or_b32_e32 v21, 32, v16
	v_lshl_add_u32 v40, v19, 2, v15
	v_cmp_le_i32_e32 vcc_lo, s26, v28
	v_mov_b32_e32 v2, v9
	v_sub_co_u32 v5, s2, 0, v16
	v_mul_u32_u24_e32 v14, 0x84, v10
	s_wait_alu 0xf1ff
	v_sub_co_ci_u32_e64 v6, null, 0, 0, s2
	v_cmp_gt_i32_e64 s2, s26, v10
	v_mul_u32_u24_e32 v20, 0x210, v10
	v_cmp_gt_i32_e64 s11, s26, v21
	v_cmp_eq_u32_e64 s16, 1, v10
	v_mul_i32_i24_e32 v21, -12, v10
	v_mad_u32_u24 v41, v10, 12, v40
	s_and_b32 s17, s17, vcc_lo
	v_mad_co_u64_u32 v[9:10], null, s21, v18, v[2:3]
	v_sub_co_u32 v1, vcc_lo, 0, v1
	v_and_b32_e32 v10, 15, v0
	s_wait_alu 0xfffd
	v_sub_co_ci_u32_e64 v2, null, 0, v7, vcc_lo
	v_lshrrev_b32_e32 v7, 2, v12
	v_and_b32_e32 v0, 48, v0
	v_or_b32_e32 v22, 3, v15
	v_mul_u32_u24_e32 v24, 0x10c, v10
	v_or_b32_e32 v18, 60, v29
	v_mad_u32_u24 v44, 0x430, v11, v29
	v_and_b32_e32 v7, 0x1ffc, v7
	v_lshlrev_b32_e32 v0, 2, v0
	s_mul_u64 s[18:19], s[28:29], s[18:19]
	s_lshl_b64 s[40:41], s[20:21], 5
	v_cmp_lt_u32_e64 s9, v22, v16
	v_mad_u32_u24 v47, 0x10c, v10, v18
	v_lshlrev_b64_e32 v[18:19], 2, v[5:6]
	v_add_nc_u32_e32 v51, v13, v20
	v_add_nc_u32_e32 v52, v13, v23
	;; [unrolled: 1-line block ×3, first 2 shown]
	v_lshlrev_b64_e32 v[20:21], 2, v[1:2]
	v_lshlrev_b64_e32 v[22:23], 2, v[8:9]
	v_add_nc_u32_e32 v54, v24, v25
	v_lshlrev_b64_e32 v[24:25], 2, v[3:4]
	v_add_nc_u32_e32 v30, 0x11c0, v29
	v_cndmask_b32_e64 v32, 0, 1, s1
	s_lshl_b64 s[42:43], s[20:21], 6
	v_cmp_gt_i32_e64 s1, s26, v16
	s_ashr_i32 s27, s26, 31
	v_cmp_lt_u32_e64 s6, v15, v16
	v_cmp_gt_u32_e64 s10, 32, v12
	s_xor_b32 s35, s17, -1
	s_wait_alu 0xfffe
	s_sub_nc_u64 s[78:79], 0, s[18:19]
	v_add_nc_u32_e32 v42, 0x10c0, v29
	v_mad_u32_u24 v45, 0x10c, v10, v7
	v_cmp_gt_u32_e64 s18, 64, v12
	v_mad_u32_u24 v46, 0x10c, v10, v0
	v_mad_i32_i24 v48, 0xfffffcdc, v11, v44
	v_add_nc_u32_e32 v49, 0x11c0, v15
	v_add_nc_u32_e32 v50, v13, v14
	s_sub_nc_u64 s[76:77], 0, s[40:41]
	s_cmp_gt_i32 ttmp9, 0
	s_sub_nc_u64 s[80:81], 0, s[46:47]
	s_mul_u64 s[44:45], s[20:21], 0x60
	s_cselect_b32 s86, -1, 0
	s_and_b32 s87, s0, s35
	s_sub_nc_u64 s[46:47], 0, s[26:27]
	s_lshl_b64 s[48:49], s[20:21], 2
	s_lshl_b64 s[50:51], s[20:21], 8
	;; [unrolled: 1-line block ×3, first 2 shown]
	s_mul_u64 s[54:55], s[20:21], 12
	s_mul_u64 s[56:57], s[20:21], 0x48
	;; [unrolled: 1-line block ×10, first 2 shown]
	s_lshl_b64 s[74:75], s[20:21], 7
	s_mul_u64 s[20:21], s[20:21], 0x44
	s_lshl_b64 s[76:77], s[76:77], 2
	s_lshl_b64 s[78:79], s[78:79], 2
	;; [unrolled: 1-line block ×3, first 2 shown]
	s_branch .LBB85_4
.LBB85_2:                               ;   in Loop: Header=BB85_4 Depth=1
	s_wait_alu 0xfffe
	s_or_b32 exec_lo, exec_lo, s19
.LBB85_3:                               ;   in Loop: Header=BB85_4 Depth=1
	s_add_co_i32 s34, s34, 0x10000
	s_delay_alu instid0(SALU_CYCLE_1)
	s_cmp_lt_u32 s34, s33
	s_cbranch_scc0 .LBB85_79
.LBB85_4:                               ; =>This Loop Header: Depth=1
                                        ;     Child Loop BB85_67 Depth 2
	s_and_not1_b32 vcc_lo, exec_lo, s84
	s_wait_alu 0xfffe
	s_cbranch_vccnz .LBB85_3
; %bb.5:                                ;   in Loop: Header=BB85_4 Depth=1
	v_cmp_ne_u32_e32 vcc_lo, 1, v31
	s_cbranch_vccnz .LBB85_3
; %bb.6:                                ;   in Loop: Header=BB85_4 Depth=1
	s_mov_b32 s35, s37
	s_delay_alu instid0(SALU_CYCLE_1)
	s_mul_u64 s[82:83], s[30:31], s[34:35]
	s_wait_alu 0xfffe
	s_lshl_b64 s[82:83], s[82:83], 2
	s_wait_alu 0xfffe
	v_add_co_u32 v4, vcc_lo, v33, s82
	s_wait_alu 0xfffd
	v_add_co_ci_u32_e64 v5, null, s83, v34, vcc_lo
	s_and_saveexec_b32 s19, s0
	s_cbranch_execz .LBB85_10
; %bb.7:                                ;   in Loop: Header=BB85_4 Depth=1
	v_mov_b32_e32 v0, 0
	s_and_saveexec_b32 s36, s85
	s_cbranch_execz .LBB85_9
; %bb.8:                                ;   in Loop: Header=BB85_4 Depth=1
	global_load_b32 v0, v[4:5], off
.LBB85_9:                               ;   in Loop: Header=BB85_4 Depth=1
	s_wait_alu 0xfffe
	s_or_b32 exec_lo, exec_lo, s36
	s_wait_loadcnt 0x0
	ds_store_b32 v30, v0
.LBB85_10:                              ;   in Loop: Header=BB85_4 Depth=1
	s_wait_alu 0xfffe
	s_or_b32 exec_lo, exec_lo, s19
	s_mul_u64 s[82:83], s[22:23], s[34:35]
	v_cmp_ne_u32_e32 vcc_lo, 1, v32
	s_wait_alu 0xfffe
	s_lshl_b64 s[82:83], s[82:83], 2
	s_wait_alu 0xfffe
	v_add_co_u32 v0, s19, v35, s82
	s_wait_alu 0xf1ff
	v_add_co_ci_u32_e64 v1, null, s83, v36, s19
	s_mov_b32 s19, -1
	s_cbranch_vccnz .LBB85_12
; %bb.11:                               ;   in Loop: Header=BB85_4 Depth=1
	v_add_co_u32 v2, vcc_lo, v0, s40
	s_wait_alu 0xfffd
	v_add_co_ci_u32_e64 v3, null, s41, v1, vcc_lo
	s_mov_b32 s19, 0
	v_add_co_u32 v6, vcc_lo, v2, s40
	s_wait_alu 0xfffd
	v_add_co_ci_u32_e64 v7, null, s41, v3, vcc_lo
	s_delay_alu instid0(VALU_DEP_2) | instskip(SKIP_1) | instid1(VALU_DEP_2)
	v_add_co_u32 v8, vcc_lo, v6, s40
	s_wait_alu 0xfffd
	v_add_co_ci_u32_e64 v9, null, s41, v7, vcc_lo
	s_clause 0x3
	global_load_b32 v10, v[0:1], off
	global_load_b32 v2, v[2:3], off
	;; [unrolled: 1-line block ×4, first 2 shown]
	s_wait_loadcnt 0x3
	ds_store_b32 v50, v10
	s_wait_loadcnt 0x2
	ds_store_b32 v50, v2 offset:1056
	s_wait_loadcnt 0x1
	ds_store_b32 v50, v3 offset:2112
	;; [unrolled: 2-line block ×3, first 2 shown]
.LBB85_12:                              ;   in Loop: Header=BB85_4 Depth=1
	s_wait_alu 0xfffe
	s_and_not1_b32 vcc_lo, exec_lo, s19
	s_wait_alu 0xfffe
	s_cbranch_vccnz .LBB85_22
; %bb.13:                               ;   in Loop: Header=BB85_4 Depth=1
	v_add_co_u32 v2, vcc_lo, v0, v18
	s_wait_alu 0xfffd
	v_add_co_ci_u32_e64 v3, null, v1, v19, vcc_lo
	s_lshl_b64 s[82:83], s[26:27], 2
	v_dual_mov_b32 v7, 0 :: v_dual_mov_b32 v6, 0
	s_wait_alu 0xfffe
	v_add_co_u32 v2, vcc_lo, v2, s82
	s_wait_alu 0xfffd
	v_add_co_ci_u32_e64 v3, null, s83, v3, vcc_lo
	s_delay_alu instid0(VALU_DEP_2) | instskip(SKIP_1) | instid1(VALU_DEP_2)
	v_add_co_u32 v2, vcc_lo, v2, -4
	s_wait_alu 0xfffd
	v_add_co_ci_u32_e64 v3, null, -1, v3, vcc_lo
	s_delay_alu instid0(VALU_DEP_2) | instskip(NEXT) | instid1(VALU_DEP_2)
	v_cndmask_b32_e64 v2, v2, v0, s1
	v_cndmask_b32_e64 v3, v3, v1, s1
	s_and_saveexec_b32 s19, s2
	s_cbranch_execz .LBB85_15
; %bb.14:                               ;   in Loop: Header=BB85_4 Depth=1
	global_load_b32 v6, v[2:3], off
.LBB85_15:                              ;   in Loop: Header=BB85_4 Depth=1
	s_wait_alu 0xfffe
	s_or_b32 exec_lo, exec_lo, s19
	s_wait_loadcnt 0x0
	ds_store_b32 v50, v6
	s_and_saveexec_b32 s19, s3
	s_cbranch_execz .LBB85_17
; %bb.16:                               ;   in Loop: Header=BB85_4 Depth=1
	v_add_co_u32 v6, vcc_lo, v2, s40
	s_wait_alu 0xfffd
	v_add_co_ci_u32_e64 v7, null, s41, v3, vcc_lo
	global_load_b32 v7, v[6:7], off
.LBB85_17:                              ;   in Loop: Header=BB85_4 Depth=1
	s_wait_alu 0xfffe
	s_or_b32 exec_lo, exec_lo, s19
	v_mov_b32_e32 v6, 0
	v_mov_b32_e32 v8, 0
	s_wait_loadcnt 0x0
	ds_store_b32 v50, v7 offset:1056
	s_and_saveexec_b32 s19, s4
	s_cbranch_execz .LBB85_19
; %bb.18:                               ;   in Loop: Header=BB85_4 Depth=1
	v_add_co_u32 v7, vcc_lo, v2, s42
	s_wait_alu 0xfffd
	v_add_co_ci_u32_e64 v8, null, s43, v3, vcc_lo
	global_load_b32 v8, v[7:8], off
.LBB85_19:                              ;   in Loop: Header=BB85_4 Depth=1
	s_wait_alu 0xfffe
	s_or_b32 exec_lo, exec_lo, s19
	s_wait_loadcnt 0x0
	ds_store_b32 v50, v8 offset:2112
	s_and_saveexec_b32 s19, s5
	s_cbranch_execz .LBB85_21
; %bb.20:                               ;   in Loop: Header=BB85_4 Depth=1
	v_add_co_u32 v6, vcc_lo, v2, s44
	s_wait_alu 0xfffd
	v_add_co_ci_u32_e64 v7, null, s45, v3, vcc_lo
	global_load_b32 v6, v[6:7], off
.LBB85_21:                              ;   in Loop: Header=BB85_4 Depth=1
	s_wait_alu 0xfffe
	s_or_b32 exec_lo, exec_lo, s19
	v_add_co_u32 v2, vcc_lo, v2, v55
	s_wait_alu 0xfffd
	v_add_co_ci_u32_e64 v3, null, 0, v3, vcc_lo
	s_lshl_b64 s[82:83], s[46:47], 2
	s_wait_loadcnt 0x0
	ds_store_b32 v50, v6 offset:3168
	s_wait_alu 0xfffe
	v_add_co_u32 v2, vcc_lo, v2, s82
	s_wait_alu 0xfffd
	v_add_co_ci_u32_e64 v3, null, s83, v3, vcc_lo
	s_delay_alu instid0(VALU_DEP_2) | instskip(SKIP_1) | instid1(VALU_DEP_2)
	v_add_co_u32 v2, vcc_lo, v2, 4
	s_wait_alu 0xfffd
	v_add_co_ci_u32_e64 v3, null, 0, v3, vcc_lo
	s_delay_alu instid0(VALU_DEP_2) | instskip(NEXT) | instid1(VALU_DEP_2)
	v_cndmask_b32_e64 v0, v2, v0, s1
	v_cndmask_b32_e64 v1, v3, v1, s1
.LBB85_22:                              ;   in Loop: Header=BB85_4 Depth=1
	s_wait_dscnt 0x0
	s_barrier_signal -1
	s_barrier_wait -1
	global_inv scope:SCOPE_SE
	s_and_saveexec_b32 s19, s6
	s_cbranch_execnz .LBB85_73
; %bb.23:                               ;   in Loop: Header=BB85_4 Depth=1
	s_wait_alu 0xfffe
	s_or_b32 exec_lo, exec_lo, s19
	s_and_saveexec_b32 s19, s7
	s_cbranch_execnz .LBB85_74
.LBB85_24:                              ;   in Loop: Header=BB85_4 Depth=1
	s_wait_alu 0xfffe
	s_or_b32 exec_lo, exec_lo, s19
	s_and_saveexec_b32 s19, s8
	s_cbranch_execnz .LBB85_75
.LBB85_25:                              ;   in Loop: Header=BB85_4 Depth=1
	s_wait_alu 0xfffe
	s_or_b32 exec_lo, exec_lo, s19
	s_and_saveexec_b32 s19, s9
	s_cbranch_execz .LBB85_27
.LBB85_26:                              ;   in Loop: Header=BB85_4 Depth=1
	ds_load_b32 v2, v52 offset:264
	s_wait_dscnt 0x0
	ds_store_b32 v38, v2 offset:12
.LBB85_27:                              ;   in Loop: Header=BB85_4 Depth=1
	s_wait_alu 0xfffe
	s_or_b32 exec_lo, exec_lo, s19
	s_wait_loadcnt_dscnt 0x0
	s_barrier_signal -1
	s_barrier_wait -1
	global_inv scope:SCOPE_SE
	ds_load_b32 v10, v51
	ds_load_b32 v11, v52 offset:264
	ds_load_b128 v[6:9], v39
	ds_load_2addr_b32 v[2:3], v52 offset1:33
	s_wait_loadcnt_dscnt 0x0
	s_barrier_signal -1
	s_barrier_wait -1
	global_inv scope:SCOPE_SE
	v_mov_b32_e32 v57, 0
	v_fma_f32 v6, v10, v6, 0
	s_delay_alu instid0(VALU_DEP_1) | instskip(NEXT) | instid1(VALU_DEP_1)
	v_fmac_f32_e32 v6, v2, v7
	v_fmac_f32_e32 v6, v3, v8
	s_delay_alu instid0(VALU_DEP_1)
	v_fmac_f32_e32 v6, v11, v9
	ds_store_b32 v40, v6
	s_wait_loadcnt_dscnt 0x0
	s_barrier_signal -1
	s_barrier_wait -1
	global_inv scope:SCOPE_SE
	s_and_saveexec_b32 s19, s10
	s_cbranch_execz .LBB85_29
; %bb.28:                               ;   in Loop: Header=BB85_4 Depth=1
	ds_load_2addr_b32 v[2:3], v37 offset1:1
	ds_load_2addr_b32 v[6:7], v37 offset0:2 offset1:3
	ds_load_2addr_b32 v[8:9], v37 offset0:4 offset1:5
	;; [unrolled: 1-line block ×3, first 2 shown]
	s_wait_dscnt 0x3
	v_add_f32_e32 v2, v2, v3
	s_wait_dscnt 0x2
	s_delay_alu instid0(VALU_DEP_1) | instskip(NEXT) | instid1(VALU_DEP_1)
	v_add_f32_e32 v2, v2, v6
	v_add_f32_e32 v2, v2, v7
	s_wait_dscnt 0x1
	s_delay_alu instid0(VALU_DEP_1) | instskip(NEXT) | instid1(VALU_DEP_1)
	v_add_f32_e32 v2, v2, v8
	;; [unrolled: 4-line block ×3, first 2 shown]
	v_add_f32_e32 v57, v2, v11
.LBB85_29:                              ;   in Loop: Header=BB85_4 Depth=1
	s_wait_alu 0xfffe
	s_or_b32 exec_lo, exec_lo, s19
	s_lshl_b64 s[82:83], s[40:41], 2
	v_cmp_ne_u32_e32 vcc_lo, 1, v32
	s_wait_alu 0xfffe
	v_add_co_u32 v0, s19, v0, s82
	s_wait_alu 0xf1ff
	v_add_co_ci_u32_e64 v1, null, s83, v1, s19
	s_and_b32 vcc_lo, exec_lo, vcc_lo
	s_mov_b32 s19, -1
	s_wait_loadcnt 0x0
	s_barrier_signal -1
	s_barrier_wait -1
	global_inv scope:SCOPE_SE
	s_wait_alu 0xfffe
	s_cbranch_vccnz .LBB85_31
; %bb.30:                               ;   in Loop: Header=BB85_4 Depth=1
	v_add_co_u32 v2, vcc_lo, v0, s40
	s_wait_alu 0xfffd
	v_add_co_ci_u32_e64 v3, null, s41, v1, vcc_lo
	s_mov_b32 s19, 0
	v_add_co_u32 v6, vcc_lo, v2, s40
	s_wait_alu 0xfffd
	v_add_co_ci_u32_e64 v7, null, s41, v3, vcc_lo
	s_delay_alu instid0(VALU_DEP_2) | instskip(SKIP_1) | instid1(VALU_DEP_2)
	v_add_co_u32 v8, vcc_lo, v6, s40
	s_wait_alu 0xfffd
	v_add_co_ci_u32_e64 v9, null, s41, v7, vcc_lo
	s_clause 0x3
	global_load_b32 v10, v[0:1], off offset:128
	global_load_b32 v2, v[2:3], off offset:128
	;; [unrolled: 1-line block ×4, first 2 shown]
	s_wait_loadcnt 0x3
	ds_store_b32 v50, v10
	s_wait_loadcnt 0x2
	ds_store_b32 v50, v2 offset:1056
	s_wait_loadcnt 0x1
	ds_store_b32 v50, v3 offset:2112
	;; [unrolled: 2-line block ×3, first 2 shown]
.LBB85_31:                              ;   in Loop: Header=BB85_4 Depth=1
	v_add_co_u32 v2, vcc_lo, 0x80, v0
	s_wait_alu 0xfffd
	v_add_co_ci_u32_e64 v3, null, 0, v1, vcc_lo
	s_wait_alu 0xfffe
	s_and_not1_b32 vcc_lo, exec_lo, s19
	s_wait_alu 0xfffe
	s_cbranch_vccnz .LBB85_41
; %bb.32:                               ;   in Loop: Header=BB85_4 Depth=1
	v_add_co_u32 v0, vcc_lo, v0, v18
	s_wait_alu 0xfffd
	v_add_co_ci_u32_e64 v1, null, v1, v19, vcc_lo
	s_lshl_b64 s[82:83], s[26:27], 2
	v_dual_mov_b32 v7, 0 :: v_dual_mov_b32 v6, 0
	s_wait_alu 0xfffe
	v_add_co_u32 v0, vcc_lo, v0, s82
	s_wait_alu 0xfffd
	v_add_co_ci_u32_e64 v1, null, s83, v1, vcc_lo
	s_delay_alu instid0(VALU_DEP_2) | instskip(SKIP_1) | instid1(VALU_DEP_2)
	v_add_co_u32 v0, vcc_lo, v0, -4
	s_wait_alu 0xfffd
	v_add_co_ci_u32_e64 v1, null, -1, v1, vcc_lo
	s_delay_alu instid0(VALU_DEP_2) | instskip(NEXT) | instid1(VALU_DEP_2)
	v_cndmask_b32_e64 v0, v0, v2, s11
	v_cndmask_b32_e64 v1, v1, v3, s11
	s_and_saveexec_b32 s19, s12
	s_cbranch_execz .LBB85_34
; %bb.33:                               ;   in Loop: Header=BB85_4 Depth=1
	global_load_b32 v6, v[0:1], off
.LBB85_34:                              ;   in Loop: Header=BB85_4 Depth=1
	s_wait_alu 0xfffe
	s_or_b32 exec_lo, exec_lo, s19
	s_wait_loadcnt 0x0
	ds_store_b32 v50, v6
	s_and_saveexec_b32 s19, s13
	s_cbranch_execz .LBB85_36
; %bb.35:                               ;   in Loop: Header=BB85_4 Depth=1
	v_add_co_u32 v6, vcc_lo, v0, s40
	s_wait_alu 0xfffd
	v_add_co_ci_u32_e64 v7, null, s41, v1, vcc_lo
	global_load_b32 v7, v[6:7], off
.LBB85_36:                              ;   in Loop: Header=BB85_4 Depth=1
	s_wait_alu 0xfffe
	s_or_b32 exec_lo, exec_lo, s19
	v_mov_b32_e32 v6, 0
	v_mov_b32_e32 v8, 0
	s_wait_loadcnt 0x0
	ds_store_b32 v50, v7 offset:1056
	s_and_saveexec_b32 s19, s14
	s_cbranch_execz .LBB85_38
; %bb.37:                               ;   in Loop: Header=BB85_4 Depth=1
	v_add_co_u32 v7, vcc_lo, v0, s42
	s_wait_alu 0xfffd
	v_add_co_ci_u32_e64 v8, null, s43, v1, vcc_lo
	global_load_b32 v8, v[7:8], off
.LBB85_38:                              ;   in Loop: Header=BB85_4 Depth=1
	s_wait_alu 0xfffe
	s_or_b32 exec_lo, exec_lo, s19
	s_wait_loadcnt 0x0
	ds_store_b32 v50, v8 offset:2112
	s_and_saveexec_b32 s19, s15
	s_cbranch_execz .LBB85_40
; %bb.39:                               ;   in Loop: Header=BB85_4 Depth=1
	v_add_co_u32 v6, vcc_lo, v0, s44
	s_wait_alu 0xfffd
	v_add_co_ci_u32_e64 v7, null, s45, v1, vcc_lo
	global_load_b32 v6, v[6:7], off
.LBB85_40:                              ;   in Loop: Header=BB85_4 Depth=1
	s_wait_alu 0xfffe
	s_or_b32 exec_lo, exec_lo, s19
	v_add_co_u32 v0, vcc_lo, v0, v55
	s_wait_alu 0xfffd
	v_add_co_ci_u32_e64 v1, null, 0, v1, vcc_lo
	s_lshl_b64 s[82:83], s[46:47], 2
	s_wait_loadcnt 0x0
	ds_store_b32 v50, v6 offset:3168
	s_wait_alu 0xfffe
	v_add_co_u32 v0, vcc_lo, v0, s82
	s_wait_alu 0xfffd
	v_add_co_ci_u32_e64 v1, null, s83, v1, vcc_lo
	s_delay_alu instid0(VALU_DEP_2) | instskip(SKIP_1) | instid1(VALU_DEP_2)
	v_add_co_u32 v0, vcc_lo, 0x84, v0
	s_wait_alu 0xfffd
	v_add_co_ci_u32_e64 v1, null, 0, v1, vcc_lo
	s_delay_alu instid0(VALU_DEP_2) | instskip(NEXT) | instid1(VALU_DEP_2)
	v_cndmask_b32_e64 v2, v0, v2, s11
	v_cndmask_b32_e64 v3, v1, v3, s11
.LBB85_41:                              ;   in Loop: Header=BB85_4 Depth=1
	s_wait_loadcnt_dscnt 0x0
	s_barrier_signal -1
	s_barrier_wait -1
	global_inv scope:SCOPE_SE
	s_and_saveexec_b32 s19, s6
	s_cbranch_execnz .LBB85_76
; %bb.42:                               ;   in Loop: Header=BB85_4 Depth=1
	s_wait_alu 0xfffe
	s_or_b32 exec_lo, exec_lo, s19
	s_and_saveexec_b32 s19, s7
	s_cbranch_execnz .LBB85_77
.LBB85_43:                              ;   in Loop: Header=BB85_4 Depth=1
	s_wait_alu 0xfffe
	s_or_b32 exec_lo, exec_lo, s19
	s_and_saveexec_b32 s19, s8
	s_cbranch_execnz .LBB85_78
.LBB85_44:                              ;   in Loop: Header=BB85_4 Depth=1
	s_wait_alu 0xfffe
	s_or_b32 exec_lo, exec_lo, s19
	s_and_saveexec_b32 s19, s9
	s_cbranch_execz .LBB85_46
.LBB85_45:                              ;   in Loop: Header=BB85_4 Depth=1
	ds_load_b32 v0, v52 offset:264
	s_wait_dscnt 0x0
	ds_store_b32 v38, v0 offset:12
.LBB85_46:                              ;   in Loop: Header=BB85_4 Depth=1
	s_wait_alu 0xfffe
	s_or_b32 exec_lo, exec_lo, s19
	s_wait_loadcnt_dscnt 0x0
	s_barrier_signal -1
	s_barrier_wait -1
	global_inv scope:SCOPE_SE
	ds_load_b32 v10, v51
	ds_load_b32 v11, v52 offset:264
	ds_load_b128 v[6:9], v39 offset:128
	ds_load_2addr_b32 v[0:1], v52 offset1:33
	s_wait_loadcnt_dscnt 0x0
	s_barrier_signal -1
	s_barrier_wait -1
	global_inv scope:SCOPE_SE
	v_fma_f32 v6, v10, v6, 0
	s_delay_alu instid0(VALU_DEP_1) | instskip(NEXT) | instid1(VALU_DEP_1)
	v_fmac_f32_e32 v6, v0, v7
	v_fmac_f32_e32 v6, v1, v8
	s_delay_alu instid0(VALU_DEP_1)
	v_fmac_f32_e32 v6, v11, v9
	ds_store_b32 v40, v6
	s_wait_loadcnt_dscnt 0x0
	s_barrier_signal -1
	s_barrier_wait -1
	global_inv scope:SCOPE_SE
	s_and_saveexec_b32 s19, s16
	s_cbranch_execz .LBB85_48
; %bb.47:                               ;   in Loop: Header=BB85_4 Depth=1
	ds_load_2addr_b32 v[0:1], v37 offset1:1
	ds_load_2addr_b32 v[6:7], v37 offset0:2 offset1:3
	ds_load_2addr_b32 v[8:9], v37 offset0:4 offset1:5
	;; [unrolled: 1-line block ×3, first 2 shown]
	s_wait_dscnt 0x3
	v_add_f32_e32 v0, v0, v1
	s_wait_dscnt 0x2
	s_delay_alu instid0(VALU_DEP_1) | instskip(NEXT) | instid1(VALU_DEP_1)
	v_add_f32_e32 v0, v0, v6
	v_add_f32_e32 v0, v0, v7
	s_wait_dscnt 0x1
	s_delay_alu instid0(VALU_DEP_1) | instskip(NEXT) | instid1(VALU_DEP_1)
	v_add_f32_e32 v0, v0, v8
	;; [unrolled: 4-line block ×3, first 2 shown]
	v_add_f32_e32 v57, v0, v11
.LBB85_48:                              ;   in Loop: Header=BB85_4 Depth=1
	s_wait_alu 0xfffe
	s_or_b32 exec_lo, exec_lo, s19
	v_cmp_ne_u32_e32 vcc_lo, 1, v32
	v_add_co_u32 v6, s19, v2, s76
	s_wait_alu 0xf1ff
	v_add_co_ci_u32_e64 v7, null, s77, v3, s19
	s_and_b32 vcc_lo, exec_lo, vcc_lo
	s_mov_b32 s19, -1
	s_wait_loadcnt 0x0
	s_barrier_signal -1
	s_barrier_wait -1
	global_inv scope:SCOPE_SE
	s_wait_alu 0xfffe
	s_cbranch_vccnz .LBB85_50
; %bb.49:                               ;   in Loop: Header=BB85_4 Depth=1
	v_add_co_u32 v0, vcc_lo, v6, s40
	s_wait_alu 0xfffd
	v_add_co_ci_u32_e64 v1, null, s41, v7, vcc_lo
	s_mov_b32 s19, 0
	v_add_co_u32 v2, vcc_lo, v0, s40
	s_wait_alu 0xfffd
	v_add_co_ci_u32_e64 v3, null, s41, v1, vcc_lo
	s_delay_alu instid0(VALU_DEP_2) | instskip(SKIP_1) | instid1(VALU_DEP_2)
	v_add_co_u32 v8, vcc_lo, v2, s40
	s_wait_alu 0xfffd
	v_add_co_ci_u32_e64 v9, null, s41, v3, vcc_lo
	s_clause 0x3
	global_load_b32 v10, v[6:7], off
	global_load_b32 v0, v[0:1], off
	;; [unrolled: 1-line block ×4, first 2 shown]
	s_wait_loadcnt 0x3
	ds_store_b32 v50, v10
	s_wait_loadcnt 0x2
	ds_store_b32 v50, v0 offset:1056
	s_wait_loadcnt 0x1
	ds_store_b32 v50, v1 offset:2112
	;; [unrolled: 2-line block ×3, first 2 shown]
.LBB85_50:                              ;   in Loop: Header=BB85_4 Depth=1
	s_wait_alu 0xfffe
	s_and_not1_b32 vcc_lo, exec_lo, s19
	s_wait_alu 0xfffe
	s_cbranch_vccnz .LBB85_60
; %bb.51:                               ;   in Loop: Header=BB85_4 Depth=1
	v_add_co_u32 v0, vcc_lo, v6, v18
	s_wait_alu 0xfffd
	v_add_co_ci_u32_e64 v1, null, v7, v19, vcc_lo
	s_lshl_b64 s[82:83], s[26:27], 2
	v_dual_mov_b32 v3, 0 :: v_dual_mov_b32 v2, 0
	s_wait_alu 0xfffe
	v_add_co_u32 v0, vcc_lo, v0, s82
	s_wait_alu 0xfffd
	v_add_co_ci_u32_e64 v1, null, s83, v1, vcc_lo
	s_delay_alu instid0(VALU_DEP_2) | instskip(SKIP_1) | instid1(VALU_DEP_2)
	v_add_co_u32 v0, vcc_lo, 0xffffff7c, v0
	s_wait_alu 0xfffd
	v_add_co_ci_u32_e64 v1, null, -1, v1, vcc_lo
	s_delay_alu instid0(VALU_DEP_2) | instskip(NEXT) | instid1(VALU_DEP_2)
	v_cndmask_b32_e64 v0, v0, v6, s11
	v_cndmask_b32_e64 v1, v1, v7, s11
	s_and_saveexec_b32 s19, s2
	s_cbranch_execz .LBB85_53
; %bb.52:                               ;   in Loop: Header=BB85_4 Depth=1
	global_load_b32 v2, v[0:1], off
.LBB85_53:                              ;   in Loop: Header=BB85_4 Depth=1
	s_wait_alu 0xfffe
	s_or_b32 exec_lo, exec_lo, s19
	s_wait_loadcnt 0x0
	ds_store_b32 v50, v2
	s_and_saveexec_b32 s19, s3
	s_cbranch_execz .LBB85_55
; %bb.54:                               ;   in Loop: Header=BB85_4 Depth=1
	v_add_co_u32 v2, vcc_lo, v0, s40
	s_wait_alu 0xfffd
	v_add_co_ci_u32_e64 v3, null, s41, v1, vcc_lo
	global_load_b32 v3, v[2:3], off
.LBB85_55:                              ;   in Loop: Header=BB85_4 Depth=1
	s_wait_alu 0xfffe
	s_or_b32 exec_lo, exec_lo, s19
	v_mov_b32_e32 v2, 0
	v_mov_b32_e32 v8, 0
	s_wait_loadcnt 0x0
	ds_store_b32 v50, v3 offset:1056
	s_and_saveexec_b32 s19, s4
	s_cbranch_execz .LBB85_57
; %bb.56:                               ;   in Loop: Header=BB85_4 Depth=1
	v_add_co_u32 v8, vcc_lo, v0, s42
	s_wait_alu 0xfffd
	v_add_co_ci_u32_e64 v9, null, s43, v1, vcc_lo
	global_load_b32 v8, v[8:9], off
.LBB85_57:                              ;   in Loop: Header=BB85_4 Depth=1
	s_wait_alu 0xfffe
	s_or_b32 exec_lo, exec_lo, s19
	s_wait_loadcnt 0x0
	ds_store_b32 v50, v8 offset:2112
	s_and_saveexec_b32 s19, s5
	s_cbranch_execz .LBB85_59
; %bb.58:                               ;   in Loop: Header=BB85_4 Depth=1
	v_add_co_u32 v2, vcc_lo, v0, s44
	s_wait_alu 0xfffd
	v_add_co_ci_u32_e64 v3, null, s45, v1, vcc_lo
	global_load_b32 v2, v[2:3], off
.LBB85_59:                              ;   in Loop: Header=BB85_4 Depth=1
	s_wait_alu 0xfffe
	s_or_b32 exec_lo, exec_lo, s19
	v_add_co_u32 v0, vcc_lo, v0, v55
	s_wait_alu 0xfffd
	v_add_co_ci_u32_e64 v1, null, 0, v1, vcc_lo
	s_lshl_b64 s[82:83], s[46:47], 2
	s_wait_loadcnt 0x0
	ds_store_b32 v50, v2 offset:3168
	s_wait_alu 0xfffe
	v_add_co_u32 v0, vcc_lo, v0, s82
	s_wait_alu 0xfffd
	v_add_co_ci_u32_e64 v1, null, s83, v1, vcc_lo
	s_delay_alu instid0(VALU_DEP_2) | instskip(SKIP_1) | instid1(VALU_DEP_2)
	v_add_co_u32 v0, vcc_lo, 0x84, v0
	s_wait_alu 0xfffd
	v_add_co_ci_u32_e64 v1, null, 0, v1, vcc_lo
	s_delay_alu instid0(VALU_DEP_2) | instskip(NEXT) | instid1(VALU_DEP_2)
	v_cndmask_b32_e64 v6, v0, v6, s11
	v_cndmask_b32_e64 v7, v1, v7, s11
.LBB85_60:                              ;   in Loop: Header=BB85_4 Depth=1
	s_wait_loadcnt_dscnt 0x0
	s_barrier_signal -1
	s_barrier_wait -1
	global_inv scope:SCOPE_SE
	ds_load_b32 v0, v50
	ds_load_b32 v1, v53
	ds_load_2addr_b32 v[12:13], v49 offset0:8 offset1:16
	ds_load_b32 v14, v50 offset:1056
	ds_load_b32 v15, v50 offset:2112
	;; [unrolled: 1-line block ×4, first 2 shown]
	s_wait_dscnt 0x5
	v_fma_f32 v27, v0, v1, 0
	ds_load_2addr_b32 v[10:11], v41 offset1:1
	ds_load_b128 v[0:3], v39 offset:128
	ds_load_2addr_b32 v[8:9], v41 offset0:2 offset1:3
	s_wait_loadcnt_dscnt 0x0
	s_barrier_signal -1
	s_barrier_wait -1
	v_fmac_f32_e32 v27, v14, v12
	global_inv scope:SCOPE_SE
	v_fmac_f32_e32 v27, v15, v13
	s_delay_alu instid0(VALU_DEP_1)
	v_fmac_f32_e32 v27, v16, v26
	ds_store_b32 v40, v27
	s_wait_loadcnt_dscnt 0x0
	s_barrier_signal -1
	s_barrier_wait -1
	global_inv scope:SCOPE_SE
	s_and_saveexec_b32 s19, s16
	s_cbranch_execz .LBB85_62
; %bb.61:                               ;   in Loop: Header=BB85_4 Depth=1
	ds_load_2addr_b32 v[12:13], v37 offset1:1
	ds_load_2addr_b32 v[14:15], v37 offset0:2 offset1:3
	ds_load_2addr_b32 v[26:27], v37 offset0:4 offset1:5
	;; [unrolled: 1-line block ×3, first 2 shown]
	s_wait_dscnt 0x3
	v_add_f32_e32 v12, v57, v12
	s_delay_alu instid0(VALU_DEP_1) | instskip(SKIP_1) | instid1(VALU_DEP_1)
	v_add_f32_e32 v12, v12, v13
	s_wait_dscnt 0x2
	v_add_f32_e32 v12, v12, v14
	s_delay_alu instid0(VALU_DEP_1) | instskip(SKIP_1) | instid1(VALU_DEP_1)
	v_add_f32_e32 v12, v12, v15
	;; [unrolled: 4-line block ×3, first 2 shown]
	s_wait_dscnt 0x0
	v_add_f32_e32 v12, v12, v58
	s_delay_alu instid0(VALU_DEP_1)
	v_add_f32_e32 v57, v12, v59
.LBB85_62:                              ;   in Loop: Header=BB85_4 Depth=1
	s_wait_alu 0xfffe
	s_or_b32 exec_lo, exec_lo, s19
	v_fma_f32 v0, v10, v0, 0
	s_wait_loadcnt 0x0
	s_barrier_signal -1
	s_barrier_wait -1
	global_inv scope:SCOPE_SE
	v_fmac_f32_e32 v0, v11, v1
	s_delay_alu instid0(VALU_DEP_1) | instskip(NEXT) | instid1(VALU_DEP_1)
	v_fmac_f32_e32 v0, v8, v2
	v_fmac_f32_e32 v0, v9, v3
	ds_store_b32 v40, v0
	s_wait_loadcnt_dscnt 0x0
	s_barrier_signal -1
	s_barrier_wait -1
	global_inv scope:SCOPE_SE
	s_and_saveexec_b32 s19, s10
	s_cbranch_execz .LBB85_64
; %bb.63:                               ;   in Loop: Header=BB85_4 Depth=1
	ds_load_2addr_b32 v[0:1], v37 offset1:1
	ds_load_2addr_b32 v[2:3], v37 offset0:2 offset1:3
	ds_load_2addr_b32 v[8:9], v37 offset0:4 offset1:5
	;; [unrolled: 1-line block ×3, first 2 shown]
	s_wait_dscnt 0x3
	v_add_f32_e32 v0, v57, v0
	s_delay_alu instid0(VALU_DEP_1) | instskip(SKIP_1) | instid1(VALU_DEP_1)
	v_add_f32_e32 v0, v0, v1
	s_wait_dscnt 0x2
	v_add_f32_e32 v0, v0, v2
	s_delay_alu instid0(VALU_DEP_1) | instskip(SKIP_1) | instid1(VALU_DEP_1)
	v_add_f32_e32 v0, v0, v3
	;; [unrolled: 4-line block ×3, first 2 shown]
	s_wait_dscnt 0x0
	v_add_f32_e32 v0, v0, v10
	s_delay_alu instid0(VALU_DEP_1)
	v_add_f32_e32 v57, v0, v11
.LBB85_64:                              ;   in Loop: Header=BB85_4 Depth=1
	s_wait_alu 0xfffe
	s_or_b32 exec_lo, exec_lo, s19
	s_mul_u64 s[82:83], s[24:25], s[34:35]
	s_and_not1_b32 vcc_lo, exec_lo, s86
	s_wait_alu 0xfffe
	s_lshl_b64 s[82:83], s[82:83], 2
	s_wait_loadcnt 0x0
	s_wait_alu 0xfffe
	s_add_nc_u64 s[82:83], s[38:39], s[82:83]
	s_barrier_signal -1
	s_barrier_wait -1
	global_inv scope:SCOPE_SE
	s_cbranch_vccnz .LBB85_71
; %bb.65:                               ;   in Loop: Header=BB85_4 Depth=1
	v_add_co_u32 v0, vcc_lo, v6, s80
	s_wait_alu 0xfffd
	v_add_co_ci_u32_e64 v1, null, s81, v7, vcc_lo
	s_lshl_b64 s[88:89], s[26:27], 2
	v_add_co_u32 v0, vcc_lo, v0, v20
	s_wait_alu 0xfffd
	v_add_co_ci_u32_e64 v1, null, v1, v21, vcc_lo
	s_mov_b32 s19, ttmp9
	v_add_co_u32 v0, vcc_lo, v0, v22
	s_wait_alu 0xfffd
	v_add_co_ci_u32_e64 v1, null, v1, v23, vcc_lo
	s_mov_b32 s36, 0
	s_wait_alu 0xfffe
	v_add_co_u32 v2, vcc_lo, v0, s88
	s_wait_alu 0xfffd
	v_add_co_ci_u32_e64 v3, null, s89, v1, vcc_lo
	v_add_co_u32 v0, vcc_lo, v0, v56
	s_wait_alu 0xfffd
	v_add_co_ci_u32_e64 v1, null, 0, v1, vcc_lo
	v_add_co_u32 v2, vcc_lo, 0xffffff7c, v2
	s_wait_alu 0xfffd
	v_add_co_ci_u32_e64 v3, null, -1, v3, vcc_lo
	v_add_co_u32 v0, vcc_lo, 0xffffff80, v0
	s_wait_alu 0xfffd
	v_add_co_ci_u32_e64 v1, null, -1, v1, vcc_lo
	v_add_co_u32 v58, vcc_lo, v4, s78
	s_wait_alu 0xfffd
	v_add_co_ci_u32_e64 v59, null, s79, v5, vcc_lo
	s_delay_alu instid0(VALU_DEP_3)
	v_cndmask_b32_e64 v27, v1, v3, s17
	v_cndmask_b32_e64 v26, v0, v2, s17
	s_branch .LBB85_67
.LBB85_66:                              ;   in Loop: Header=BB85_67 Depth=2
	s_or_b32 exec_lo, exec_lo, s35
	v_fmac_f32_e32 v57, v63, v0
	v_add_co_u32 v26, vcc_lo, v26, s50
	s_wait_alu 0xfffd
	v_add_co_ci_u32_e64 v27, null, s51, v27, vcc_lo
	s_delay_alu instid0(VALU_DEP_3)
	v_fmac_f32_e32 v57, v61, v1
	s_wait_alu 0xfffe
	s_add_co_i32 s19, s19, -1
	s_add_co_i32 s36, s36, 64
	s_wait_alu 0xfffe
	s_cmp_eq_u32 s19, 0
	s_wait_loadcnt 0x0
	s_wait_storecnt 0x0
	v_fmac_f32_e32 v57, v60, v2
	s_barrier_signal -1
	s_barrier_wait -1
	global_inv scope:SCOPE_SE
	v_fmac_f32_e32 v57, v62, v3
	s_delay_alu instid0(VALU_DEP_1) | instskip(NEXT) | instid1(VALU_DEP_1)
	v_fmac_f32_e32 v57, v67, v4
	v_fmac_f32_e32 v57, v65, v5
	s_delay_alu instid0(VALU_DEP_1) | instskip(NEXT) | instid1(VALU_DEP_1)
	v_fmac_f32_e32 v57, v64, v6
	;; [unrolled: 3-line block ×6, first 2 shown]
	v_fmac_f32_e32 v57, v72, v15
	s_cbranch_scc1 .LBB85_71
.LBB85_67:                              ;   Parent Loop BB85_4 Depth=1
                                        ; =>  This Inner Loop Header: Depth=2
	s_and_saveexec_b32 s35, s0
	s_cbranch_execz .LBB85_69
; %bb.68:                               ;   in Loop: Header=BB85_67 Depth=2
	s_mul_u64 s[88:89], s[28:29], s[36:37]
	s_wait_alu 0xfffe
	s_lshl_b64 s[88:89], s[88:89], 2
	s_wait_alu 0xfffe
	v_add_co_u32 v0, vcc_lo, v58, s88
	s_wait_alu 0xfffd
	v_add_co_ci_u32_e64 v1, null, s89, v59, vcc_lo
	global_load_b32 v0, v[0:1], off
	s_wait_loadcnt 0x0
	ds_store_b32 v42, v0
.LBB85_69:                              ;   in Loop: Header=BB85_67 Depth=2
	s_or_b32 exec_lo, exec_lo, s35
	v_add_co_u32 v0, vcc_lo, v26, s48
	s_wait_alu 0xfffd
	v_add_co_ci_u32_e64 v1, null, s49, v27, vcc_lo
	v_add_co_u32 v2, vcc_lo, v26, s52
	s_wait_alu 0xfffd
	v_add_co_ci_u32_e64 v3, null, s53, v27, vcc_lo
	;; [unrolled: 3-line block ×3, first 2 shown]
	s_wait_loadcnt_dscnt 0x0
	s_barrier_signal -1
	s_barrier_wait -1
	global_inv scope:SCOPE_SE
	s_clause 0x3
	global_load_b32 v63, v[26:27], off
	global_load_b32 v61, v[0:1], off
	global_load_b32 v60, v[2:3], off
	global_load_b32 v62, v[4:5], off
	ds_load_b32 v10, v30
	ds_load_b128 v[0:3], v43
	v_add_co_u32 v4, vcc_lo, v26, s42
	s_wait_alu 0xfffd
	v_add_co_ci_u32_e64 v5, null, s43, v27, vcc_lo
	v_add_co_u32 v6, vcc_lo, v26, s20
	s_wait_alu 0xfffd
	v_add_co_ci_u32_e64 v7, null, s21, v27, vcc_lo
	;; [unrolled: 3-line block ×3, first 2 shown]
	s_wait_loadcnt_dscnt 0x301
	v_mul_f32_e32 v12, v63, v10
	s_wait_loadcnt 0x2
	v_mul_f32_e32 v13, v61, v10
	s_wait_loadcnt 0x1
	;; [unrolled: 2-line block ×3, first 2 shown]
	v_mul_f32_e32 v15, v62, v10
	v_add_co_u32 v10, vcc_lo, v26, s58
	s_wait_alu 0xfffd
	v_add_co_ci_u32_e64 v11, null, s59, v27, vcc_lo
	ds_store_2addr_b32 v44, v12, v13 offset1:67
	ds_store_2addr_b32 v44, v14, v15 offset0:134 offset1:201
	s_wait_dscnt 0x0
	s_barrier_signal -1
	s_barrier_wait -1
	global_inv scope:SCOPE_SE
	ds_load_2addr_b32 v[76:77], v54 offset1:1
	ds_load_2addr_b32 v[78:79], v54 offset0:2 offset1:3
	s_wait_loadcnt_dscnt 0x0
	s_barrier_signal -1
	s_barrier_wait -1
	global_inv scope:SCOPE_SE
	s_clause 0x3
	global_load_b32 v67, v[4:5], off
	global_load_b32 v65, v[6:7], off
	;; [unrolled: 1-line block ×4, first 2 shown]
	ds_load_b32 v14, v30
	ds_load_b128 v[4:7], v43 offset:64
	v_add_co_u32 v8, vcc_lo, v26, s74
	s_wait_alu 0xfffd
	v_add_co_ci_u32_e64 v9, null, s75, v27, vcc_lo
	v_add_co_u32 v10, vcc_lo, v26, s72
	s_wait_alu 0xfffd
	v_add_co_ci_u32_e64 v11, null, s73, v27, vcc_lo
	;; [unrolled: 3-line block ×3, first 2 shown]
	s_wait_loadcnt_dscnt 0x301
	v_mul_f32_e32 v16, v67, v14
	s_wait_loadcnt 0x2
	v_mul_f32_e32 v68, v65, v14
	s_wait_loadcnt 0x1
	;; [unrolled: 2-line block ×3, first 2 shown]
	v_mul_f32_e32 v70, v66, v14
	v_add_co_u32 v14, vcc_lo, v26, s62
	s_wait_alu 0xfffd
	v_add_co_ci_u32_e64 v15, null, s63, v27, vcc_lo
	ds_store_2addr_b32 v44, v16, v68 offset1:67
	ds_store_2addr_b32 v44, v69, v70 offset0:134 offset1:201
	s_wait_dscnt 0x0
	s_barrier_signal -1
	s_barrier_wait -1
	global_inv scope:SCOPE_SE
	ds_load_2addr_b32 v[80:81], v54 offset1:1
	ds_load_2addr_b32 v[82:83], v54 offset0:2 offset1:3
	s_wait_loadcnt_dscnt 0x0
	s_barrier_signal -1
	s_barrier_wait -1
	global_inv scope:SCOPE_SE
	s_clause 0x3
	global_load_b32 v71, v[8:9], off
	global_load_b32 v69, v[10:11], off
	;; [unrolled: 1-line block ×4, first 2 shown]
	ds_load_b32 v16, v30
	ds_load_b128 v[8:11], v43 offset:128
	v_add_co_u32 v12, vcc_lo, v26, s70
	s_wait_alu 0xfffd
	v_add_co_ci_u32_e64 v13, null, s71, v27, vcc_lo
	v_add_co_u32 v14, vcc_lo, v26, s68
	s_wait_alu 0xfffd
	v_add_co_ci_u32_e64 v15, null, s69, v27, vcc_lo
	;; [unrolled: 3-line block ×4, first 2 shown]
	s_wait_loadcnt_dscnt 0x301
	v_mul_f32_e32 v74, v71, v16
	s_wait_loadcnt 0x2
	v_mul_f32_e32 v75, v69, v16
	s_wait_loadcnt 0x1
	;; [unrolled: 2-line block ×3, first 2 shown]
	v_mul_f32_e32 v16, v70, v16
	ds_store_2addr_b32 v44, v74, v75 offset1:67
	ds_store_2addr_b32 v44, v86, v16 offset0:134 offset1:201
	s_wait_dscnt 0x0
	s_barrier_signal -1
	s_barrier_wait -1
	global_inv scope:SCOPE_SE
	ds_load_2addr_b32 v[86:87], v54 offset1:1
	ds_load_2addr_b32 v[88:89], v54 offset0:2 offset1:3
	s_wait_loadcnt_dscnt 0x0
	s_barrier_signal -1
	s_barrier_wait -1
	global_inv scope:SCOPE_SE
	s_clause 0x3
	global_load_b32 v75, v[12:13], off
	global_load_b32 v74, v[14:15], off
	;; [unrolled: 1-line block ×4, first 2 shown]
	ds_load_b32 v16, v30
	ds_load_b128 v[12:15], v43 offset:192
	s_wait_loadcnt_dscnt 0x301
	v_mul_f32_e32 v84, v75, v16
	s_wait_loadcnt 0x2
	v_mul_f32_e32 v85, v74, v16
	s_wait_loadcnt 0x1
	;; [unrolled: 2-line block ×3, first 2 shown]
	v_mul_f32_e32 v16, v72, v16
	ds_store_2addr_b32 v44, v84, v85 offset1:67
	ds_store_2addr_b32 v44, v90, v16 offset0:134 offset1:201
	s_wait_dscnt 0x0
	s_barrier_signal -1
	s_barrier_wait -1
	global_inv scope:SCOPE_SE
	ds_load_2addr_b32 v[84:85], v54 offset1:1
	ds_load_2addr_b32 v[90:91], v54 offset0:2 offset1:3
	v_add_f32_e32 v16, 0, v76
	v_add_f32_e32 v76, 0, v80
	;; [unrolled: 1-line block ×3, first 2 shown]
	s_wait_loadcnt_dscnt 0x0
	s_barrier_signal -1
	v_add_f32_e32 v16, v16, v77
	v_add_f32_e32 v76, v76, v81
	;; [unrolled: 1-line block ×3, first 2 shown]
	s_barrier_wait -1
	global_inv scope:SCOPE_SE
	v_add_f32_e32 v16, v16, v78
	v_dual_add_f32 v76, v76, v82 :: v_dual_add_f32 v77, v77, v88
	s_delay_alu instid0(VALU_DEP_2) | instskip(NEXT) | instid1(VALU_DEP_2)
	v_add_f32_e32 v16, v16, v79
	v_dual_add_f32 v76, v76, v83 :: v_dual_add_f32 v77, v77, v89
	v_add_f32_e32 v84, 0, v84
	s_delay_alu instid0(VALU_DEP_1) | instskip(NEXT) | instid1(VALU_DEP_1)
	v_add_f32_e32 v80, v84, v85
	v_add_f32_e32 v78, v80, v90
	s_delay_alu instid0(VALU_DEP_1)
	v_add_f32_e32 v78, v78, v91
	ds_store_2addr_b32 v45, v16, v76 offset1:16
	ds_store_2addr_b32 v45, v77, v78 offset0:32 offset1:48
	s_wait_loadcnt_dscnt 0x0
	s_barrier_signal -1
	s_barrier_wait -1
	global_inv scope:SCOPE_SE
	s_and_saveexec_b32 s35, s18
	s_cbranch_execz .LBB85_66
; %bb.70:                               ;   in Loop: Header=BB85_67 Depth=2
	ds_load_2addr_b32 v[76:77], v46 offset1:1
	ds_load_2addr_b32 v[78:79], v46 offset0:2 offset1:3
	ds_load_2addr_b32 v[80:81], v46 offset0:4 offset1:5
	;; [unrolled: 1-line block ×3, first 2 shown]
	s_wait_dscnt 0x3
	v_add_f32_e32 v16, v76, v77
	ds_load_2addr_b32 v[76:77], v46 offset0:8 offset1:9
	s_wait_dscnt 0x3
	v_add_f32_e32 v16, v16, v78
	s_delay_alu instid0(VALU_DEP_1) | instskip(SKIP_3) | instid1(VALU_DEP_1)
	v_add_f32_e32 v16, v16, v79
	ds_load_2addr_b32 v[78:79], v46 offset0:10 offset1:11
	s_wait_dscnt 0x3
	v_add_f32_e32 v16, v16, v80
	v_add_f32_e32 v16, v16, v81
	s_wait_dscnt 0x2
	s_delay_alu instid0(VALU_DEP_1) | instskip(SKIP_4) | instid1(VALU_DEP_1)
	v_add_f32_e32 v16, v16, v82
	ds_load_2addr_b32 v[80:81], v46 offset0:12 offset1:13
	ds_load_b32 v82, v46 offset:56
	v_add_f32_e32 v16, v16, v83
	s_wait_dscnt 0x3
	v_add_f32_e32 v16, v16, v76
	s_delay_alu instid0(VALU_DEP_1) | instskip(SKIP_1) | instid1(VALU_DEP_1)
	v_add_f32_e32 v16, v16, v77
	s_wait_dscnt 0x2
	v_add_f32_e32 v16, v16, v78
	ds_load_b32 v78, v47
	v_add_f32_e32 v16, v16, v79
	s_wait_dscnt 0x2
	s_delay_alu instid0(VALU_DEP_1) | instskip(NEXT) | instid1(VALU_DEP_1)
	v_add_f32_e32 v16, v16, v80
	v_add_f32_e32 v76, v16, v81
	s_wait_dscnt 0x1
	s_delay_alu instid0(VALU_DEP_1) | instskip(NEXT) | instid1(VALU_DEP_1)
	v_dual_add_f32 v79, v76, v82 :: v_dual_add_nc_u32 v16, s36, v28
	v_lshlrev_b64_e32 v[76:77], 2, v[16:17]
	s_wait_dscnt 0x0
	s_delay_alu instid0(VALU_DEP_2) | instskip(SKIP_1) | instid1(VALU_DEP_2)
	v_add_f32_e32 v16, v79, v78
	s_wait_alu 0xfffe
	v_add_co_u32 v76, vcc_lo, s82, v76
	s_wait_alu 0xfffd
	v_add_co_ci_u32_e64 v77, null, s83, v77, vcc_lo
	global_store_b32 v[76:77], v16, off
	s_branch .LBB85_66
.LBB85_71:                              ;   in Loop: Header=BB85_4 Depth=1
	ds_store_b32 v48, v57
	s_wait_loadcnt_dscnt 0x0
	s_barrier_signal -1
	s_barrier_wait -1
	global_inv scope:SCOPE_SE
	s_and_saveexec_b32 s19, s87
	s_cbranch_execz .LBB85_2
; %bb.72:                               ;   in Loop: Header=BB85_4 Depth=1
	ds_load_2addr_b32 v[0:1], v29 offset1:67
	ds_load_2addr_b32 v[2:3], v29 offset0:134 offset1:201
	s_wait_dscnt 0x1
	v_add_f32_e32 v0, v0, v1
	s_wait_dscnt 0x0
	s_delay_alu instid0(VALU_DEP_1) | instskip(NEXT) | instid1(VALU_DEP_1)
	v_add_f32_e32 v0, v0, v2
	v_add_f32_e32 v2, v0, v3
	s_wait_alu 0xfffe
	v_add_co_u32 v0, vcc_lo, s82, v24
	s_wait_alu 0xfffd
	v_add_co_ci_u32_e64 v1, null, s83, v25, vcc_lo
	global_store_b32 v[0:1], v2, off
	s_branch .LBB85_2
.LBB85_73:                              ;   in Loop: Header=BB85_4 Depth=1
	ds_load_b32 v2, v51
	s_wait_dscnt 0x0
	ds_store_b32 v38, v2
	s_wait_alu 0xfffe
	s_or_b32 exec_lo, exec_lo, s19
	s_and_saveexec_b32 s19, s7
	s_cbranch_execz .LBB85_24
.LBB85_74:                              ;   in Loop: Header=BB85_4 Depth=1
	ds_load_b32 v2, v52
	s_wait_dscnt 0x0
	ds_store_b32 v38, v2 offset:4
	s_wait_alu 0xfffe
	s_or_b32 exec_lo, exec_lo, s19
	s_and_saveexec_b32 s19, s8
	s_cbranch_execz .LBB85_25
.LBB85_75:                              ;   in Loop: Header=BB85_4 Depth=1
	ds_load_b32 v2, v52 offset:132
	s_wait_dscnt 0x0
	ds_store_b32 v38, v2 offset:8
	s_wait_alu 0xfffe
	s_or_b32 exec_lo, exec_lo, s19
	s_and_saveexec_b32 s19, s9
	s_cbranch_execnz .LBB85_26
	s_branch .LBB85_27
.LBB85_76:                              ;   in Loop: Header=BB85_4 Depth=1
	ds_load_b32 v0, v51
	s_wait_dscnt 0x0
	ds_store_b32 v38, v0
	s_wait_alu 0xfffe
	s_or_b32 exec_lo, exec_lo, s19
	s_and_saveexec_b32 s19, s7
	s_cbranch_execz .LBB85_43
.LBB85_77:                              ;   in Loop: Header=BB85_4 Depth=1
	ds_load_b32 v0, v52
	s_wait_dscnt 0x0
	ds_store_b32 v38, v0 offset:4
	s_wait_alu 0xfffe
	s_or_b32 exec_lo, exec_lo, s19
	s_and_saveexec_b32 s19, s8
	s_cbranch_execz .LBB85_44
.LBB85_78:                              ;   in Loop: Header=BB85_4 Depth=1
	ds_load_b32 v0, v52 offset:132
	s_wait_dscnt 0x0
	ds_store_b32 v38, v0 offset:8
	s_wait_alu 0xfffe
	s_or_b32 exec_lo, exec_lo, s19
	s_and_saveexec_b32 s19, s9
	s_cbranch_execnz .LBB85_45
	s_branch .LBB85_46
.LBB85_79:
	s_endpgm
	.section	.rodata,"a",@progbits
	.p2align	6, 0x0
	.amdhsa_kernel _ZL26rocblas_hemvn_kernel_lowerILb0ELi64ELi4ELi33ELi32ELi16ElfPKfPfEviT6_lT7_lT5_lS4_lS5_lS3_lT8_i
		.amdhsa_group_segment_fixed_size 4800
		.amdhsa_private_segment_fixed_size 0
		.amdhsa_kernarg_size 368
		.amdhsa_user_sgpr_count 2
		.amdhsa_user_sgpr_dispatch_ptr 0
		.amdhsa_user_sgpr_queue_ptr 0
		.amdhsa_user_sgpr_kernarg_segment_ptr 1
		.amdhsa_user_sgpr_dispatch_id 0
		.amdhsa_user_sgpr_private_segment_size 0
		.amdhsa_wavefront_size32 1
		.amdhsa_uses_dynamic_stack 0
		.amdhsa_enable_private_segment 0
		.amdhsa_system_sgpr_workgroup_id_x 1
		.amdhsa_system_sgpr_workgroup_id_y 0
		.amdhsa_system_sgpr_workgroup_id_z 1
		.amdhsa_system_sgpr_workgroup_info 0
		.amdhsa_system_vgpr_workitem_id 1
		.amdhsa_next_free_vgpr 92
		.amdhsa_next_free_sgpr 90
		.amdhsa_reserve_vcc 1
		.amdhsa_float_round_mode_32 0
		.amdhsa_float_round_mode_16_64 0
		.amdhsa_float_denorm_mode_32 3
		.amdhsa_float_denorm_mode_16_64 3
		.amdhsa_fp16_overflow 0
		.amdhsa_workgroup_processor_mode 1
		.amdhsa_memory_ordered 1
		.amdhsa_forward_progress 1
		.amdhsa_inst_pref_size 54
		.amdhsa_round_robin_scheduling 0
		.amdhsa_exception_fp_ieee_invalid_op 0
		.amdhsa_exception_fp_denorm_src 0
		.amdhsa_exception_fp_ieee_div_zero 0
		.amdhsa_exception_fp_ieee_overflow 0
		.amdhsa_exception_fp_ieee_underflow 0
		.amdhsa_exception_fp_ieee_inexact 0
		.amdhsa_exception_int_div_zero 0
	.end_amdhsa_kernel
	.section	.text._ZL26rocblas_hemvn_kernel_lowerILb0ELi64ELi4ELi33ELi32ELi16ElfPKfPfEviT6_lT7_lT5_lS4_lS5_lS3_lT8_i,"axG",@progbits,_ZL26rocblas_hemvn_kernel_lowerILb0ELi64ELi4ELi33ELi32ELi16ElfPKfPfEviT6_lT7_lT5_lS4_lS5_lS3_lT8_i,comdat
.Lfunc_end85:
	.size	_ZL26rocblas_hemvn_kernel_lowerILb0ELi64ELi4ELi33ELi32ELi16ElfPKfPfEviT6_lT7_lT5_lS4_lS5_lS3_lT8_i, .Lfunc_end85-_ZL26rocblas_hemvn_kernel_lowerILb0ELi64ELi4ELi33ELi32ELi16ElfPKfPfEviT6_lT7_lT5_lS4_lS5_lS3_lT8_i
                                        ; -- End function
	.set _ZL26rocblas_hemvn_kernel_lowerILb0ELi64ELi4ELi33ELi32ELi16ElfPKfPfEviT6_lT7_lT5_lS4_lS5_lS3_lT8_i.num_vgpr, 92
	.set _ZL26rocblas_hemvn_kernel_lowerILb0ELi64ELi4ELi33ELi32ELi16ElfPKfPfEviT6_lT7_lT5_lS4_lS5_lS3_lT8_i.num_agpr, 0
	.set _ZL26rocblas_hemvn_kernel_lowerILb0ELi64ELi4ELi33ELi32ELi16ElfPKfPfEviT6_lT7_lT5_lS4_lS5_lS3_lT8_i.numbered_sgpr, 90
	.set _ZL26rocblas_hemvn_kernel_lowerILb0ELi64ELi4ELi33ELi32ELi16ElfPKfPfEviT6_lT7_lT5_lS4_lS5_lS3_lT8_i.num_named_barrier, 0
	.set _ZL26rocblas_hemvn_kernel_lowerILb0ELi64ELi4ELi33ELi32ELi16ElfPKfPfEviT6_lT7_lT5_lS4_lS5_lS3_lT8_i.private_seg_size, 0
	.set _ZL26rocblas_hemvn_kernel_lowerILb0ELi64ELi4ELi33ELi32ELi16ElfPKfPfEviT6_lT7_lT5_lS4_lS5_lS3_lT8_i.uses_vcc, 1
	.set _ZL26rocblas_hemvn_kernel_lowerILb0ELi64ELi4ELi33ELi32ELi16ElfPKfPfEviT6_lT7_lT5_lS4_lS5_lS3_lT8_i.uses_flat_scratch, 0
	.set _ZL26rocblas_hemvn_kernel_lowerILb0ELi64ELi4ELi33ELi32ELi16ElfPKfPfEviT6_lT7_lT5_lS4_lS5_lS3_lT8_i.has_dyn_sized_stack, 0
	.set _ZL26rocblas_hemvn_kernel_lowerILb0ELi64ELi4ELi33ELi32ELi16ElfPKfPfEviT6_lT7_lT5_lS4_lS5_lS3_lT8_i.has_recursion, 0
	.set _ZL26rocblas_hemvn_kernel_lowerILb0ELi64ELi4ELi33ELi32ELi16ElfPKfPfEviT6_lT7_lT5_lS4_lS5_lS3_lT8_i.has_indirect_call, 0
	.section	.AMDGPU.csdata,"",@progbits
; Kernel info:
; codeLenInByte = 6824
; TotalNumSgprs: 92
; NumVgprs: 92
; ScratchSize: 0
; MemoryBound: 0
; FloatMode: 240
; IeeeMode: 1
; LDSByteSize: 4800 bytes/workgroup (compile time only)
; SGPRBlocks: 0
; VGPRBlocks: 11
; NumSGPRsForWavesPerEU: 92
; NumVGPRsForWavesPerEU: 92
; Occupancy: 16
; WaveLimiterHint : 0
; COMPUTE_PGM_RSRC2:SCRATCH_EN: 0
; COMPUTE_PGM_RSRC2:USER_SGPR: 2
; COMPUTE_PGM_RSRC2:TRAP_HANDLER: 0
; COMPUTE_PGM_RSRC2:TGID_X_EN: 1
; COMPUTE_PGM_RSRC2:TGID_Y_EN: 0
; COMPUTE_PGM_RSRC2:TGID_Z_EN: 1
; COMPUTE_PGM_RSRC2:TIDIG_COMP_CNT: 1
	.section	.text._ZL36rocblas_hemvn_kernel_lower_block_sumILi64ElfPffEviT1_lS1_lT2_lT0_lPT3_i,"axG",@progbits,_ZL36rocblas_hemvn_kernel_lower_block_sumILi64ElfPffEviT1_lS1_lT2_lT0_lPT3_i,comdat
	.globl	_ZL36rocblas_hemvn_kernel_lower_block_sumILi64ElfPffEviT1_lS1_lT2_lT0_lPT3_i ; -- Begin function _ZL36rocblas_hemvn_kernel_lower_block_sumILi64ElfPffEviT1_lS1_lT2_lT0_lPT3_i
	.p2align	8
	.type	_ZL36rocblas_hemvn_kernel_lower_block_sumILi64ElfPffEviT1_lS1_lT2_lT0_lPT3_i,@function
_ZL36rocblas_hemvn_kernel_lower_block_sumILi64ElfPffEviT1_lS1_lT2_lT0_lPT3_i: ; @_ZL36rocblas_hemvn_kernel_lower_block_sumILi64ElfPffEviT1_lS1_lT2_lT0_lPT3_i
; %bb.0:
	s_load_b32 s3, s[0:1], 0x48
	s_lshr_b32 s12, ttmp7, 16
	s_wait_kmcnt 0x0
	s_cmp_ge_u32 s12, s3
	s_cbranch_scc1 .LBB86_25
; %bb.1:
	s_clause 0x3
	s_load_b256 s[4:11], s[0:1], 0x28
	s_load_b64 s[14:15], s[0:1], 0x0
	s_load_b32 s18, s[0:1], 0x10
	s_load_b64 s[16:17], s[0:1], 0x20
	s_add_nc_u64 s[0:1], s[0:1], 0x50
	s_wait_kmcnt 0x0
	s_lshl_b64 s[4:5], s[4:5], 2
	s_cmp_eq_f32 s15, 0
	s_add_nc_u64 s[4:5], s[16:17], s[4:5]
	s_cselect_b32 s19, -1, 0
	s_cmp_neq_f32 s15, 0
	s_cselect_b32 s2, -1, 0
	s_cmp_neq_f32 s18, 1.0
	s_cselect_b32 s13, -1, 0
	s_lshl_b32 s23, ttmp9, 6
	s_or_b32 s20, s2, s13
	v_or_b32_e32 v0, s23, v0
	s_cmp_neq_f32 s18, 0
	s_mov_b32 s13, 0
	s_delay_alu instid0(VALU_DEP_1)
	v_mad_co_u64_u32 v[1:2], null, s14, ttmp9, v[0:1]
	s_cselect_b32 s21, -1, 0
	s_cmp_eq_f32 s18, 0
	v_mul_lo_u32 v5, s7, v0
	v_mad_co_u64_u32 v[3:4], null, s6, v0, 0
	s_cselect_b32 s22, -1, 0
	v_ashrrev_i32_e32 v2, 31, v1
	s_ashr_i32 s2, s23, 31
	s_ashr_i32 s7, s14, 31
	s_mul_i32 s2, s6, s2
	s_mov_b32 s6, s14
	v_add3_u32 v4, v4, s2, v5
	v_lshlrev_b64_e32 v[5:6], 2, v[1:2]
	v_cmp_gt_i32_e64 s2, s14, v0
	s_wait_alu 0xfffe
	s_lshl_b64 s[6:7], s[6:7], 2
	v_lshlrev_b64_e32 v[0:1], 2, v[3:4]
	v_add_co_u32 v2, vcc_lo, s10, v5
	s_delay_alu instid0(VALU_DEP_1)
	v_add_co_ci_u32_e64 v3, null, s11, v6, vcc_lo
	s_branch .LBB86_4
.LBB86_2:                               ;   in Loop: Header=BB86_4 Depth=1
	s_or_b32 exec_lo, exec_lo, s16
.LBB86_3:                               ;   in Loop: Header=BB86_4 Depth=1
	s_add_co_i32 s12, s12, 0x10000
	s_wait_alu 0xfffe
	s_cmp_lt_u32 s12, s3
	s_cbranch_scc0 .LBB86_25
.LBB86_4:                               ; =>This Loop Header: Depth=1
                                        ;     Child Loop BB86_16 Depth 2
	s_and_not1_b32 vcc_lo, exec_lo, s20
	s_wait_alu 0xfffe
	s_cbranch_vccnz .LBB86_3
; %bb.5:                                ;   in Loop: Header=BB86_4 Depth=1
	s_mul_u64 s[10:11], s[8:9], s[12:13]
	s_and_not1_b32 vcc_lo, exec_lo, s19
	s_wait_alu 0xfffe
	s_lshl_b64 s[10:11], s[10:11], 2
	s_wait_alu 0xfffe
	s_add_nc_u64 s[10:11], s[4:5], s[10:11]
	s_cbranch_vccnz .LBB86_9
; %bb.6:                                ;   in Loop: Header=BB86_4 Depth=1
	s_mov_b32 s16, 0
	s_mov_b32 s14, 0
                                        ; implicit-def: $vgpr4
	s_and_saveexec_b32 s17, s2
	s_cbranch_execz .LBB86_10
; %bb.7:                                ;   in Loop: Header=BB86_4 Depth=1
	s_and_not1_b32 vcc_lo, exec_lo, s21
	s_wait_alu 0xfffe
	s_cbranch_vccnz .LBB86_11
; %bb.8:                                ;   in Loop: Header=BB86_4 Depth=1
	v_add_co_u32 v4, vcc_lo, s10, v0
	s_wait_alu 0xfffd
	v_add_co_ci_u32_e64 v5, null, s11, v1, vcc_lo
	global_load_b32 v4, v[4:5], off
	s_wait_loadcnt 0x0
	v_mul_f32_e32 v4, s18, v4
	s_branch .LBB86_12
.LBB86_9:                               ;   in Loop: Header=BB86_4 Depth=1
	s_mov_b32 s14, 0
                                        ; implicit-def: $vgpr4
	s_cbranch_execnz .LBB86_13
	s_branch .LBB86_23
.LBB86_10:                              ;   in Loop: Header=BB86_4 Depth=1
	s_or_b32 exec_lo, exec_lo, s17
	s_delay_alu instid0(SALU_CYCLE_1)
	s_and_b32 vcc_lo, exec_lo, s16
	s_wait_alu 0xfffe
	s_cbranch_vccnz .LBB86_13
	s_branch .LBB86_23
.LBB86_11:                              ;   in Loop: Header=BB86_4 Depth=1
	v_mov_b32_e32 v4, 0
.LBB86_12:                              ;   in Loop: Header=BB86_4 Depth=1
	s_mov_b32 s14, exec_lo
	s_or_b32 exec_lo, exec_lo, s17
	s_delay_alu instid0(SALU_CYCLE_1)
	s_and_b32 vcc_lo, exec_lo, s16
	s_wait_alu 0xfffe
	s_cbranch_vccz .LBB86_23
.LBB86_13:                              ;   in Loop: Header=BB86_4 Depth=1
                                        ; implicit-def: $vgpr4
	s_and_saveexec_b32 s23, s2
	s_cbranch_execz .LBB86_22
; %bb.14:                               ;   in Loop: Header=BB86_4 Depth=1
	s_load_b32 s16, s[0:1], 0x0
	v_mov_b32_e32 v6, 0
	s_wait_kmcnt 0x0
	s_cmp_ge_i32 ttmp9, s16
	s_cbranch_scc1 .LBB86_17
; %bb.15:                               ;   in Loop: Header=BB86_4 Depth=1
	s_mov_b32 s17, s13
	s_mov_b32 s24, ttmp9
	s_mul_u64 s[26:27], s[6:7], s[16:17]
	s_wait_alu 0xfffe
	v_mad_co_u64_u32 v[4:5], null, s26, s12, v[2:3]
	s_delay_alu instid0(VALU_DEP_1)
	v_mad_co_u64_u32 v[5:6], null, s27, s12, v[5:6]
	v_mov_b32_e32 v6, 0
.LBB86_16:                              ;   Parent Loop BB86_4 Depth=1
                                        ; =>  This Inner Loop Header: Depth=2
	global_load_b32 v7, v[4:5], off
	v_add_co_u32 v4, vcc_lo, v4, s6
	s_wait_alu 0xfffd
	v_add_co_ci_u32_e64 v5, null, s7, v5, vcc_lo
	s_add_co_i32 s24, s24, 1
	s_delay_alu instid0(SALU_CYCLE_1)
	s_cmp_ge_i32 s24, s16
	s_wait_loadcnt 0x0
	v_add_f32_e32 v6, v6, v7
	s_cbranch_scc0 .LBB86_16
.LBB86_17:                              ;   in Loop: Header=BB86_4 Depth=1
	s_and_b32 vcc_lo, exec_lo, s22
	s_mov_b32 s16, -1
                                        ; implicit-def: $vgpr4
	s_wait_alu 0xfffe
	s_cbranch_vccz .LBB86_19
; %bb.18:                               ;   in Loop: Header=BB86_4 Depth=1
	v_mul_f32_e32 v4, s15, v6
	s_mov_b32 s16, 0
.LBB86_19:                              ;   in Loop: Header=BB86_4 Depth=1
	s_delay_alu instid0(SALU_CYCLE_1)
	s_and_not1_b32 vcc_lo, exec_lo, s16
	s_wait_alu 0xfffe
	s_cbranch_vccnz .LBB86_21
; %bb.20:                               ;   in Loop: Header=BB86_4 Depth=1
	v_add_co_u32 v4, vcc_lo, s10, v0
	s_wait_alu 0xfffd
	v_add_co_ci_u32_e64 v5, null, s11, v1, vcc_lo
	global_load_b32 v4, v[4:5], off
	s_wait_loadcnt 0x0
	v_mul_f32_e32 v4, s18, v4
	s_delay_alu instid0(VALU_DEP_1)
	v_fmac_f32_e32 v4, s15, v6
.LBB86_21:                              ;   in Loop: Header=BB86_4 Depth=1
	s_or_b32 s14, s14, exec_lo
.LBB86_22:                              ;   in Loop: Header=BB86_4 Depth=1
	s_wait_alu 0xfffe
	s_or_b32 exec_lo, exec_lo, s23
.LBB86_23:                              ;   in Loop: Header=BB86_4 Depth=1
	s_wait_alu 0xfffe
	s_and_saveexec_b32 s16, s14
	s_cbranch_execz .LBB86_2
; %bb.24:                               ;   in Loop: Header=BB86_4 Depth=1
	v_add_co_u32 v5, vcc_lo, s10, v0
	s_wait_alu 0xfffd
	v_add_co_ci_u32_e64 v6, null, s11, v1, vcc_lo
	global_store_b32 v[5:6], v4, off
	s_branch .LBB86_2
.LBB86_25:
	s_endpgm
	.section	.rodata,"a",@progbits
	.p2align	6, 0x0
	.amdhsa_kernel _ZL36rocblas_hemvn_kernel_lower_block_sumILi64ElfPffEviT1_lS1_lT2_lT0_lPT3_i
		.amdhsa_group_segment_fixed_size 0
		.amdhsa_private_segment_fixed_size 0
		.amdhsa_kernarg_size 336
		.amdhsa_user_sgpr_count 2
		.amdhsa_user_sgpr_dispatch_ptr 0
		.amdhsa_user_sgpr_queue_ptr 0
		.amdhsa_user_sgpr_kernarg_segment_ptr 1
		.amdhsa_user_sgpr_dispatch_id 0
		.amdhsa_user_sgpr_private_segment_size 0
		.amdhsa_wavefront_size32 1
		.amdhsa_uses_dynamic_stack 0
		.amdhsa_enable_private_segment 0
		.amdhsa_system_sgpr_workgroup_id_x 1
		.amdhsa_system_sgpr_workgroup_id_y 0
		.amdhsa_system_sgpr_workgroup_id_z 1
		.amdhsa_system_sgpr_workgroup_info 0
		.amdhsa_system_vgpr_workitem_id 0
		.amdhsa_next_free_vgpr 8
		.amdhsa_next_free_sgpr 28
		.amdhsa_reserve_vcc 1
		.amdhsa_float_round_mode_32 0
		.amdhsa_float_round_mode_16_64 0
		.amdhsa_float_denorm_mode_32 3
		.amdhsa_float_denorm_mode_16_64 3
		.amdhsa_fp16_overflow 0
		.amdhsa_workgroup_processor_mode 1
		.amdhsa_memory_ordered 1
		.amdhsa_forward_progress 1
		.amdhsa_inst_pref_size 6
		.amdhsa_round_robin_scheduling 0
		.amdhsa_exception_fp_ieee_invalid_op 0
		.amdhsa_exception_fp_denorm_src 0
		.amdhsa_exception_fp_ieee_div_zero 0
		.amdhsa_exception_fp_ieee_overflow 0
		.amdhsa_exception_fp_ieee_underflow 0
		.amdhsa_exception_fp_ieee_inexact 0
		.amdhsa_exception_int_div_zero 0
	.end_amdhsa_kernel
	.section	.text._ZL36rocblas_hemvn_kernel_lower_block_sumILi64ElfPffEviT1_lS1_lT2_lT0_lPT3_i,"axG",@progbits,_ZL36rocblas_hemvn_kernel_lower_block_sumILi64ElfPffEviT1_lS1_lT2_lT0_lPT3_i,comdat
.Lfunc_end86:
	.size	_ZL36rocblas_hemvn_kernel_lower_block_sumILi64ElfPffEviT1_lS1_lT2_lT0_lPT3_i, .Lfunc_end86-_ZL36rocblas_hemvn_kernel_lower_block_sumILi64ElfPffEviT1_lS1_lT2_lT0_lPT3_i
                                        ; -- End function
	.set _ZL36rocblas_hemvn_kernel_lower_block_sumILi64ElfPffEviT1_lS1_lT2_lT0_lPT3_i.num_vgpr, 8
	.set _ZL36rocblas_hemvn_kernel_lower_block_sumILi64ElfPffEviT1_lS1_lT2_lT0_lPT3_i.num_agpr, 0
	.set _ZL36rocblas_hemvn_kernel_lower_block_sumILi64ElfPffEviT1_lS1_lT2_lT0_lPT3_i.numbered_sgpr, 28
	.set _ZL36rocblas_hemvn_kernel_lower_block_sumILi64ElfPffEviT1_lS1_lT2_lT0_lPT3_i.num_named_barrier, 0
	.set _ZL36rocblas_hemvn_kernel_lower_block_sumILi64ElfPffEviT1_lS1_lT2_lT0_lPT3_i.private_seg_size, 0
	.set _ZL36rocblas_hemvn_kernel_lower_block_sumILi64ElfPffEviT1_lS1_lT2_lT0_lPT3_i.uses_vcc, 1
	.set _ZL36rocblas_hemvn_kernel_lower_block_sumILi64ElfPffEviT1_lS1_lT2_lT0_lPT3_i.uses_flat_scratch, 0
	.set _ZL36rocblas_hemvn_kernel_lower_block_sumILi64ElfPffEviT1_lS1_lT2_lT0_lPT3_i.has_dyn_sized_stack, 0
	.set _ZL36rocblas_hemvn_kernel_lower_block_sumILi64ElfPffEviT1_lS1_lT2_lT0_lPT3_i.has_recursion, 0
	.set _ZL36rocblas_hemvn_kernel_lower_block_sumILi64ElfPffEviT1_lS1_lT2_lT0_lPT3_i.has_indirect_call, 0
	.section	.AMDGPU.csdata,"",@progbits
; Kernel info:
; codeLenInByte = 720
; TotalNumSgprs: 30
; NumVgprs: 8
; ScratchSize: 0
; MemoryBound: 0
; FloatMode: 240
; IeeeMode: 1
; LDSByteSize: 0 bytes/workgroup (compile time only)
; SGPRBlocks: 0
; VGPRBlocks: 0
; NumSGPRsForWavesPerEU: 30
; NumVGPRsForWavesPerEU: 8
; Occupancy: 16
; WaveLimiterHint : 0
; COMPUTE_PGM_RSRC2:SCRATCH_EN: 0
; COMPUTE_PGM_RSRC2:USER_SGPR: 2
; COMPUTE_PGM_RSRC2:TRAP_HANDLER: 0
; COMPUTE_PGM_RSRC2:TGID_X_EN: 1
; COMPUTE_PGM_RSRC2:TGID_Y_EN: 0
; COMPUTE_PGM_RSRC2:TGID_Z_EN: 1
; COMPUTE_PGM_RSRC2:TIDIG_COMP_CNT: 0
	.section	.text._ZL26rocblas_hemvn_kernel_lowerILb0ELi64ELi4ELi33ELi32ELi16EifPKfPfEviT6_lT7_lT5_lS4_lS5_lS3_lT8_i,"axG",@progbits,_ZL26rocblas_hemvn_kernel_lowerILb0ELi64ELi4ELi33ELi32ELi16EifPKfPfEviT6_lT7_lT5_lS4_lS5_lS3_lT8_i,comdat
	.globl	_ZL26rocblas_hemvn_kernel_lowerILb0ELi64ELi4ELi33ELi32ELi16EifPKfPfEviT6_lT7_lT5_lS4_lS5_lS3_lT8_i ; -- Begin function _ZL26rocblas_hemvn_kernel_lowerILb0ELi64ELi4ELi33ELi32ELi16EifPKfPfEviT6_lT7_lT5_lS4_lS5_lS3_lT8_i
	.p2align	8
	.type	_ZL26rocblas_hemvn_kernel_lowerILb0ELi64ELi4ELi33ELi32ELi16EifPKfPfEviT6_lT7_lT5_lS4_lS5_lS3_lT8_i,@function
_ZL26rocblas_hemvn_kernel_lowerILb0ELi64ELi4ELi33ELi32ELi16EifPKfPfEviT6_lT7_lT5_lS4_lS5_lS3_lT8_i: ; @_ZL26rocblas_hemvn_kernel_lowerILb0ELi64ELi4ELi33ELi32ELi16EifPKfPfEviT6_lT7_lT5_lS4_lS5_lS3_lT8_i
; %bb.0:
	s_clause 0x1
	s_load_b64 s[2:3], s[0:1], 0x7c
	s_load_b32 s33, s[0:1], 0x68
	s_lshr_b32 s28, ttmp7, 16
	s_wait_kmcnt 0x0
	s_lshr_b32 s4, s2, 16
	s_and_b32 s2, s2, 0xffff
	s_and_b32 s3, s3, 0xffff
	s_mul_i32 s2, s4, s2
	s_delay_alu instid0(SALU_CYCLE_1) | instskip(NEXT) | instid1(SALU_CYCLE_1)
	s_mul_i32 s2, s2, s3
	s_cmp_lg_u32 s2, 0x100
	s_cselect_b32 s2, -1, 0
	s_cmp_ge_u32 s28, s33
	s_cselect_b32 s3, -1, 0
	s_delay_alu instid0(SALU_CYCLE_1) | instskip(NEXT) | instid1(SALU_CYCLE_1)
	s_or_b32 s2, s2, s3
	s_and_b32 vcc_lo, exec_lo, s2
	s_cbranch_vccnz .LBB87_79
; %bb.1:
	s_clause 0x4
	s_load_b32 s74, s[0:1], 0x20
	s_load_b96 s[16:18], s[0:1], 0x38
	s_load_b128 s[4:7], s[0:1], 0x10
	s_load_b96 s[24:26], s[0:1], 0x48
	s_load_b64 s[2:3], s[0:1], 0x0
	v_dual_mov_b32 v17, 0 :: v_dual_and_b32 v30, 0x3ff, v0
	v_bfe_u32 v13, v0, 10, 10
	s_add_nc_u64 s[10:11], s[0:1], 0x70
	s_clause 0x1
	s_load_b128 s[20:23], s[0:1], 0x28
	s_load_b64 s[8:9], s[0:1], 0x60
	s_load_b32 s10, s[10:11], 0x0
	v_and_b32_e32 v1, 31, v0
	v_lshl_add_u32 v14, v13, 6, v30
	s_mov_b32 s29, 0
	v_lshlrev_b32_e32 v31, 2, v30
	s_mov_b32 s11, s29
	v_mul_u32_u24_e32 v22, 33, v1
	v_lshrrev_b32_e32 v7, 5, v14
	v_lshlrev_b32_e32 v15, 2, v1
	v_and_b32_e32 v26, 0x7ff0, v14
	s_wait_kmcnt 0x0
	s_ashr_i32 s75, s74, 31
	s_lshl_b64 s[14:15], s[16:17], 2
	s_lshl_b64 s[6:7], s[6:7], 2
	s_cmp_neq_f32 s26, 1.0
	s_mul_i32 s12, s2, ttmp9
	s_add_nc_u64 s[4:5], s[4:5], s[6:7]
	v_lshlrev_b32_e32 v18, 2, v7
	s_cselect_b32 s1, -1, 0
	s_cmp_neq_f32 s3, 0
	s_add_nc_u64 s[14:15], s[22:23], s[14:15]
	v_add_nc_u32_e32 v9, 16, v7
	v_or_b32_e32 v21, 3, v18
	s_cselect_b32 s13, -1, 0
	s_lshl_b32 s40, ttmp9, 6
	s_ashr_i32 s3, s2, 31
	v_add_nc_u32_e32 v2, s40, v30
	s_lshr_b32 s16, s3, 26
	s_add_co_i32 s17, s10, -1
	s_add_co_i32 s16, s2, s16
	s_or_b32 s88, s13, s1
	v_mad_co_u64_u32 v[3:4], null, s74, v7, v[1:2]
	v_mul_lo_u32 v4, s18, v2
	s_and_not1_b32 s16, s16, 63
	s_mul_u64 s[26:27], s[10:11], s[2:3]
	s_sub_co_i32 s1, s2, s16
	s_cmp_eq_u32 ttmp9, s17
	s_mul_i32 s42, s74, s40
	s_cselect_b32 s22, s1, 0
	v_cndmask_b32_e64 v33, 0, 1, s13
	v_ashrrev_i32_e32 v5, 31, v4
	v_cmp_gt_i32_e32 vcc_lo, s22, v30
	s_cmp_eq_u32 s22, 0
	v_lshl_add_u32 v42, v22, 2, v18
	s_cselect_b32 s1, -1, 0
	v_lshlrev_b64_e32 v[4:5], 2, v[4:5]
	s_or_b32 s89, s1, vcc_lo
	s_ashr_i32 s41, s40, 31
	s_ashr_i32 s43, s42, 31
	s_wait_alu 0xfffe
	s_lshl_b64 s[2:3], s[40:41], 2
	s_ashr_i32 s13, s12, 31
	v_add_co_u32 v35, vcc_lo, s14, v4
	v_ashrrev_i32_e32 v4, 31, v3
	v_add_co_ci_u32_e64 v36, null, s15, v5, vcc_lo
	s_add_nc_u64 s[2:3], s[4:5], s[2:3]
	s_wait_alu 0xfffe
	s_lshl_b64 s[6:7], s[12:13], 2
	v_lshlrev_b64_e32 v[5:6], 2, v[3:4]
	s_add_nc_u64 s[30:31], s[8:9], s[6:7]
	v_mul_u32_u24_e32 v16, 0x84, v7
	v_add_nc_u32_e32 v8, 8, v7
	v_add_nc_u32_e32 v10, 24, v7
	v_lshlrev_b32_e32 v11, 4, v7
	v_add_co_u32 v5, vcc_lo, s2, v5
	s_wait_alu 0xfffd
	v_add_co_ci_u32_e64 v6, null, s3, v6, vcc_lo
	s_lshl_b64 s[2:3], s[42:43], 2
	s_cmp_lg_u32 s22, 0
	s_wait_alu 0xfffe
	v_add_co_u32 v37, vcc_lo, v5, s2
	s_wait_alu 0xfffd
	v_add_co_ci_u32_e64 v38, null, s3, v6, vcc_lo
	s_cselect_b32 s17, -1, 0
	v_sub_co_u32 v5, s2, 0, v1
	s_sub_co_i32 s15, s22, 32
	v_cmp_le_i32_e32 vcc_lo, s22, v30
	v_sub_co_ci_u32_e64 v6, null, 0, 0, s2
	v_cmp_gt_i32_e64 s2, s22, v7
	v_mul_u32_u24_e32 v20, 0x210, v7
	v_cmp_lt_u32_e64 s9, v21, v1
	s_wait_alu 0xfffe
	v_cmp_gt_i32_e64 s12, s15, v7
	v_cmp_eq_u32_e64 s16, 1, v7
	v_mul_i32_i24_e32 v21, -12, v7
	v_mad_u32_u24 v43, v7, 12, v42
	v_mul_lo_u32 v7, v13, s74
	v_lshl_or_b32 v39, v1, 7, v15
	v_cmp_gt_i32_e64 s4, s22, v9
	v_or_b32_e32 v19, 2, v18
	v_cmp_gt_i32_e64 s14, s15, v9
	s_and_b32 s17, s17, vcc_lo
	v_sub_co_u32 v9, vcc_lo, 0, v3
	v_lshrrev_b32_e32 v3, 2, v14
	v_add_nc_u32_e32 v40, v39, v11
	v_add_nc_u32_e32 v41, 0x11c0, v11
	v_or_b32_e32 v11, 32, v1
	s_mul_i32 s40, s18, s40
	v_or_b32_e32 v12, 1, v18
	v_cmp_lt_u32_e64 s8, v19, v1
	v_and_b32_e32 v19, 15, v0
	v_lshl_add_u32 v7, v7, 2, v30
	v_and_b32_e32 v0, 48, v0
	v_and_b32_e32 v3, 0x1ffc, v3
	s_wait_alu 0xfffe
	s_ashr_i32 s41, s40, 31
	v_cmp_gt_i32_e64 s11, s22, v11
	s_wait_alu 0xfffe
	s_sub_nc_u64 s[80:81], 0, s[40:41]
	v_sub_co_u32 v11, s40, 0, v30
	v_cmp_gt_i32_e64 s3, s22, v8
	v_cmp_gt_i32_e64 s5, s22, v10
	v_cmp_lt_u32_e64 s7, v12, v1
	v_mul_u32_u24_e32 v23, 0x84, v12
	v_cmp_gt_i32_e64 s13, s15, v8
	v_cmp_gt_i32_e64 s15, s15, v10
	s_wait_alu 0xfffd
	v_sub_co_ci_u32_e64 v10, null, 0, v4, vcc_lo
	v_ashrrev_i32_e32 v8, 31, v7
	s_wait_alu 0xf1ff
	v_sub_co_ci_u32_e64 v12, null, 0, 0, s40
	v_mul_u32_u24_e32 v4, 0x10c, v19
	v_lshlrev_b32_e32 v0, 2, v0
	v_or_b32_e32 v22, 60, v31
	v_mad_u32_u24 v47, 0x10c, v19, v3
	v_ashrrev_i32_e32 v3, 31, v2
	s_lshl_b32 s34, s74, 3
	s_lshl_b32 s36, s74, 4
	s_mul_i32 s38, s74, 24
	s_lshl_b32 s76, s74, 5
	v_mad_u32_u24 v46, 0x430, v13, v31
	s_ashr_i32 s35, s34, 31
	s_ashr_i32 s37, s36, 31
	;; [unrolled: 1-line block ×5, first 2 shown]
	s_xor_b32 s19, s17, -1
	v_cmp_eq_u32_e64 s0, 0, v13
	s_cmp_gt_i32 ttmp9, 0
	v_cmp_lt_u32_e64 s6, v18, v1
	v_mad_u32_u24 v48, 0x10c, v19, v0
	v_mad_u32_u24 v49, 0x10c, v19, v22
	v_add_nc_u32_e32 v51, 0x11c0, v18
	v_lshlrev_b64_e32 v[18:19], 2, v[5:6]
	v_add_nc_u32_e32 v53, v15, v20
	v_add_nc_u32_e32 v54, v15, v23
	;; [unrolled: 1-line block ×3, first 2 shown]
	v_lshlrev_b64_e32 v[20:21], 2, v[9:10]
	v_lshlrev_b64_e32 v[22:23], 2, v[7:8]
	;; [unrolled: 1-line block ×3, first 2 shown]
	v_add_nc_u32_e32 v56, v4, v26
	v_lshlrev_b64_e32 v[26:27], 2, v[2:3]
	v_add_nc_u32_e32 v32, 0x11c0, v31
	v_cndmask_b32_e64 v34, 0, 1, s1
	v_cmp_gt_i32_e64 s1, s22, v1
	v_cmp_gt_u32_e64 s10, 32, v14
	s_cselect_b32 s90, -1, 0
	s_lshl_b32 s91, s18, 6
	v_add_nc_u32_e32 v44, 0x10c0, v31
	v_lshl_add_u32 v45, v13, 4, 0x10c0
	v_cmp_gt_u32_e64 s18, 64, v14
	v_mad_i32_i24 v50, 0xfffffcdc, v13, v46
	v_add_nc_u32_e32 v52, v15, v16
	v_lshlrev_b32_e32 v57, 2, v1
	s_sub_nc_u64 s[78:79], 0, s[76:77]
	s_sub_nc_u64 s[82:83], 0, s[42:43]
	s_wait_alu 0xfffe
	s_and_b32 s92, s0, s19
	s_lshl_b64 s[40:41], s[74:75], 5
	s_sub_nc_u64 s[42:43], 0, s[22:23]
	s_lshl_b64 s[44:45], s[74:75], 2
	s_lshl_b64 s[46:47], s[74:75], 8
	;; [unrolled: 1-line block ×3, first 2 shown]
	s_mul_u64 s[50:51], s[74:75], 12
	s_mul_u64 s[52:53], s[74:75], 0x48
	;; [unrolled: 1-line block ×10, first 2 shown]
	s_lshl_b64 s[70:71], s[74:75], 7
	s_mul_u64 s[72:73], s[74:75], 0x44
	s_lshl_b64 s[74:75], s[74:75], 6
	s_lshl_b64 s[76:77], s[76:77], 2
	;; [unrolled: 1-line block ×5, first 2 shown]
	s_branch .LBB87_4
.LBB87_2:                               ;   in Loop: Header=BB87_4 Depth=1
	s_wait_alu 0xfffe
	s_or_b32 exec_lo, exec_lo, s19
.LBB87_3:                               ;   in Loop: Header=BB87_4 Depth=1
	s_add_co_i32 s28, s28, 0x10000
	s_delay_alu instid0(SALU_CYCLE_1)
	s_cmp_lt_u32 s28, s33
	s_cbranch_scc0 .LBB87_79
.LBB87_4:                               ; =>This Loop Header: Depth=1
                                        ;     Child Loop BB87_67 Depth 2
	s_and_not1_b32 vcc_lo, exec_lo, s88
	s_wait_alu 0xfffe
	s_cbranch_vccnz .LBB87_3
; %bb.5:                                ;   in Loop: Header=BB87_4 Depth=1
	v_cmp_ne_u32_e32 vcc_lo, 1, v33
	s_cbranch_vccnz .LBB87_3
; %bb.6:                                ;   in Loop: Header=BB87_4 Depth=1
	s_mul_u64 s[84:85], s[24:25], s[28:29]
	s_wait_alu 0xfffe
	s_lshl_b64 s[84:85], s[84:85], 2
	s_wait_alu 0xfffe
	v_add_co_u32 v4, vcc_lo, v35, s84
	s_wait_alu 0xfffd
	v_add_co_ci_u32_e64 v5, null, s85, v36, vcc_lo
	s_and_saveexec_b32 s19, s0
	s_cbranch_execz .LBB87_10
; %bb.7:                                ;   in Loop: Header=BB87_4 Depth=1
	v_mov_b32_e32 v0, 0
	s_and_saveexec_b32 s84, s89
	s_cbranch_execz .LBB87_9
; %bb.8:                                ;   in Loop: Header=BB87_4 Depth=1
	global_load_b32 v0, v[4:5], off
.LBB87_9:                               ;   in Loop: Header=BB87_4 Depth=1
	s_wait_alu 0xfffe
	s_or_b32 exec_lo, exec_lo, s84
	s_wait_loadcnt 0x0
	ds_store_b32 v32, v0
.LBB87_10:                              ;   in Loop: Header=BB87_4 Depth=1
	s_wait_alu 0xfffe
	s_or_b32 exec_lo, exec_lo, s19
	s_mul_u64 s[84:85], s[20:21], s[28:29]
	v_cmp_ne_u32_e32 vcc_lo, 1, v34
	s_wait_alu 0xfffe
	s_lshl_b64 s[84:85], s[84:85], 2
	s_wait_alu 0xfffe
	v_add_co_u32 v0, s19, v37, s84
	s_wait_alu 0xf1ff
	v_add_co_ci_u32_e64 v1, null, s85, v38, s19
	s_mov_b32 s19, -1
	s_cbranch_vccnz .LBB87_12
; %bb.11:                               ;   in Loop: Header=BB87_4 Depth=1
	s_lshl_b64 s[84:85], s[34:35], 2
	s_mov_b32 s19, 0
	s_wait_alu 0xfffe
	v_add_co_u32 v2, vcc_lo, v0, s84
	s_wait_alu 0xfffd
	v_add_co_ci_u32_e64 v3, null, s85, v1, vcc_lo
	s_delay_alu instid0(VALU_DEP_2) | instskip(SKIP_1) | instid1(VALU_DEP_2)
	v_add_co_u32 v6, vcc_lo, v2, s40
	s_wait_alu 0xfffd
	v_add_co_ci_u32_e64 v7, null, s41, v3, vcc_lo
	s_delay_alu instid0(VALU_DEP_2) | instskip(SKIP_1) | instid1(VALU_DEP_2)
	v_add_co_u32 v8, vcc_lo, v6, s40
	s_wait_alu 0xfffd
	v_add_co_ci_u32_e64 v9, null, s41, v7, vcc_lo
	s_clause 0x3
	global_load_b32 v10, v[0:1], off
	global_load_b32 v2, v[2:3], off
	;; [unrolled: 1-line block ×4, first 2 shown]
	s_wait_loadcnt 0x3
	ds_store_b32 v52, v10
	s_wait_loadcnt 0x2
	ds_store_b32 v52, v2 offset:1056
	s_wait_loadcnt 0x1
	ds_store_b32 v52, v3 offset:2112
	;; [unrolled: 2-line block ×3, first 2 shown]
.LBB87_12:                              ;   in Loop: Header=BB87_4 Depth=1
	s_wait_alu 0xfffe
	s_and_not1_b32 vcc_lo, exec_lo, s19
	s_wait_alu 0xfffe
	s_cbranch_vccnz .LBB87_22
; %bb.13:                               ;   in Loop: Header=BB87_4 Depth=1
	v_add_co_u32 v2, vcc_lo, v0, v18
	s_wait_alu 0xfffd
	v_add_co_ci_u32_e64 v3, null, v1, v19, vcc_lo
	s_lshl_b64 s[84:85], s[22:23], 2
	v_dual_mov_b32 v7, 0 :: v_dual_mov_b32 v6, 0
	s_wait_alu 0xfffe
	v_add_co_u32 v2, vcc_lo, v2, s84
	s_wait_alu 0xfffd
	v_add_co_ci_u32_e64 v3, null, s85, v3, vcc_lo
	s_delay_alu instid0(VALU_DEP_2) | instskip(SKIP_1) | instid1(VALU_DEP_2)
	v_add_co_u32 v2, vcc_lo, v2, -4
	s_wait_alu 0xfffd
	v_add_co_ci_u32_e64 v3, null, -1, v3, vcc_lo
	s_delay_alu instid0(VALU_DEP_2) | instskip(NEXT) | instid1(VALU_DEP_2)
	v_cndmask_b32_e64 v2, v2, v0, s1
	v_cndmask_b32_e64 v3, v3, v1, s1
	s_and_saveexec_b32 s19, s2
	s_cbranch_execz .LBB87_15
; %bb.14:                               ;   in Loop: Header=BB87_4 Depth=1
	global_load_b32 v6, v[2:3], off
.LBB87_15:                              ;   in Loop: Header=BB87_4 Depth=1
	s_wait_alu 0xfffe
	s_or_b32 exec_lo, exec_lo, s19
	s_wait_loadcnt 0x0
	ds_store_b32 v52, v6
	s_and_saveexec_b32 s19, s3
	s_cbranch_execz .LBB87_17
; %bb.16:                               ;   in Loop: Header=BB87_4 Depth=1
	s_lshl_b64 s[84:85], s[34:35], 2
	s_wait_alu 0xfffe
	v_add_co_u32 v6, vcc_lo, v2, s84
	s_wait_alu 0xfffd
	v_add_co_ci_u32_e64 v7, null, s85, v3, vcc_lo
	global_load_b32 v7, v[6:7], off
.LBB87_17:                              ;   in Loop: Header=BB87_4 Depth=1
	s_wait_alu 0xfffe
	s_or_b32 exec_lo, exec_lo, s19
	v_mov_b32_e32 v6, 0
	v_mov_b32_e32 v8, 0
	s_wait_loadcnt 0x0
	ds_store_b32 v52, v7 offset:1056
	s_and_saveexec_b32 s19, s4
	s_cbranch_execz .LBB87_19
; %bb.18:                               ;   in Loop: Header=BB87_4 Depth=1
	s_lshl_b64 s[84:85], s[36:37], 2
	s_wait_alu 0xfffe
	v_add_co_u32 v7, vcc_lo, v2, s84
	s_wait_alu 0xfffd
	v_add_co_ci_u32_e64 v8, null, s85, v3, vcc_lo
	global_load_b32 v8, v[7:8], off
.LBB87_19:                              ;   in Loop: Header=BB87_4 Depth=1
	s_wait_alu 0xfffe
	s_or_b32 exec_lo, exec_lo, s19
	s_wait_loadcnt 0x0
	ds_store_b32 v52, v8 offset:2112
	s_and_saveexec_b32 s19, s5
	s_cbranch_execz .LBB87_21
; %bb.20:                               ;   in Loop: Header=BB87_4 Depth=1
	s_lshl_b64 s[84:85], s[38:39], 2
	s_wait_alu 0xfffe
	v_add_co_u32 v6, vcc_lo, v2, s84
	s_wait_alu 0xfffd
	v_add_co_ci_u32_e64 v7, null, s85, v3, vcc_lo
	global_load_b32 v6, v[6:7], off
.LBB87_21:                              ;   in Loop: Header=BB87_4 Depth=1
	s_wait_alu 0xfffe
	s_or_b32 exec_lo, exec_lo, s19
	v_add_co_u32 v2, vcc_lo, v2, v57
	s_wait_alu 0xfffd
	v_add_co_ci_u32_e64 v3, null, 0, v3, vcc_lo
	s_lshl_b64 s[84:85], s[42:43], 2
	s_wait_loadcnt 0x0
	ds_store_b32 v52, v6 offset:3168
	s_wait_alu 0xfffe
	v_add_co_u32 v2, vcc_lo, v2, s84
	s_wait_alu 0xfffd
	v_add_co_ci_u32_e64 v3, null, s85, v3, vcc_lo
	s_delay_alu instid0(VALU_DEP_2) | instskip(SKIP_1) | instid1(VALU_DEP_2)
	v_add_co_u32 v2, vcc_lo, v2, 4
	s_wait_alu 0xfffd
	v_add_co_ci_u32_e64 v3, null, 0, v3, vcc_lo
	s_delay_alu instid0(VALU_DEP_2) | instskip(NEXT) | instid1(VALU_DEP_2)
	v_cndmask_b32_e64 v0, v2, v0, s1
	v_cndmask_b32_e64 v1, v3, v1, s1
.LBB87_22:                              ;   in Loop: Header=BB87_4 Depth=1
	s_wait_dscnt 0x0
	s_barrier_signal -1
	s_barrier_wait -1
	global_inv scope:SCOPE_SE
	s_and_saveexec_b32 s19, s6
	s_cbranch_execnz .LBB87_73
; %bb.23:                               ;   in Loop: Header=BB87_4 Depth=1
	s_wait_alu 0xfffe
	s_or_b32 exec_lo, exec_lo, s19
	s_and_saveexec_b32 s19, s7
	s_cbranch_execnz .LBB87_74
.LBB87_24:                              ;   in Loop: Header=BB87_4 Depth=1
	s_wait_alu 0xfffe
	s_or_b32 exec_lo, exec_lo, s19
	s_and_saveexec_b32 s19, s8
	s_cbranch_execnz .LBB87_75
.LBB87_25:                              ;   in Loop: Header=BB87_4 Depth=1
	s_wait_alu 0xfffe
	s_or_b32 exec_lo, exec_lo, s19
	s_and_saveexec_b32 s19, s9
	s_cbranch_execz .LBB87_27
.LBB87_26:                              ;   in Loop: Header=BB87_4 Depth=1
	ds_load_b32 v2, v54 offset:264
	s_wait_dscnt 0x0
	ds_store_b32 v40, v2 offset:12
.LBB87_27:                              ;   in Loop: Header=BB87_4 Depth=1
	s_wait_alu 0xfffe
	s_or_b32 exec_lo, exec_lo, s19
	s_wait_loadcnt_dscnt 0x0
	s_barrier_signal -1
	s_barrier_wait -1
	global_inv scope:SCOPE_SE
	ds_load_b32 v10, v53
	ds_load_b32 v11, v54 offset:264
	ds_load_b128 v[6:9], v41
	ds_load_2addr_b32 v[2:3], v54 offset1:33
	v_mov_b32_e32 v58, 0
	s_wait_loadcnt_dscnt 0x0
	s_barrier_signal -1
	s_barrier_wait -1
	global_inv scope:SCOPE_SE
	v_fma_f32 v6, v10, v6, 0
	s_delay_alu instid0(VALU_DEP_1) | instskip(NEXT) | instid1(VALU_DEP_1)
	v_fmac_f32_e32 v6, v2, v7
	v_fmac_f32_e32 v6, v3, v8
	s_delay_alu instid0(VALU_DEP_1)
	v_fmac_f32_e32 v6, v11, v9
	ds_store_b32 v42, v6
	s_wait_loadcnt_dscnt 0x0
	s_barrier_signal -1
	s_barrier_wait -1
	global_inv scope:SCOPE_SE
	s_and_saveexec_b32 s19, s10
	s_cbranch_execz .LBB87_29
; %bb.28:                               ;   in Loop: Header=BB87_4 Depth=1
	ds_load_2addr_b32 v[2:3], v39 offset1:1
	ds_load_2addr_b32 v[6:7], v39 offset0:2 offset1:3
	ds_load_2addr_b32 v[8:9], v39 offset0:4 offset1:5
	;; [unrolled: 1-line block ×3, first 2 shown]
	s_wait_dscnt 0x3
	v_add_f32_e32 v2, v2, v3
	s_wait_dscnt 0x2
	s_delay_alu instid0(VALU_DEP_1) | instskip(NEXT) | instid1(VALU_DEP_1)
	v_add_f32_e32 v2, v2, v6
	v_add_f32_e32 v2, v2, v7
	s_wait_dscnt 0x1
	s_delay_alu instid0(VALU_DEP_1) | instskip(NEXT) | instid1(VALU_DEP_1)
	v_add_f32_e32 v2, v2, v8
	;; [unrolled: 4-line block ×3, first 2 shown]
	v_add_f32_e32 v58, v2, v11
.LBB87_29:                              ;   in Loop: Header=BB87_4 Depth=1
	s_wait_alu 0xfffe
	s_or_b32 exec_lo, exec_lo, s19
	v_cmp_ne_u32_e32 vcc_lo, 1, v34
	v_add_co_u32 v0, s19, v0, s76
	s_wait_alu 0xf1ff
	v_add_co_ci_u32_e64 v1, null, s77, v1, s19
	s_and_b32 vcc_lo, exec_lo, vcc_lo
	s_mov_b32 s19, -1
	s_wait_loadcnt 0x0
	s_barrier_signal -1
	s_barrier_wait -1
	global_inv scope:SCOPE_SE
	s_wait_alu 0xfffe
	s_cbranch_vccnz .LBB87_31
; %bb.30:                               ;   in Loop: Header=BB87_4 Depth=1
	s_lshl_b64 s[84:85], s[34:35], 2
	s_mov_b32 s19, 0
	s_wait_alu 0xfffe
	v_add_co_u32 v2, vcc_lo, v0, s84
	s_wait_alu 0xfffd
	v_add_co_ci_u32_e64 v3, null, s85, v1, vcc_lo
	s_delay_alu instid0(VALU_DEP_2) | instskip(SKIP_1) | instid1(VALU_DEP_2)
	v_add_co_u32 v6, vcc_lo, v2, s40
	s_wait_alu 0xfffd
	v_add_co_ci_u32_e64 v7, null, s41, v3, vcc_lo
	s_delay_alu instid0(VALU_DEP_2) | instskip(SKIP_1) | instid1(VALU_DEP_2)
	v_add_co_u32 v8, vcc_lo, v6, s40
	s_wait_alu 0xfffd
	v_add_co_ci_u32_e64 v9, null, s41, v7, vcc_lo
	s_clause 0x3
	global_load_b32 v10, v[0:1], off offset:128
	global_load_b32 v2, v[2:3], off offset:128
	;; [unrolled: 1-line block ×4, first 2 shown]
	s_wait_loadcnt 0x3
	ds_store_b32 v52, v10
	s_wait_loadcnt 0x2
	ds_store_b32 v52, v2 offset:1056
	s_wait_loadcnt 0x1
	ds_store_b32 v52, v3 offset:2112
	;; [unrolled: 2-line block ×3, first 2 shown]
.LBB87_31:                              ;   in Loop: Header=BB87_4 Depth=1
	v_add_co_u32 v2, vcc_lo, 0x80, v0
	s_wait_alu 0xfffd
	v_add_co_ci_u32_e64 v3, null, 0, v1, vcc_lo
	s_and_not1_b32 vcc_lo, exec_lo, s19
	s_wait_alu 0xfffe
	s_cbranch_vccnz .LBB87_41
; %bb.32:                               ;   in Loop: Header=BB87_4 Depth=1
	v_add_co_u32 v0, vcc_lo, v0, v18
	s_wait_alu 0xfffd
	v_add_co_ci_u32_e64 v1, null, v1, v19, vcc_lo
	s_lshl_b64 s[84:85], s[22:23], 2
	v_dual_mov_b32 v7, 0 :: v_dual_mov_b32 v6, 0
	s_wait_alu 0xfffe
	v_add_co_u32 v0, vcc_lo, v0, s84
	s_wait_alu 0xfffd
	v_add_co_ci_u32_e64 v1, null, s85, v1, vcc_lo
	s_delay_alu instid0(VALU_DEP_2) | instskip(SKIP_1) | instid1(VALU_DEP_2)
	v_add_co_u32 v0, vcc_lo, v0, -4
	s_wait_alu 0xfffd
	v_add_co_ci_u32_e64 v1, null, -1, v1, vcc_lo
	s_delay_alu instid0(VALU_DEP_2) | instskip(NEXT) | instid1(VALU_DEP_2)
	v_cndmask_b32_e64 v0, v0, v2, s11
	v_cndmask_b32_e64 v1, v1, v3, s11
	s_and_saveexec_b32 s19, s12
	s_cbranch_execz .LBB87_34
; %bb.33:                               ;   in Loop: Header=BB87_4 Depth=1
	global_load_b32 v6, v[0:1], off
.LBB87_34:                              ;   in Loop: Header=BB87_4 Depth=1
	s_wait_alu 0xfffe
	s_or_b32 exec_lo, exec_lo, s19
	s_wait_loadcnt 0x0
	ds_store_b32 v52, v6
	s_and_saveexec_b32 s19, s13
	s_cbranch_execz .LBB87_36
; %bb.35:                               ;   in Loop: Header=BB87_4 Depth=1
	s_lshl_b64 s[84:85], s[34:35], 2
	s_wait_alu 0xfffe
	v_add_co_u32 v6, vcc_lo, v0, s84
	s_wait_alu 0xfffd
	v_add_co_ci_u32_e64 v7, null, s85, v1, vcc_lo
	global_load_b32 v7, v[6:7], off
.LBB87_36:                              ;   in Loop: Header=BB87_4 Depth=1
	s_wait_alu 0xfffe
	s_or_b32 exec_lo, exec_lo, s19
	v_mov_b32_e32 v6, 0
	v_mov_b32_e32 v8, 0
	s_wait_loadcnt 0x0
	ds_store_b32 v52, v7 offset:1056
	s_and_saveexec_b32 s19, s14
	s_cbranch_execz .LBB87_38
; %bb.37:                               ;   in Loop: Header=BB87_4 Depth=1
	s_lshl_b64 s[84:85], s[36:37], 2
	s_wait_alu 0xfffe
	v_add_co_u32 v7, vcc_lo, v0, s84
	s_wait_alu 0xfffd
	v_add_co_ci_u32_e64 v8, null, s85, v1, vcc_lo
	global_load_b32 v8, v[7:8], off
.LBB87_38:                              ;   in Loop: Header=BB87_4 Depth=1
	s_wait_alu 0xfffe
	s_or_b32 exec_lo, exec_lo, s19
	s_wait_loadcnt 0x0
	ds_store_b32 v52, v8 offset:2112
	s_and_saveexec_b32 s19, s15
	s_cbranch_execz .LBB87_40
; %bb.39:                               ;   in Loop: Header=BB87_4 Depth=1
	s_lshl_b64 s[84:85], s[38:39], 2
	s_wait_alu 0xfffe
	v_add_co_u32 v6, vcc_lo, v0, s84
	s_wait_alu 0xfffd
	v_add_co_ci_u32_e64 v7, null, s85, v1, vcc_lo
	global_load_b32 v6, v[6:7], off
.LBB87_40:                              ;   in Loop: Header=BB87_4 Depth=1
	s_wait_alu 0xfffe
	s_or_b32 exec_lo, exec_lo, s19
	v_add_co_u32 v0, vcc_lo, v0, v57
	s_wait_alu 0xfffd
	v_add_co_ci_u32_e64 v1, null, 0, v1, vcc_lo
	s_lshl_b64 s[84:85], s[42:43], 2
	s_wait_loadcnt 0x0
	ds_store_b32 v52, v6 offset:3168
	s_wait_alu 0xfffe
	v_add_co_u32 v0, vcc_lo, v0, s84
	s_wait_alu 0xfffd
	v_add_co_ci_u32_e64 v1, null, s85, v1, vcc_lo
	s_delay_alu instid0(VALU_DEP_2) | instskip(SKIP_1) | instid1(VALU_DEP_2)
	v_add_co_u32 v0, vcc_lo, 0x84, v0
	s_wait_alu 0xfffd
	v_add_co_ci_u32_e64 v1, null, 0, v1, vcc_lo
	s_delay_alu instid0(VALU_DEP_2) | instskip(NEXT) | instid1(VALU_DEP_2)
	v_cndmask_b32_e64 v2, v0, v2, s11
	v_cndmask_b32_e64 v3, v1, v3, s11
.LBB87_41:                              ;   in Loop: Header=BB87_4 Depth=1
	s_wait_loadcnt_dscnt 0x0
	s_barrier_signal -1
	s_barrier_wait -1
	global_inv scope:SCOPE_SE
	s_and_saveexec_b32 s19, s6
	s_cbranch_execnz .LBB87_76
; %bb.42:                               ;   in Loop: Header=BB87_4 Depth=1
	s_wait_alu 0xfffe
	s_or_b32 exec_lo, exec_lo, s19
	s_and_saveexec_b32 s19, s7
	s_cbranch_execnz .LBB87_77
.LBB87_43:                              ;   in Loop: Header=BB87_4 Depth=1
	s_wait_alu 0xfffe
	s_or_b32 exec_lo, exec_lo, s19
	s_and_saveexec_b32 s19, s8
	s_cbranch_execnz .LBB87_78
.LBB87_44:                              ;   in Loop: Header=BB87_4 Depth=1
	s_wait_alu 0xfffe
	s_or_b32 exec_lo, exec_lo, s19
	s_and_saveexec_b32 s19, s9
	s_cbranch_execz .LBB87_46
.LBB87_45:                              ;   in Loop: Header=BB87_4 Depth=1
	ds_load_b32 v0, v54 offset:264
	s_wait_dscnt 0x0
	ds_store_b32 v40, v0 offset:12
.LBB87_46:                              ;   in Loop: Header=BB87_4 Depth=1
	s_wait_alu 0xfffe
	s_or_b32 exec_lo, exec_lo, s19
	s_wait_loadcnt_dscnt 0x0
	s_barrier_signal -1
	s_barrier_wait -1
	global_inv scope:SCOPE_SE
	ds_load_b32 v10, v53
	ds_load_b32 v11, v54 offset:264
	ds_load_b128 v[6:9], v41 offset:128
	ds_load_2addr_b32 v[0:1], v54 offset1:33
	s_wait_loadcnt_dscnt 0x0
	s_barrier_signal -1
	s_barrier_wait -1
	global_inv scope:SCOPE_SE
	v_fma_f32 v6, v10, v6, 0
	s_delay_alu instid0(VALU_DEP_1) | instskip(NEXT) | instid1(VALU_DEP_1)
	v_fmac_f32_e32 v6, v0, v7
	v_fmac_f32_e32 v6, v1, v8
	s_delay_alu instid0(VALU_DEP_1)
	v_fmac_f32_e32 v6, v11, v9
	ds_store_b32 v42, v6
	s_wait_loadcnt_dscnt 0x0
	s_barrier_signal -1
	s_barrier_wait -1
	global_inv scope:SCOPE_SE
	s_and_saveexec_b32 s19, s16
	s_cbranch_execz .LBB87_48
; %bb.47:                               ;   in Loop: Header=BB87_4 Depth=1
	ds_load_2addr_b32 v[0:1], v39 offset1:1
	ds_load_2addr_b32 v[6:7], v39 offset0:2 offset1:3
	ds_load_2addr_b32 v[8:9], v39 offset0:4 offset1:5
	;; [unrolled: 1-line block ×3, first 2 shown]
	s_wait_dscnt 0x3
	v_add_f32_e32 v0, v0, v1
	s_wait_dscnt 0x2
	s_delay_alu instid0(VALU_DEP_1) | instskip(NEXT) | instid1(VALU_DEP_1)
	v_add_f32_e32 v0, v0, v6
	v_add_f32_e32 v0, v0, v7
	s_wait_dscnt 0x1
	s_delay_alu instid0(VALU_DEP_1) | instskip(NEXT) | instid1(VALU_DEP_1)
	v_add_f32_e32 v0, v0, v8
	;; [unrolled: 4-line block ×3, first 2 shown]
	v_add_f32_e32 v58, v0, v11
.LBB87_48:                              ;   in Loop: Header=BB87_4 Depth=1
	s_wait_alu 0xfffe
	s_or_b32 exec_lo, exec_lo, s19
	v_cmp_ne_u32_e32 vcc_lo, 1, v34
	v_add_co_u32 v6, s19, v2, s78
	s_wait_alu 0xf1ff
	v_add_co_ci_u32_e64 v7, null, s79, v3, s19
	s_and_b32 vcc_lo, exec_lo, vcc_lo
	s_mov_b32 s19, -1
	s_wait_loadcnt 0x0
	s_barrier_signal -1
	s_barrier_wait -1
	global_inv scope:SCOPE_SE
	s_wait_alu 0xfffe
	s_cbranch_vccnz .LBB87_50
; %bb.49:                               ;   in Loop: Header=BB87_4 Depth=1
	s_lshl_b64 s[84:85], s[34:35], 2
	s_mov_b32 s19, 0
	s_wait_alu 0xfffe
	v_add_co_u32 v0, vcc_lo, v6, s84
	s_wait_alu 0xfffd
	v_add_co_ci_u32_e64 v1, null, s85, v7, vcc_lo
	s_delay_alu instid0(VALU_DEP_2) | instskip(SKIP_1) | instid1(VALU_DEP_2)
	v_add_co_u32 v2, vcc_lo, v0, s40
	s_wait_alu 0xfffd
	v_add_co_ci_u32_e64 v3, null, s41, v1, vcc_lo
	s_delay_alu instid0(VALU_DEP_2) | instskip(SKIP_1) | instid1(VALU_DEP_2)
	v_add_co_u32 v8, vcc_lo, v2, s40
	s_wait_alu 0xfffd
	v_add_co_ci_u32_e64 v9, null, s41, v3, vcc_lo
	s_clause 0x3
	global_load_b32 v10, v[6:7], off
	global_load_b32 v0, v[0:1], off
	;; [unrolled: 1-line block ×4, first 2 shown]
	s_wait_loadcnt 0x3
	ds_store_b32 v52, v10
	s_wait_loadcnt 0x2
	ds_store_b32 v52, v0 offset:1056
	s_wait_loadcnt 0x1
	ds_store_b32 v52, v1 offset:2112
	;; [unrolled: 2-line block ×3, first 2 shown]
.LBB87_50:                              ;   in Loop: Header=BB87_4 Depth=1
	s_and_not1_b32 vcc_lo, exec_lo, s19
	s_wait_alu 0xfffe
	s_cbranch_vccnz .LBB87_60
; %bb.51:                               ;   in Loop: Header=BB87_4 Depth=1
	v_add_co_u32 v0, vcc_lo, v6, v18
	s_wait_alu 0xfffd
	v_add_co_ci_u32_e64 v1, null, v7, v19, vcc_lo
	s_lshl_b64 s[84:85], s[22:23], 2
	v_dual_mov_b32 v3, 0 :: v_dual_mov_b32 v2, 0
	s_wait_alu 0xfffe
	v_add_co_u32 v0, vcc_lo, v0, s84
	s_wait_alu 0xfffd
	v_add_co_ci_u32_e64 v1, null, s85, v1, vcc_lo
	s_delay_alu instid0(VALU_DEP_2) | instskip(SKIP_1) | instid1(VALU_DEP_2)
	v_add_co_u32 v0, vcc_lo, 0xffffff7c, v0
	s_wait_alu 0xfffd
	v_add_co_ci_u32_e64 v1, null, -1, v1, vcc_lo
	s_delay_alu instid0(VALU_DEP_2) | instskip(NEXT) | instid1(VALU_DEP_2)
	v_cndmask_b32_e64 v0, v0, v6, s11
	v_cndmask_b32_e64 v1, v1, v7, s11
	s_and_saveexec_b32 s19, s2
	s_cbranch_execz .LBB87_53
; %bb.52:                               ;   in Loop: Header=BB87_4 Depth=1
	global_load_b32 v2, v[0:1], off
.LBB87_53:                              ;   in Loop: Header=BB87_4 Depth=1
	s_wait_alu 0xfffe
	s_or_b32 exec_lo, exec_lo, s19
	s_wait_loadcnt 0x0
	ds_store_b32 v52, v2
	s_and_saveexec_b32 s19, s3
	s_cbranch_execz .LBB87_55
; %bb.54:                               ;   in Loop: Header=BB87_4 Depth=1
	s_lshl_b64 s[84:85], s[34:35], 2
	s_wait_alu 0xfffe
	v_add_co_u32 v2, vcc_lo, v0, s84
	s_wait_alu 0xfffd
	v_add_co_ci_u32_e64 v3, null, s85, v1, vcc_lo
	global_load_b32 v3, v[2:3], off
.LBB87_55:                              ;   in Loop: Header=BB87_4 Depth=1
	s_wait_alu 0xfffe
	s_or_b32 exec_lo, exec_lo, s19
	v_mov_b32_e32 v2, 0
	v_mov_b32_e32 v8, 0
	s_wait_loadcnt 0x0
	ds_store_b32 v52, v3 offset:1056
	s_and_saveexec_b32 s19, s4
	s_cbranch_execz .LBB87_57
; %bb.56:                               ;   in Loop: Header=BB87_4 Depth=1
	s_lshl_b64 s[84:85], s[36:37], 2
	s_wait_alu 0xfffe
	v_add_co_u32 v8, vcc_lo, v0, s84
	s_wait_alu 0xfffd
	v_add_co_ci_u32_e64 v9, null, s85, v1, vcc_lo
	global_load_b32 v8, v[8:9], off
.LBB87_57:                              ;   in Loop: Header=BB87_4 Depth=1
	s_wait_alu 0xfffe
	s_or_b32 exec_lo, exec_lo, s19
	s_wait_loadcnt 0x0
	ds_store_b32 v52, v8 offset:2112
	s_and_saveexec_b32 s19, s5
	s_cbranch_execz .LBB87_59
; %bb.58:                               ;   in Loop: Header=BB87_4 Depth=1
	s_lshl_b64 s[84:85], s[38:39], 2
	s_wait_alu 0xfffe
	v_add_co_u32 v2, vcc_lo, v0, s84
	s_wait_alu 0xfffd
	v_add_co_ci_u32_e64 v3, null, s85, v1, vcc_lo
	global_load_b32 v2, v[2:3], off
.LBB87_59:                              ;   in Loop: Header=BB87_4 Depth=1
	s_wait_alu 0xfffe
	s_or_b32 exec_lo, exec_lo, s19
	v_add_co_u32 v0, vcc_lo, v0, v57
	s_wait_alu 0xfffd
	v_add_co_ci_u32_e64 v1, null, 0, v1, vcc_lo
	s_lshl_b64 s[84:85], s[42:43], 2
	s_wait_loadcnt 0x0
	ds_store_b32 v52, v2 offset:3168
	s_wait_alu 0xfffe
	v_add_co_u32 v0, vcc_lo, v0, s84
	s_wait_alu 0xfffd
	v_add_co_ci_u32_e64 v1, null, s85, v1, vcc_lo
	s_delay_alu instid0(VALU_DEP_2) | instskip(SKIP_1) | instid1(VALU_DEP_2)
	v_add_co_u32 v0, vcc_lo, 0x84, v0
	s_wait_alu 0xfffd
	v_add_co_ci_u32_e64 v1, null, 0, v1, vcc_lo
	s_delay_alu instid0(VALU_DEP_2) | instskip(NEXT) | instid1(VALU_DEP_2)
	v_cndmask_b32_e64 v6, v0, v6, s11
	v_cndmask_b32_e64 v7, v1, v7, s11
.LBB87_60:                              ;   in Loop: Header=BB87_4 Depth=1
	s_wait_loadcnt_dscnt 0x0
	s_barrier_signal -1
	s_barrier_wait -1
	global_inv scope:SCOPE_SE
	ds_load_b32 v0, v52
	ds_load_b32 v1, v55
	ds_load_2addr_b32 v[12:13], v51 offset0:8 offset1:16
	ds_load_b32 v14, v52 offset:1056
	ds_load_b32 v15, v52 offset:2112
	;; [unrolled: 1-line block ×4, first 2 shown]
	s_wait_dscnt 0x5
	v_fma_f32 v29, v0, v1, 0
	ds_load_2addr_b32 v[10:11], v43 offset1:1
	ds_load_b128 v[0:3], v41 offset:128
	ds_load_2addr_b32 v[8:9], v43 offset0:2 offset1:3
	s_wait_loadcnt_dscnt 0x0
	s_barrier_signal -1
	s_barrier_wait -1
	v_fmac_f32_e32 v29, v14, v12
	global_inv scope:SCOPE_SE
	v_fmac_f32_e32 v29, v15, v13
	s_delay_alu instid0(VALU_DEP_1)
	v_fmac_f32_e32 v29, v16, v28
	ds_store_b32 v42, v29
	s_wait_loadcnt_dscnt 0x0
	s_barrier_signal -1
	s_barrier_wait -1
	global_inv scope:SCOPE_SE
	s_and_saveexec_b32 s19, s16
	s_cbranch_execz .LBB87_62
; %bb.61:                               ;   in Loop: Header=BB87_4 Depth=1
	ds_load_2addr_b32 v[12:13], v39 offset1:1
	ds_load_2addr_b32 v[14:15], v39 offset0:2 offset1:3
	ds_load_2addr_b32 v[28:29], v39 offset0:4 offset1:5
	;; [unrolled: 1-line block ×3, first 2 shown]
	s_wait_dscnt 0x3
	v_add_f32_e32 v12, v58, v12
	s_delay_alu instid0(VALU_DEP_1) | instskip(SKIP_1) | instid1(VALU_DEP_1)
	v_add_f32_e32 v12, v12, v13
	s_wait_dscnt 0x2
	v_add_f32_e32 v12, v12, v14
	s_delay_alu instid0(VALU_DEP_1) | instskip(SKIP_1) | instid1(VALU_DEP_1)
	v_add_f32_e32 v12, v12, v15
	;; [unrolled: 4-line block ×3, first 2 shown]
	s_wait_dscnt 0x0
	v_add_f32_e32 v12, v12, v59
	s_delay_alu instid0(VALU_DEP_1)
	v_add_f32_e32 v58, v12, v60
.LBB87_62:                              ;   in Loop: Header=BB87_4 Depth=1
	s_wait_alu 0xfffe
	s_or_b32 exec_lo, exec_lo, s19
	v_fma_f32 v0, v10, v0, 0
	s_wait_loadcnt 0x0
	s_barrier_signal -1
	s_barrier_wait -1
	global_inv scope:SCOPE_SE
	v_fmac_f32_e32 v0, v11, v1
	s_delay_alu instid0(VALU_DEP_1) | instskip(NEXT) | instid1(VALU_DEP_1)
	v_fmac_f32_e32 v0, v8, v2
	v_fmac_f32_e32 v0, v9, v3
	ds_store_b32 v42, v0
	s_wait_loadcnt_dscnt 0x0
	s_barrier_signal -1
	s_barrier_wait -1
	global_inv scope:SCOPE_SE
	s_and_saveexec_b32 s19, s10
	s_cbranch_execz .LBB87_64
; %bb.63:                               ;   in Loop: Header=BB87_4 Depth=1
	ds_load_2addr_b32 v[0:1], v39 offset1:1
	ds_load_2addr_b32 v[2:3], v39 offset0:2 offset1:3
	ds_load_2addr_b32 v[8:9], v39 offset0:4 offset1:5
	;; [unrolled: 1-line block ×3, first 2 shown]
	s_wait_dscnt 0x3
	v_add_f32_e32 v0, v58, v0
	s_delay_alu instid0(VALU_DEP_1) | instskip(SKIP_1) | instid1(VALU_DEP_1)
	v_add_f32_e32 v0, v0, v1
	s_wait_dscnt 0x2
	v_add_f32_e32 v0, v0, v2
	s_delay_alu instid0(VALU_DEP_1) | instskip(SKIP_1) | instid1(VALU_DEP_1)
	v_add_f32_e32 v0, v0, v3
	;; [unrolled: 4-line block ×3, first 2 shown]
	s_wait_dscnt 0x0
	v_add_f32_e32 v0, v0, v10
	s_delay_alu instid0(VALU_DEP_1)
	v_add_f32_e32 v58, v0, v11
.LBB87_64:                              ;   in Loop: Header=BB87_4 Depth=1
	s_wait_alu 0xfffe
	s_or_b32 exec_lo, exec_lo, s19
	s_mul_u64 s[84:85], s[26:27], s[28:29]
	s_and_not1_b32 vcc_lo, exec_lo, s90
	s_wait_alu 0xfffe
	s_lshl_b64 s[84:85], s[84:85], 2
	s_wait_loadcnt 0x0
	s_wait_alu 0xfffe
	s_add_nc_u64 s[84:85], s[30:31], s[84:85]
	s_barrier_signal -1
	s_barrier_wait -1
	global_inv scope:SCOPE_SE
	s_cbranch_vccnz .LBB87_71
; %bb.65:                               ;   in Loop: Header=BB87_4 Depth=1
	v_add_co_u32 v0, vcc_lo, v6, s82
	s_wait_alu 0xfffd
	v_add_co_ci_u32_e64 v1, null, s83, v7, vcc_lo
	s_lshl_b64 s[86:87], s[22:23], 2
	v_add_co_u32 v0, vcc_lo, v0, v20
	s_wait_alu 0xfffd
	v_add_co_ci_u32_e64 v1, null, v1, v21, vcc_lo
	v_mov_b32_e32 v16, v30
	s_delay_alu instid0(VALU_DEP_3) | instskip(SKIP_1) | instid1(VALU_DEP_3)
	v_add_co_u32 v0, vcc_lo, v0, v22
	s_wait_alu 0xfffd
	v_add_co_ci_u32_e64 v1, null, v1, v23, vcc_lo
	s_mov_b32 s19, ttmp9
	v_add_co_u32 v2, vcc_lo, v0, v24
	s_wait_alu 0xfffd
	v_add_co_ci_u32_e64 v3, null, v1, v25, vcc_lo
	s_wait_alu 0xfffe
	s_delay_alu instid0(VALU_DEP_2) | instskip(SKIP_1) | instid1(VALU_DEP_2)
	v_add_co_u32 v2, vcc_lo, v2, s86
	s_wait_alu 0xfffd
	v_add_co_ci_u32_e64 v3, null, s87, v3, vcc_lo
	v_add_co_u32 v0, vcc_lo, 0xffffff80, v0
	s_wait_alu 0xfffd
	v_add_co_ci_u32_e64 v1, null, -1, v1, vcc_lo
	v_add_co_u32 v2, vcc_lo, 0xffffff7c, v2
	s_wait_alu 0xfffd
	v_add_co_ci_u32_e64 v3, null, -1, v3, vcc_lo
	v_add_co_u32 v59, vcc_lo, v4, s80
	s_wait_alu 0xfffd
	v_add_co_ci_u32_e64 v60, null, s81, v5, vcc_lo
	s_delay_alu instid0(VALU_DEP_3)
	v_cndmask_b32_e64 v29, v1, v3, s17
	v_cndmask_b32_e64 v28, v0, v2, s17
	s_mov_b32 s86, 0
	s_branch .LBB87_67
.LBB87_66:                              ;   in Loop: Header=BB87_67 Depth=2
	s_wait_alu 0xfffe
	s_or_b32 exec_lo, exec_lo, s87
	v_fmac_f32_e32 v58, v64, v0
	v_add_co_u32 v28, vcc_lo, v28, s46
	s_wait_alu 0xfffd
	v_add_co_ci_u32_e64 v29, null, s47, v29, vcc_lo
	s_delay_alu instid0(VALU_DEP_3)
	v_fmac_f32_e32 v58, v62, v1
	v_add_nc_u32_e32 v16, 64, v16
	s_add_co_i32 s19, s19, -1
	s_add_co_i32 s86, s86, s91
	s_wait_alu 0xfffe
	s_cmp_eq_u32 s19, 0
	v_fmac_f32_e32 v58, v61, v2
	s_wait_loadcnt 0x0
	s_wait_storecnt 0x0
	s_barrier_signal -1
	s_barrier_wait -1
	global_inv scope:SCOPE_SE
	v_fmac_f32_e32 v58, v63, v3
	s_delay_alu instid0(VALU_DEP_1) | instskip(NEXT) | instid1(VALU_DEP_1)
	v_fmac_f32_e32 v58, v68, v4
	v_fmac_f32_e32 v58, v66, v5
	s_delay_alu instid0(VALU_DEP_1) | instskip(NEXT) | instid1(VALU_DEP_1)
	v_fmac_f32_e32 v58, v65, v6
	;; [unrolled: 3-line block ×6, first 2 shown]
	v_fmac_f32_e32 v58, v73, v15
	s_cbranch_scc1 .LBB87_71
.LBB87_67:                              ;   Parent Loop BB87_4 Depth=1
                                        ; =>  This Inner Loop Header: Depth=2
	s_and_saveexec_b32 s93, s0
	s_cbranch_execz .LBB87_69
; %bb.68:                               ;   in Loop: Header=BB87_67 Depth=2
	s_wait_alu 0xfffe
	s_ashr_i32 s87, s86, 31
	s_wait_alu 0xfffe
	s_lshl_b64 s[94:95], s[86:87], 2
	s_wait_alu 0xfffe
	v_add_co_u32 v0, vcc_lo, v59, s94
	s_wait_alu 0xfffd
	v_add_co_ci_u32_e64 v1, null, s95, v60, vcc_lo
	global_load_b32 v0, v[0:1], off
	s_wait_loadcnt 0x0
	ds_store_b32 v44, v0
.LBB87_69:                              ;   in Loop: Header=BB87_67 Depth=2
	s_or_b32 exec_lo, exec_lo, s93
	v_add_co_u32 v0, vcc_lo, v28, s44
	s_wait_alu 0xfffd
	v_add_co_ci_u32_e64 v1, null, s45, v29, vcc_lo
	v_add_co_u32 v2, vcc_lo, v28, s48
	s_wait_alu 0xfffd
	v_add_co_ci_u32_e64 v3, null, s49, v29, vcc_lo
	;; [unrolled: 3-line block ×3, first 2 shown]
	s_wait_loadcnt_dscnt 0x0
	s_barrier_signal -1
	s_barrier_wait -1
	global_inv scope:SCOPE_SE
	s_clause 0x3
	global_load_b32 v64, v[28:29], off
	global_load_b32 v62, v[0:1], off
	;; [unrolled: 1-line block ×4, first 2 shown]
	ds_load_b32 v10, v32
	ds_load_b128 v[0:3], v45
	v_add_co_u32 v4, vcc_lo, v28, s74
	s_wait_alu 0xfffd
	v_add_co_ci_u32_e64 v5, null, s75, v29, vcc_lo
	v_add_co_u32 v6, vcc_lo, v28, s72
	s_wait_alu 0xfffd
	v_add_co_ci_u32_e64 v7, null, s73, v29, vcc_lo
	;; [unrolled: 3-line block ×3, first 2 shown]
	s_wait_loadcnt_dscnt 0x301
	v_mul_f32_e32 v12, v64, v10
	s_wait_loadcnt 0x2
	v_mul_f32_e32 v13, v62, v10
	s_wait_loadcnt 0x1
	;; [unrolled: 2-line block ×3, first 2 shown]
	v_mul_f32_e32 v15, v63, v10
	v_add_co_u32 v10, vcc_lo, v28, s54
	s_wait_alu 0xfffd
	v_add_co_ci_u32_e64 v11, null, s55, v29, vcc_lo
	ds_store_2addr_b32 v46, v12, v13 offset1:67
	ds_store_2addr_b32 v46, v14, v15 offset0:134 offset1:201
	s_wait_dscnt 0x0
	s_barrier_signal -1
	s_barrier_wait -1
	global_inv scope:SCOPE_SE
	ds_load_2addr_b32 v[77:78], v56 offset1:1
	ds_load_2addr_b32 v[79:80], v56 offset0:2 offset1:3
	s_wait_loadcnt_dscnt 0x0
	s_barrier_signal -1
	s_barrier_wait -1
	global_inv scope:SCOPE_SE
	s_clause 0x3
	global_load_b32 v68, v[4:5], off
	global_load_b32 v66, v[6:7], off
	;; [unrolled: 1-line block ×4, first 2 shown]
	ds_load_b32 v14, v32
	ds_load_b128 v[4:7], v45 offset:64
	v_add_co_u32 v8, vcc_lo, v28, s70
	s_wait_alu 0xfffd
	v_add_co_ci_u32_e64 v9, null, s71, v29, vcc_lo
	v_add_co_u32 v10, vcc_lo, v28, s68
	s_wait_alu 0xfffd
	v_add_co_ci_u32_e64 v11, null, s69, v29, vcc_lo
	;; [unrolled: 3-line block ×3, first 2 shown]
	s_wait_loadcnt_dscnt 0x301
	v_mul_f32_e32 v69, v68, v14
	s_wait_loadcnt 0x2
	v_mul_f32_e32 v70, v66, v14
	s_wait_loadcnt 0x1
	v_mul_f32_e32 v71, v65, v14
	s_wait_loadcnt 0x0
	v_mul_f32_e32 v72, v67, v14
	v_add_co_u32 v14, vcc_lo, v28, s58
	s_wait_alu 0xfffd
	v_add_co_ci_u32_e64 v15, null, s59, v29, vcc_lo
	ds_store_2addr_b32 v46, v69, v70 offset1:67
	ds_store_2addr_b32 v46, v71, v72 offset0:134 offset1:201
	s_wait_dscnt 0x0
	s_barrier_signal -1
	s_barrier_wait -1
	global_inv scope:SCOPE_SE
	ds_load_2addr_b32 v[81:82], v56 offset1:1
	ds_load_2addr_b32 v[83:84], v56 offset0:2 offset1:3
	s_wait_loadcnt_dscnt 0x0
	s_barrier_signal -1
	s_barrier_wait -1
	global_inv scope:SCOPE_SE
	s_clause 0x3
	global_load_b32 v72, v[8:9], off
	global_load_b32 v70, v[10:11], off
	;; [unrolled: 1-line block ×4, first 2 shown]
	ds_load_b32 v75, v32
	ds_load_b128 v[8:11], v45 offset:128
	v_add_co_u32 v12, vcc_lo, v28, s66
	s_wait_alu 0xfffd
	v_add_co_ci_u32_e64 v13, null, s67, v29, vcc_lo
	v_add_co_u32 v14, vcc_lo, v28, s64
	s_wait_alu 0xfffd
	v_add_co_ci_u32_e64 v15, null, s65, v29, vcc_lo
	;; [unrolled: 3-line block ×4, first 2 shown]
	s_wait_loadcnt_dscnt 0x301
	v_mul_f32_e32 v76, v72, v75
	s_wait_loadcnt 0x2
	v_mul_f32_e32 v87, v70, v75
	s_wait_loadcnt 0x1
	;; [unrolled: 2-line block ×3, first 2 shown]
	v_mul_f32_e32 v75, v71, v75
	ds_store_2addr_b32 v46, v76, v87 offset1:67
	ds_store_2addr_b32 v46, v88, v75 offset0:134 offset1:201
	s_wait_dscnt 0x0
	s_barrier_signal -1
	s_barrier_wait -1
	global_inv scope:SCOPE_SE
	ds_load_2addr_b32 v[87:88], v56 offset1:1
	ds_load_2addr_b32 v[89:90], v56 offset0:2 offset1:3
	s_wait_loadcnt_dscnt 0x0
	s_barrier_signal -1
	s_barrier_wait -1
	global_inv scope:SCOPE_SE
	s_clause 0x3
	global_load_b32 v76, v[12:13], off
	global_load_b32 v75, v[14:15], off
	;; [unrolled: 1-line block ×4, first 2 shown]
	ds_load_b32 v85, v32
	ds_load_b128 v[12:15], v45 offset:192
	s_wait_loadcnt_dscnt 0x301
	v_mul_f32_e32 v86, v76, v85
	s_wait_loadcnt 0x2
	v_mul_f32_e32 v91, v75, v85
	s_wait_loadcnt 0x1
	;; [unrolled: 2-line block ×3, first 2 shown]
	v_mul_f32_e32 v85, v73, v85
	ds_store_2addr_b32 v46, v86, v91 offset1:67
	ds_store_2addr_b32 v46, v92, v85 offset0:134 offset1:201
	s_wait_dscnt 0x0
	s_barrier_signal -1
	s_barrier_wait -1
	global_inv scope:SCOPE_SE
	ds_load_2addr_b32 v[85:86], v56 offset1:1
	ds_load_2addr_b32 v[91:92], v56 offset0:2 offset1:3
	s_wait_loadcnt_dscnt 0x0
	s_barrier_signal -1
	s_barrier_wait -1
	global_inv scope:SCOPE_SE
	v_add_f32_e32 v85, 0, v85
	v_add_f32_e32 v81, 0, v81
	;; [unrolled: 1-line block ×3, first 2 shown]
	s_delay_alu instid0(VALU_DEP_1) | instskip(NEXT) | instid1(VALU_DEP_3)
	v_add_f32_e32 v77, v77, v78
	v_add_f32_e32 v78, v81, v82
	s_delay_alu instid0(VALU_DEP_2) | instskip(NEXT) | instid1(VALU_DEP_2)
	v_add_f32_e32 v77, v77, v79
	v_add_f32_e32 v78, v78, v83
	v_dual_add_f32 v87, 0, v87 :: v_dual_add_f32 v82, v85, v86
	s_delay_alu instid0(VALU_DEP_3) | instskip(NEXT) | instid1(VALU_DEP_3)
	v_add_f32_e32 v77, v77, v80
	v_add_f32_e32 v78, v78, v84
	s_delay_alu instid0(VALU_DEP_3) | instskip(NEXT) | instid1(VALU_DEP_1)
	v_add_f32_e32 v81, v87, v88
	v_add_f32_e32 v79, v81, v89
	;; [unrolled: 1-line block ×3, first 2 shown]
	s_delay_alu instid0(VALU_DEP_1)
	v_dual_add_f32 v79, v79, v90 :: v_dual_add_f32 v80, v81, v92
	ds_store_2addr_b32 v47, v77, v78 offset1:16
	ds_store_2addr_b32 v47, v79, v80 offset0:32 offset1:48
	s_wait_loadcnt_dscnt 0x0
	s_barrier_signal -1
	s_barrier_wait -1
	global_inv scope:SCOPE_SE
	s_and_saveexec_b32 s87, s18
	s_cbranch_execz .LBB87_66
; %bb.70:                               ;   in Loop: Header=BB87_67 Depth=2
	ds_load_2addr_b32 v[77:78], v48 offset1:1
	ds_load_2addr_b32 v[79:80], v48 offset0:2 offset1:3
	ds_load_2addr_b32 v[81:82], v48 offset0:4 offset1:5
	;; [unrolled: 1-line block ×3, first 2 shown]
	s_wait_dscnt 0x3
	v_add_f32_e32 v77, v77, v78
	s_wait_dscnt 0x2
	s_delay_alu instid0(VALU_DEP_1) | instskip(NEXT) | instid1(VALU_DEP_1)
	v_add_f32_e32 v77, v77, v79
	v_add_f32_e32 v79, v77, v80
	ds_load_2addr_b32 v[77:78], v48 offset0:8 offset1:9
	s_wait_dscnt 0x2
	v_add_f32_e32 v79, v79, v81
	s_delay_alu instid0(VALU_DEP_1) | instskip(SKIP_3) | instid1(VALU_DEP_1)
	v_add_f32_e32 v81, v79, v82
	ds_load_2addr_b32 v[79:80], v48 offset0:10 offset1:11
	s_wait_dscnt 0x2
	v_add_f32_e32 v81, v81, v83
	v_add_f32_e32 v83, v81, v84
	ds_load_2addr_b32 v[81:82], v48 offset0:12 offset1:13
	ds_load_b32 v84, v48 offset:56
	s_wait_dscnt 0x3
	v_add_f32_e32 v77, v83, v77
	s_delay_alu instid0(VALU_DEP_1) | instskip(SKIP_1) | instid1(VALU_DEP_1)
	v_add_f32_e32 v77, v77, v78
	s_wait_dscnt 0x2
	v_add_f32_e32 v77, v77, v79
	ds_load_b32 v79, v49
	v_add_f32_e32 v77, v77, v80
	s_wait_dscnt 0x2
	s_delay_alu instid0(VALU_DEP_1) | instskip(NEXT) | instid1(VALU_DEP_1)
	v_add_f32_e32 v77, v77, v81
	v_add_f32_e32 v77, v77, v82
	s_wait_dscnt 0x1
	s_delay_alu instid0(VALU_DEP_1) | instskip(SKIP_2) | instid1(VALU_DEP_2)
	v_add_f32_e32 v80, v77, v84
	v_lshlrev_b64_e32 v[77:78], 2, v[16:17]
	s_wait_dscnt 0x0
	v_add_f32_e32 v79, v80, v79
	s_wait_alu 0xfffe
	s_delay_alu instid0(VALU_DEP_2)
	v_add_co_u32 v77, vcc_lo, s84, v77
	s_wait_alu 0xfffd
	v_add_co_ci_u32_e64 v78, null, s85, v78, vcc_lo
	global_store_b32 v[77:78], v79, off
	s_branch .LBB87_66
.LBB87_71:                              ;   in Loop: Header=BB87_4 Depth=1
	ds_store_b32 v50, v58
	s_wait_loadcnt_dscnt 0x0
	s_barrier_signal -1
	s_barrier_wait -1
	global_inv scope:SCOPE_SE
	s_and_saveexec_b32 s19, s92
	s_cbranch_execz .LBB87_2
; %bb.72:                               ;   in Loop: Header=BB87_4 Depth=1
	ds_load_2addr_b32 v[0:1], v31 offset1:67
	ds_load_2addr_b32 v[2:3], v31 offset0:134 offset1:201
	s_wait_dscnt 0x1
	v_add_f32_e32 v0, v0, v1
	s_wait_dscnt 0x0
	s_delay_alu instid0(VALU_DEP_1) | instskip(NEXT) | instid1(VALU_DEP_1)
	v_add_f32_e32 v0, v0, v2
	v_add_f32_e32 v2, v0, v3
	s_wait_alu 0xfffe
	v_add_co_u32 v0, vcc_lo, s84, v26
	s_wait_alu 0xfffd
	v_add_co_ci_u32_e64 v1, null, s85, v27, vcc_lo
	global_store_b32 v[0:1], v2, off
	s_branch .LBB87_2
.LBB87_73:                              ;   in Loop: Header=BB87_4 Depth=1
	ds_load_b32 v2, v53
	s_wait_dscnt 0x0
	ds_store_b32 v40, v2
	s_wait_alu 0xfffe
	s_or_b32 exec_lo, exec_lo, s19
	s_and_saveexec_b32 s19, s7
	s_cbranch_execz .LBB87_24
.LBB87_74:                              ;   in Loop: Header=BB87_4 Depth=1
	ds_load_b32 v2, v54
	s_wait_dscnt 0x0
	ds_store_b32 v40, v2 offset:4
	s_wait_alu 0xfffe
	s_or_b32 exec_lo, exec_lo, s19
	s_and_saveexec_b32 s19, s8
	s_cbranch_execz .LBB87_25
.LBB87_75:                              ;   in Loop: Header=BB87_4 Depth=1
	ds_load_b32 v2, v54 offset:132
	s_wait_dscnt 0x0
	ds_store_b32 v40, v2 offset:8
	s_wait_alu 0xfffe
	s_or_b32 exec_lo, exec_lo, s19
	s_and_saveexec_b32 s19, s9
	s_cbranch_execnz .LBB87_26
	s_branch .LBB87_27
.LBB87_76:                              ;   in Loop: Header=BB87_4 Depth=1
	ds_load_b32 v0, v53
	s_wait_dscnt 0x0
	ds_store_b32 v40, v0
	s_wait_alu 0xfffe
	s_or_b32 exec_lo, exec_lo, s19
	s_and_saveexec_b32 s19, s7
	s_cbranch_execz .LBB87_43
.LBB87_77:                              ;   in Loop: Header=BB87_4 Depth=1
	ds_load_b32 v0, v54
	s_wait_dscnt 0x0
	ds_store_b32 v40, v0 offset:4
	s_wait_alu 0xfffe
	s_or_b32 exec_lo, exec_lo, s19
	s_and_saveexec_b32 s19, s8
	s_cbranch_execz .LBB87_44
.LBB87_78:                              ;   in Loop: Header=BB87_4 Depth=1
	ds_load_b32 v0, v54 offset:132
	s_wait_dscnt 0x0
	ds_store_b32 v40, v0 offset:8
	s_wait_alu 0xfffe
	s_or_b32 exec_lo, exec_lo, s19
	s_and_saveexec_b32 s19, s9
	s_cbranch_execnz .LBB87_45
	s_branch .LBB87_46
.LBB87_79:
	s_endpgm
	.section	.rodata,"a",@progbits
	.p2align	6, 0x0
	.amdhsa_kernel _ZL26rocblas_hemvn_kernel_lowerILb0ELi64ELi4ELi33ELi32ELi16EifPKfPfEviT6_lT7_lT5_lS4_lS5_lS3_lT8_i
		.amdhsa_group_segment_fixed_size 4800
		.amdhsa_private_segment_fixed_size 0
		.amdhsa_kernarg_size 368
		.amdhsa_user_sgpr_count 2
		.amdhsa_user_sgpr_dispatch_ptr 0
		.amdhsa_user_sgpr_queue_ptr 0
		.amdhsa_user_sgpr_kernarg_segment_ptr 1
		.amdhsa_user_sgpr_dispatch_id 0
		.amdhsa_user_sgpr_private_segment_size 0
		.amdhsa_wavefront_size32 1
		.amdhsa_uses_dynamic_stack 0
		.amdhsa_enable_private_segment 0
		.amdhsa_system_sgpr_workgroup_id_x 1
		.amdhsa_system_sgpr_workgroup_id_y 0
		.amdhsa_system_sgpr_workgroup_id_z 1
		.amdhsa_system_sgpr_workgroup_info 0
		.amdhsa_system_vgpr_workitem_id 1
		.amdhsa_next_free_vgpr 93
		.amdhsa_next_free_sgpr 96
		.amdhsa_reserve_vcc 1
		.amdhsa_float_round_mode_32 0
		.amdhsa_float_round_mode_16_64 0
		.amdhsa_float_denorm_mode_32 3
		.amdhsa_float_denorm_mode_16_64 3
		.amdhsa_fp16_overflow 0
		.amdhsa_workgroup_processor_mode 1
		.amdhsa_memory_ordered 1
		.amdhsa_forward_progress 1
		.amdhsa_inst_pref_size 55
		.amdhsa_round_robin_scheduling 0
		.amdhsa_exception_fp_ieee_invalid_op 0
		.amdhsa_exception_fp_denorm_src 0
		.amdhsa_exception_fp_ieee_div_zero 0
		.amdhsa_exception_fp_ieee_overflow 0
		.amdhsa_exception_fp_ieee_underflow 0
		.amdhsa_exception_fp_ieee_inexact 0
		.amdhsa_exception_int_div_zero 0
	.end_amdhsa_kernel
	.section	.text._ZL26rocblas_hemvn_kernel_lowerILb0ELi64ELi4ELi33ELi32ELi16EifPKfPfEviT6_lT7_lT5_lS4_lS5_lS3_lT8_i,"axG",@progbits,_ZL26rocblas_hemvn_kernel_lowerILb0ELi64ELi4ELi33ELi32ELi16EifPKfPfEviT6_lT7_lT5_lS4_lS5_lS3_lT8_i,comdat
.Lfunc_end87:
	.size	_ZL26rocblas_hemvn_kernel_lowerILb0ELi64ELi4ELi33ELi32ELi16EifPKfPfEviT6_lT7_lT5_lS4_lS5_lS3_lT8_i, .Lfunc_end87-_ZL26rocblas_hemvn_kernel_lowerILb0ELi64ELi4ELi33ELi32ELi16EifPKfPfEviT6_lT7_lT5_lS4_lS5_lS3_lT8_i
                                        ; -- End function
	.set _ZL26rocblas_hemvn_kernel_lowerILb0ELi64ELi4ELi33ELi32ELi16EifPKfPfEviT6_lT7_lT5_lS4_lS5_lS3_lT8_i.num_vgpr, 93
	.set _ZL26rocblas_hemvn_kernel_lowerILb0ELi64ELi4ELi33ELi32ELi16EifPKfPfEviT6_lT7_lT5_lS4_lS5_lS3_lT8_i.num_agpr, 0
	.set _ZL26rocblas_hemvn_kernel_lowerILb0ELi64ELi4ELi33ELi32ELi16EifPKfPfEviT6_lT7_lT5_lS4_lS5_lS3_lT8_i.numbered_sgpr, 96
	.set _ZL26rocblas_hemvn_kernel_lowerILb0ELi64ELi4ELi33ELi32ELi16EifPKfPfEviT6_lT7_lT5_lS4_lS5_lS3_lT8_i.num_named_barrier, 0
	.set _ZL26rocblas_hemvn_kernel_lowerILb0ELi64ELi4ELi33ELi32ELi16EifPKfPfEviT6_lT7_lT5_lS4_lS5_lS3_lT8_i.private_seg_size, 0
	.set _ZL26rocblas_hemvn_kernel_lowerILb0ELi64ELi4ELi33ELi32ELi16EifPKfPfEviT6_lT7_lT5_lS4_lS5_lS3_lT8_i.uses_vcc, 1
	.set _ZL26rocblas_hemvn_kernel_lowerILb0ELi64ELi4ELi33ELi32ELi16EifPKfPfEviT6_lT7_lT5_lS4_lS5_lS3_lT8_i.uses_flat_scratch, 0
	.set _ZL26rocblas_hemvn_kernel_lowerILb0ELi64ELi4ELi33ELi32ELi16EifPKfPfEviT6_lT7_lT5_lS4_lS5_lS3_lT8_i.has_dyn_sized_stack, 0
	.set _ZL26rocblas_hemvn_kernel_lowerILb0ELi64ELi4ELi33ELi32ELi16EifPKfPfEviT6_lT7_lT5_lS4_lS5_lS3_lT8_i.has_recursion, 0
	.set _ZL26rocblas_hemvn_kernel_lowerILb0ELi64ELi4ELi33ELi32ELi16EifPKfPfEviT6_lT7_lT5_lS4_lS5_lS3_lT8_i.has_indirect_call, 0
	.section	.AMDGPU.csdata,"",@progbits
; Kernel info:
; codeLenInByte = 6992
; TotalNumSgprs: 98
; NumVgprs: 93
; ScratchSize: 0
; MemoryBound: 0
; FloatMode: 240
; IeeeMode: 1
; LDSByteSize: 4800 bytes/workgroup (compile time only)
; SGPRBlocks: 0
; VGPRBlocks: 11
; NumSGPRsForWavesPerEU: 98
; NumVGPRsForWavesPerEU: 93
; Occupancy: 16
; WaveLimiterHint : 0
; COMPUTE_PGM_RSRC2:SCRATCH_EN: 0
; COMPUTE_PGM_RSRC2:USER_SGPR: 2
; COMPUTE_PGM_RSRC2:TRAP_HANDLER: 0
; COMPUTE_PGM_RSRC2:TGID_X_EN: 1
; COMPUTE_PGM_RSRC2:TGID_Y_EN: 0
; COMPUTE_PGM_RSRC2:TGID_Z_EN: 1
; COMPUTE_PGM_RSRC2:TIDIG_COMP_CNT: 1
	.section	.text._ZL36rocblas_hemvn_kernel_lower_block_sumILi64EifPffEviT1_lS1_lT2_lT0_lPT3_i,"axG",@progbits,_ZL36rocblas_hemvn_kernel_lower_block_sumILi64EifPffEviT1_lS1_lT2_lT0_lPT3_i,comdat
	.globl	_ZL36rocblas_hemvn_kernel_lower_block_sumILi64EifPffEviT1_lS1_lT2_lT0_lPT3_i ; -- Begin function _ZL36rocblas_hemvn_kernel_lower_block_sumILi64EifPffEviT1_lS1_lT2_lT0_lPT3_i
	.p2align	8
	.type	_ZL36rocblas_hemvn_kernel_lower_block_sumILi64EifPffEviT1_lS1_lT2_lT0_lPT3_i,@function
_ZL36rocblas_hemvn_kernel_lower_block_sumILi64EifPffEviT1_lS1_lT2_lT0_lPT3_i: ; @_ZL36rocblas_hemvn_kernel_lower_block_sumILi64EifPffEviT1_lS1_lT2_lT0_lPT3_i
; %bb.0:
	s_load_b32 s3, s[0:1], 0x48
	s_lshr_b32 s8, ttmp7, 16
	s_wait_kmcnt 0x0
	s_cmp_ge_u32 s8, s3
	s_cbranch_scc1 .LBB88_25
; %bb.1:
	s_clause 0x3
	s_load_b128 s[12:15], s[0:1], 0x20
	s_load_b64 s[10:11], s[0:1], 0x0
	s_load_b32 s2, s[0:1], 0x30
	s_load_b32 s18, s[0:1], 0x10
	v_lshl_or_b32 v0, ttmp9, 6, v0
	s_load_b128 s[4:7], s[0:1], 0x38
	s_mov_b32 s9, 0
	s_add_nc_u64 s[0:1], s[0:1], 0x50
	s_wait_kmcnt 0x0
	s_lshl_b64 s[14:15], s[14:15], 2
	s_cmp_eq_f32 s11, 0
	v_mul_lo_u32 v1, s2, v0
	s_add_nc_u64 s[12:13], s[12:13], s[14:15]
	v_cmp_gt_i32_e64 s2, s10, v0
	s_cselect_b32 s19, -1, 0
	s_cmp_neq_f32 s11, 0
	s_cselect_b32 s16, -1, 0
	s_wait_alu 0xfffe
	v_mad_co_u64_u32 v[3:4], null, s10, ttmp9, v[0:1]
	s_cmp_neq_f32 s18, 1.0
	v_ashrrev_i32_e32 v2, 31, v1
	s_cselect_b32 s14, -1, 0
	v_ashrrev_i32_e32 v4, 31, v3
	s_or_b32 s20, s16, s14
	s_cmp_neq_f32 s18, 0
	v_lshlrev_b64_e32 v[0:1], 2, v[1:2]
	s_delay_alu instid0(VALU_DEP_2) | instskip(SKIP_3) | instid1(VALU_DEP_1)
	v_lshlrev_b64_e32 v[3:4], 2, v[3:4]
	s_cselect_b32 s21, -1, 0
	s_cmp_eq_f32 s18, 0
	s_cselect_b32 s22, -1, 0
	v_add_co_u32 v2, vcc_lo, s6, v3
	s_delay_alu instid0(VALU_DEP_1)
	v_add_co_ci_u32_e64 v3, null, s7, v4, vcc_lo
	s_ashr_i32 s7, s10, 31
	s_mov_b32 s6, s10
	s_wait_alu 0xfffe
	s_lshl_b64 s[6:7], s[6:7], 2
	s_branch .LBB88_4
.LBB88_2:                               ;   in Loop: Header=BB88_4 Depth=1
	s_or_b32 exec_lo, exec_lo, s16
.LBB88_3:                               ;   in Loop: Header=BB88_4 Depth=1
	s_add_co_i32 s8, s8, 0x10000
	s_wait_alu 0xfffe
	s_cmp_lt_u32 s8, s3
	s_cbranch_scc0 .LBB88_25
.LBB88_4:                               ; =>This Loop Header: Depth=1
                                        ;     Child Loop BB88_16 Depth 2
	s_and_not1_b32 vcc_lo, exec_lo, s20
	s_wait_alu 0xfffe
	s_cbranch_vccnz .LBB88_3
; %bb.5:                                ;   in Loop: Header=BB88_4 Depth=1
	s_mul_u64 s[14:15], s[4:5], s[8:9]
	s_and_not1_b32 vcc_lo, exec_lo, s19
	s_wait_alu 0xfffe
	s_lshl_b64 s[14:15], s[14:15], 2
	s_wait_alu 0xfffe
	s_add_nc_u64 s[14:15], s[12:13], s[14:15]
	s_cbranch_vccnz .LBB88_9
; %bb.6:                                ;   in Loop: Header=BB88_4 Depth=1
	s_mov_b32 s16, 0
	s_mov_b32 s10, 0
                                        ; implicit-def: $vgpr4
	s_and_saveexec_b32 s17, s2
	s_cbranch_execz .LBB88_10
; %bb.7:                                ;   in Loop: Header=BB88_4 Depth=1
	s_and_not1_b32 vcc_lo, exec_lo, s21
	s_wait_alu 0xfffe
	s_cbranch_vccnz .LBB88_11
; %bb.8:                                ;   in Loop: Header=BB88_4 Depth=1
	v_add_co_u32 v4, vcc_lo, s14, v0
	s_wait_alu 0xfffd
	v_add_co_ci_u32_e64 v5, null, s15, v1, vcc_lo
	global_load_b32 v4, v[4:5], off
	s_wait_loadcnt 0x0
	v_mul_f32_e32 v4, s18, v4
	s_branch .LBB88_12
.LBB88_9:                               ;   in Loop: Header=BB88_4 Depth=1
	s_mov_b32 s10, 0
                                        ; implicit-def: $vgpr4
	s_cbranch_execnz .LBB88_13
	s_branch .LBB88_23
.LBB88_10:                              ;   in Loop: Header=BB88_4 Depth=1
	s_or_b32 exec_lo, exec_lo, s17
	s_delay_alu instid0(SALU_CYCLE_1)
	s_and_b32 vcc_lo, exec_lo, s16
	s_wait_alu 0xfffe
	s_cbranch_vccnz .LBB88_13
	s_branch .LBB88_23
.LBB88_11:                              ;   in Loop: Header=BB88_4 Depth=1
	v_mov_b32_e32 v4, 0
.LBB88_12:                              ;   in Loop: Header=BB88_4 Depth=1
	s_mov_b32 s10, exec_lo
	s_or_b32 exec_lo, exec_lo, s17
	s_delay_alu instid0(SALU_CYCLE_1)
	s_and_b32 vcc_lo, exec_lo, s16
	s_wait_alu 0xfffe
	s_cbranch_vccz .LBB88_23
.LBB88_13:                              ;   in Loop: Header=BB88_4 Depth=1
                                        ; implicit-def: $vgpr4
	s_and_saveexec_b32 s23, s2
	s_cbranch_execz .LBB88_22
; %bb.14:                               ;   in Loop: Header=BB88_4 Depth=1
	s_load_b32 s16, s[0:1], 0x0
	v_mov_b32_e32 v6, 0
	s_wait_kmcnt 0x0
	s_cmp_ge_i32 ttmp9, s16
	s_cbranch_scc1 .LBB88_17
; %bb.15:                               ;   in Loop: Header=BB88_4 Depth=1
	s_mov_b32 s17, s9
	s_mov_b32 s24, ttmp9
	s_mul_u64 s[26:27], s[6:7], s[16:17]
	s_wait_alu 0xfffe
	v_mad_co_u64_u32 v[4:5], null, s26, s8, v[2:3]
	s_delay_alu instid0(VALU_DEP_1)
	v_mad_co_u64_u32 v[5:6], null, s27, s8, v[5:6]
	v_mov_b32_e32 v6, 0
.LBB88_16:                              ;   Parent Loop BB88_4 Depth=1
                                        ; =>  This Inner Loop Header: Depth=2
	global_load_b32 v7, v[4:5], off
	v_add_co_u32 v4, vcc_lo, v4, s6
	s_wait_alu 0xfffd
	v_add_co_ci_u32_e64 v5, null, s7, v5, vcc_lo
	s_add_co_i32 s24, s24, 1
	s_delay_alu instid0(SALU_CYCLE_1)
	s_cmp_ge_i32 s24, s16
	s_wait_loadcnt 0x0
	v_add_f32_e32 v6, v6, v7
	s_cbranch_scc0 .LBB88_16
.LBB88_17:                              ;   in Loop: Header=BB88_4 Depth=1
	s_and_b32 vcc_lo, exec_lo, s22
	s_mov_b32 s16, -1
                                        ; implicit-def: $vgpr4
	s_wait_alu 0xfffe
	s_cbranch_vccz .LBB88_19
; %bb.18:                               ;   in Loop: Header=BB88_4 Depth=1
	v_mul_f32_e32 v4, s11, v6
	s_mov_b32 s16, 0
.LBB88_19:                              ;   in Loop: Header=BB88_4 Depth=1
	s_delay_alu instid0(SALU_CYCLE_1)
	s_and_not1_b32 vcc_lo, exec_lo, s16
	s_wait_alu 0xfffe
	s_cbranch_vccnz .LBB88_21
; %bb.20:                               ;   in Loop: Header=BB88_4 Depth=1
	v_add_co_u32 v4, vcc_lo, s14, v0
	s_wait_alu 0xfffd
	v_add_co_ci_u32_e64 v5, null, s15, v1, vcc_lo
	global_load_b32 v4, v[4:5], off
	s_wait_loadcnt 0x0
	v_mul_f32_e32 v4, s18, v4
	s_delay_alu instid0(VALU_DEP_1)
	v_fmac_f32_e32 v4, s11, v6
.LBB88_21:                              ;   in Loop: Header=BB88_4 Depth=1
	s_or_b32 s10, s10, exec_lo
.LBB88_22:                              ;   in Loop: Header=BB88_4 Depth=1
	s_or_b32 exec_lo, exec_lo, s23
.LBB88_23:                              ;   in Loop: Header=BB88_4 Depth=1
	s_wait_alu 0xfffe
	s_and_saveexec_b32 s16, s10
	s_cbranch_execz .LBB88_2
; %bb.24:                               ;   in Loop: Header=BB88_4 Depth=1
	v_add_co_u32 v5, vcc_lo, s14, v0
	s_wait_alu 0xfffd
	v_add_co_ci_u32_e64 v6, null, s15, v1, vcc_lo
	global_store_b32 v[5:6], v4, off
	s_branch .LBB88_2
.LBB88_25:
	s_endpgm
	.section	.rodata,"a",@progbits
	.p2align	6, 0x0
	.amdhsa_kernel _ZL36rocblas_hemvn_kernel_lower_block_sumILi64EifPffEviT1_lS1_lT2_lT0_lPT3_i
		.amdhsa_group_segment_fixed_size 0
		.amdhsa_private_segment_fixed_size 0
		.amdhsa_kernarg_size 336
		.amdhsa_user_sgpr_count 2
		.amdhsa_user_sgpr_dispatch_ptr 0
		.amdhsa_user_sgpr_queue_ptr 0
		.amdhsa_user_sgpr_kernarg_segment_ptr 1
		.amdhsa_user_sgpr_dispatch_id 0
		.amdhsa_user_sgpr_private_segment_size 0
		.amdhsa_wavefront_size32 1
		.amdhsa_uses_dynamic_stack 0
		.amdhsa_enable_private_segment 0
		.amdhsa_system_sgpr_workgroup_id_x 1
		.amdhsa_system_sgpr_workgroup_id_y 0
		.amdhsa_system_sgpr_workgroup_id_z 1
		.amdhsa_system_sgpr_workgroup_info 0
		.amdhsa_system_vgpr_workitem_id 0
		.amdhsa_next_free_vgpr 8
		.amdhsa_next_free_sgpr 28
		.amdhsa_reserve_vcc 1
		.amdhsa_float_round_mode_32 0
		.amdhsa_float_round_mode_16_64 0
		.amdhsa_float_denorm_mode_32 3
		.amdhsa_float_denorm_mode_16_64 3
		.amdhsa_fp16_overflow 0
		.amdhsa_workgroup_processor_mode 1
		.amdhsa_memory_ordered 1
		.amdhsa_forward_progress 1
		.amdhsa_inst_pref_size 6
		.amdhsa_round_robin_scheduling 0
		.amdhsa_exception_fp_ieee_invalid_op 0
		.amdhsa_exception_fp_denorm_src 0
		.amdhsa_exception_fp_ieee_div_zero 0
		.amdhsa_exception_fp_ieee_overflow 0
		.amdhsa_exception_fp_ieee_underflow 0
		.amdhsa_exception_fp_ieee_inexact 0
		.amdhsa_exception_int_div_zero 0
	.end_amdhsa_kernel
	.section	.text._ZL36rocblas_hemvn_kernel_lower_block_sumILi64EifPffEviT1_lS1_lT2_lT0_lPT3_i,"axG",@progbits,_ZL36rocblas_hemvn_kernel_lower_block_sumILi64EifPffEviT1_lS1_lT2_lT0_lPT3_i,comdat
.Lfunc_end88:
	.size	_ZL36rocblas_hemvn_kernel_lower_block_sumILi64EifPffEviT1_lS1_lT2_lT0_lPT3_i, .Lfunc_end88-_ZL36rocblas_hemvn_kernel_lower_block_sumILi64EifPffEviT1_lS1_lT2_lT0_lPT3_i
                                        ; -- End function
	.set _ZL36rocblas_hemvn_kernel_lower_block_sumILi64EifPffEviT1_lS1_lT2_lT0_lPT3_i.num_vgpr, 8
	.set _ZL36rocblas_hemvn_kernel_lower_block_sumILi64EifPffEviT1_lS1_lT2_lT0_lPT3_i.num_agpr, 0
	.set _ZL36rocblas_hemvn_kernel_lower_block_sumILi64EifPffEviT1_lS1_lT2_lT0_lPT3_i.numbered_sgpr, 28
	.set _ZL36rocblas_hemvn_kernel_lower_block_sumILi64EifPffEviT1_lS1_lT2_lT0_lPT3_i.num_named_barrier, 0
	.set _ZL36rocblas_hemvn_kernel_lower_block_sumILi64EifPffEviT1_lS1_lT2_lT0_lPT3_i.private_seg_size, 0
	.set _ZL36rocblas_hemvn_kernel_lower_block_sumILi64EifPffEviT1_lS1_lT2_lT0_lPT3_i.uses_vcc, 1
	.set _ZL36rocblas_hemvn_kernel_lower_block_sumILi64EifPffEviT1_lS1_lT2_lT0_lPT3_i.uses_flat_scratch, 0
	.set _ZL36rocblas_hemvn_kernel_lower_block_sumILi64EifPffEviT1_lS1_lT2_lT0_lPT3_i.has_dyn_sized_stack, 0
	.set _ZL36rocblas_hemvn_kernel_lower_block_sumILi64EifPffEviT1_lS1_lT2_lT0_lPT3_i.has_recursion, 0
	.set _ZL36rocblas_hemvn_kernel_lower_block_sumILi64EifPffEviT1_lS1_lT2_lT0_lPT3_i.has_indirect_call, 0
	.section	.AMDGPU.csdata,"",@progbits
; Kernel info:
; codeLenInByte = 708
; TotalNumSgprs: 30
; NumVgprs: 8
; ScratchSize: 0
; MemoryBound: 0
; FloatMode: 240
; IeeeMode: 1
; LDSByteSize: 0 bytes/workgroup (compile time only)
; SGPRBlocks: 0
; VGPRBlocks: 0
; NumSGPRsForWavesPerEU: 30
; NumVGPRsForWavesPerEU: 8
; Occupancy: 16
; WaveLimiterHint : 0
; COMPUTE_PGM_RSRC2:SCRATCH_EN: 0
; COMPUTE_PGM_RSRC2:USER_SGPR: 2
; COMPUTE_PGM_RSRC2:TRAP_HANDLER: 0
; COMPUTE_PGM_RSRC2:TGID_X_EN: 1
; COMPUTE_PGM_RSRC2:TGID_Y_EN: 0
; COMPUTE_PGM_RSRC2:TGID_Z_EN: 1
; COMPUTE_PGM_RSRC2:TIDIG_COMP_CNT: 0
	.section	.text._ZL50rocblas_symv_kernel_upper_double_buffered_diagonalILi32ELi4E24rocblas_internal_val_ptrIdEPKdPdEvbiT1_lT2_lllS6_lllS5_lT3_llli,"axG",@progbits,_ZL50rocblas_symv_kernel_upper_double_buffered_diagonalILi32ELi4E24rocblas_internal_val_ptrIdEPKdPdEvbiT1_lT2_lllS6_lllS5_lT3_llli,comdat
	.globl	_ZL50rocblas_symv_kernel_upper_double_buffered_diagonalILi32ELi4E24rocblas_internal_val_ptrIdEPKdPdEvbiT1_lT2_lllS6_lllS5_lT3_llli ; -- Begin function _ZL50rocblas_symv_kernel_upper_double_buffered_diagonalILi32ELi4E24rocblas_internal_val_ptrIdEPKdPdEvbiT1_lT2_lllS6_lllS5_lT3_llli
	.p2align	8
	.type	_ZL50rocblas_symv_kernel_upper_double_buffered_diagonalILi32ELi4E24rocblas_internal_val_ptrIdEPKdPdEvbiT1_lT2_lllS6_lllS5_lT3_llli,@function
_ZL50rocblas_symv_kernel_upper_double_buffered_diagonalILi32ELi4E24rocblas_internal_val_ptrIdEPKdPdEvbiT1_lT2_lllS6_lllS5_lT3_llli: ; @_ZL50rocblas_symv_kernel_upper_double_buffered_diagonalILi32ELi4E24rocblas_internal_val_ptrIdEPKdPdEvbiT1_lT2_lllS6_lllS5_lT3_llli
; %bb.0:
	s_clause 0x2
	s_load_b512 s[8:23], s[0:1], 0x8
	s_load_b256 s[24:31], s[0:1], 0x48
	s_load_b32 s33, s[0:1], 0x88
	s_wait_kmcnt 0x0
	v_dual_mov_b32 v1, s8 :: v_dual_mov_b32 v2, s9
	v_dual_mov_b32 v3, s28 :: v_dual_mov_b32 v4, s29
	s_lshr_b32 s28, ttmp7, 16
	s_clause 0x1
	scratch_store_b64 off, v[1:2], off
	scratch_store_b64 off, v[3:4], off offset:8
	s_wait_alu 0xfffe
	s_cmp_ge_u32 s28, s33
	s_cbranch_scc1 .LBB89_42
; %bb.1:
	s_clause 0x1
	s_load_b32 s36, s[0:1], 0x0
	s_load_b128 s[4:7], s[0:1], 0x70
	v_bfe_u32 v15, v0, 10, 10
	v_and_b32_e32 v16, 0x3ff, v0
	s_clause 0x1
	s_load_b64 s[2:3], s[0:1], 0x68
	s_load_b64 s[34:35], s[0:1], 0x80
	s_add_nc_u64 s[8:9], s[16:17], 1
	s_mov_b32 s29, 0
	v_mad_co_u64_u32 v[0:1], null, s16, v15, 0
	v_mad_co_u64_u32 v[2:3], null, s24, v16, 0
	v_cmp_eq_u32_e64 s0, 0, v15
	s_delay_alu instid0(VALU_DEP_2)
	v_mad_co_u64_u32 v[4:5], null, s17, v15, v[1:2]
	s_wait_kmcnt 0x0
	s_bitcmp1_b32 s36, 0
	v_mad_co_u64_u32 v[5:6], null, s6, v16, 0
	s_cselect_b32 s1, -1, 0
	s_lshl_b32 s38, ttmp9, 5
	s_lshl_b64 s[4:5], s[4:5], 3
	s_ashr_i32 s39, s38, 31
	s_add_nc_u64 s[2:3], s[2:3], s[4:5]
	s_mul_u64 s[4:5], s[6:7], s[38:39]
	v_mov_b32_e32 v1, v6
	v_mad_co_u64_u32 v[7:8], null, s25, v16, v[3:4]
	s_lshl_b64 s[14:15], s[14:15], 3
	s_lshl_b64 s[4:5], s[4:5], 3
	v_mad_co_u64_u32 v[8:9], null, s7, v16, v[1:2]
	v_mov_b32_e32 v1, v4
	s_wait_alu 0xfffe
	s_mul_u64 s[6:7], s[8:9], s[38:39]
	s_add_nc_u64 s[14:15], s[12:13], s[14:15]
	s_add_nc_u64 s[12:13], s[2:3], s[4:5]
	s_wait_alu 0xfffe
	s_lshl_b64 s[2:3], s[6:7], 3
	v_dual_mov_b32 v3, v7 :: v_dual_lshlrev_b32 v4, 3, v16
	v_mov_b32_e32 v6, v8
	v_lshlrev_b64_e32 v[0:1], 3, v[0:1]
	s_add_nc_u64 s[2:3], s[14:15], s[2:3]
	s_lshl_b64 s[22:23], s[22:23], 3
	s_mul_u64 s[4:5], s[24:25], s[38:39]
	s_add_nc_u64 s[20:21], s[20:21], s[22:23]
	v_lshl_add_u32 v18, v15, 5, v16
	v_add_co_u32 v7, vcc_lo, s2, v0
	s_delay_alu instid0(VALU_DEP_1)
	v_add_co_ci_u32_e64 v8, null, s3, v1, vcc_lo
	v_lshlrev_b64_e32 v[0:1], 3, v[2:3]
	s_lshl_b64 s[2:3], s[4:5], 3
	v_sub_co_u32 v2, s9, v16, v15
	v_add_co_u32 v10, vcc_lo, v7, v4
	s_wait_alu 0xfffe
	s_add_nc_u64 s[2:3], s[20:21], s[2:3]
	s_wait_alu 0xfffd
	v_add_co_ci_u32_e64 v11, null, 0, v8, vcc_lo
	s_wait_alu 0xfffe
	v_add_co_u32 v12, vcc_lo, s2, v0
	s_wait_alu 0xfffd
	v_add_co_ci_u32_e64 v13, null, s3, v1, vcc_lo
	v_sub_nc_u32_e32 v1, 0, v2
	v_lshlrev_b32_e32 v0, 8, v15
	v_lshlrev_b32_e32 v7, 3, v15
	s_xor_b32 s36, s1, -1
	v_cmp_gt_u32_e64 s1, 16, v16
	v_max_i32_e32 v1, v2, v1
	v_mul_u32_u24_e32 v2, 0xf8, v16
	v_add_nc_u32_e32 v3, 0x1000, v0
	v_add_nc_u32_e32 v8, 0x1400, v0
	;; [unrolled: 1-line block ×4, first 2 shown]
	v_add3_u32 v15, v4, v2, v7
	v_add_nc_u32_e32 v2, 0x400, v0
	v_add_nc_u32_e32 v25, 0x800, v0
	;; [unrolled: 1-line block ×3, first 2 shown]
	v_cmp_lt_u32_e64 s2, 16, v1
	v_cmp_lt_u32_e64 s3, 20, v1
	;; [unrolled: 1-line block ×4, first 2 shown]
	v_add_nc_u32_e32 v16, v4, v0
	v_cmp_lt_u32_e64 s6, 4, v1
	v_cmp_lt_u32_e64 s7, 8, v1
	;; [unrolled: 1-line block ×3, first 2 shown]
	v_lshlrev_b64_e32 v[0:1], 3, v[5:6]
	v_add_nc_u32_e32 v14, 0x2800, v4
	v_add_nc_u32_e32 v17, 0x2800, v7
	v_lshl_add_u32 v18, v18, 3, 0x2000
	v_or_b32_e32 v19, 0x2000, v4
	v_add_nc_u32_e32 v20, v4, v3
	v_add_nc_u32_e32 v21, v4, v8
	;; [unrolled: 1-line block ×7, first 2 shown]
	s_lshl_b64 s[20:21], s[16:17], 2
	s_lshl_b64 s[14:15], s[16:17], 7
	s_xor_b32 s24, s9, -1
	s_lshl_b64 s[16:17], s[16:17], 5
	s_lshl_b64 s[20:21], s[20:21], 3
	s_branch .LBB89_4
.LBB89_2:                               ;   in Loop: Header=BB89_4 Depth=1
	s_wait_alu 0xfffe
	s_or_b32 exec_lo, exec_lo, s25
.LBB89_3:                               ;   in Loop: Header=BB89_4 Depth=1
	s_wait_alu 0xfffe
	s_or_b32 exec_lo, exec_lo, s9
	s_add_co_i32 s28, s28, 0x10000
	s_wait_alu 0xfffe
	s_cmp_lt_u32 s28, s33
	s_cbranch_scc0 .LBB89_42
.LBB89_4:                               ; =>This Inner Loop Header: Depth=1
	s_and_b32 vcc_lo, exec_lo, s36
	s_mov_b32 s9, -1
                                        ; implicit-def: $vgpr2_vgpr3
	s_wait_alu 0xfffe
	s_cbranch_vccnz .LBB89_32
; %bb.5:                                ;   in Loop: Header=BB89_4 Depth=1
	s_and_not1_b32 vcc_lo, exec_lo, s9
	s_wait_alu 0xfffe
	s_cbranch_vccz .LBB89_33
.LBB89_6:                               ;   in Loop: Header=BB89_4 Depth=1
	s_and_b32 vcc_lo, exec_lo, s36
	s_mov_b32 s9, -1
                                        ; implicit-def: $vgpr4_vgpr5
	s_wait_alu 0xfffe
	s_cbranch_vccnz .LBB89_34
.LBB89_7:                               ;   in Loop: Header=BB89_4 Depth=1
	s_and_not1_b32 vcc_lo, exec_lo, s9
	s_wait_alu 0xfffe
	s_cbranch_vccnz .LBB89_9
.LBB89_8:                               ;   in Loop: Header=BB89_4 Depth=1
	s_wait_loadcnt_dscnt 0x0
	scratch_load_b64 v[4:5], off, off offset:8
.LBB89_9:                               ;   in Loop: Header=BB89_4 Depth=1
	s_wait_loadcnt_dscnt 0x0
	v_cmp_neq_f64_e32 vcc_lo, 0, v[2:3]
	v_cmp_neq_f64_e64 s9, 1.0, v[4:5]
	s_or_b32 s22, vcc_lo, s9
	s_wait_alu 0xfffe
	s_and_saveexec_b32 s9, s22
	s_cbranch_execz .LBB89_3
; %bb.10:                               ;   in Loop: Header=BB89_4 Depth=1
	s_mul_u64 s[22:23], s[34:35], s[28:29]
	s_mov_b32 s25, exec_lo
	s_wait_alu 0xfffe
	s_lshl_b64 s[22:23], s[22:23], 3
	s_wait_alu 0xfffe
	s_add_nc_u64 s[22:23], s[12:13], s[22:23]
	v_cmpx_eq_f64_e32 0, v[2:3]
	s_xor_b32 s25, exec_lo, s25
	s_cbranch_execz .LBB89_14
; %bb.11:                               ;   in Loop: Header=BB89_4 Depth=1
	s_and_saveexec_b32 s37, s0
	s_cbranch_execz .LBB89_13
; %bb.12:                               ;   in Loop: Header=BB89_4 Depth=1
	s_wait_alu 0xfffe
	v_add_co_u32 v2, vcc_lo, s22, v0
	s_wait_alu 0xfffd
	v_add_co_ci_u32_e64 v3, null, s23, v1, vcc_lo
	global_load_b64 v[6:7], v[2:3], off
	s_wait_loadcnt 0x0
	v_mul_f64_e32 v[4:5], v[4:5], v[6:7]
	global_store_b64 v[2:3], v[4:5], off
.LBB89_13:                              ;   in Loop: Header=BB89_4 Depth=1
	s_or_b32 exec_lo, exec_lo, s37
                                        ; implicit-def: $vgpr2_vgpr3
                                        ; implicit-def: $vgpr4_vgpr5
.LBB89_14:                              ;   in Loop: Header=BB89_4 Depth=1
	s_wait_alu 0xfffe
	s_and_not1_saveexec_b32 s25, s25
	s_cbranch_execz .LBB89_3
; %bb.15:                               ;   in Loop: Header=BB89_4 Depth=1
	v_mov_b32_e32 v6, 0
	v_mov_b32_e32 v7, 0
	s_and_saveexec_b32 s25, s0
	s_cbranch_execz .LBB89_19
; %bb.16:                               ;   in Loop: Header=BB89_4 Depth=1
	v_mov_b32_e32 v6, 0
	v_mov_b32_e32 v7, 0
	s_mov_b32 s37, exec_lo
	v_cmpx_neq_f64_e32 0, v[4:5]
	s_cbranch_execz .LBB89_18
; %bb.17:                               ;   in Loop: Header=BB89_4 Depth=1
	v_add_co_u32 v6, vcc_lo, s22, v0
	s_wait_alu 0xfffd
	v_add_co_ci_u32_e64 v7, null, s23, v1, vcc_lo
	global_load_b64 v[6:7], v[6:7], off
	s_wait_loadcnt 0x0
	v_mul_f64_e32 v[6:7], v[4:5], v[6:7]
.LBB89_18:                              ;   in Loop: Header=BB89_4 Depth=1
	s_or_b32 exec_lo, exec_lo, s37
	s_mul_u64 s[38:39], s[26:27], s[28:29]
	s_wait_alu 0xfffe
	s_lshl_b64 s[38:39], s[38:39], 3
	s_wait_alu 0xfffe
	v_add_co_u32 v8, vcc_lo, v12, s38
	s_wait_alu 0xfffd
	v_add_co_ci_u32_e64 v9, null, s39, v13, vcc_lo
	global_load_b64 v[8:9], v[8:9], off
	s_wait_loadcnt 0x0
	ds_store_b64 v14, v[8:9]
.LBB89_19:                              ;   in Loop: Header=BB89_4 Depth=1
	s_wait_alu 0xfffe
	s_or_b32 exec_lo, exec_lo, s25
	s_mul_u64 s[38:39], s[18:19], s[28:29]
	s_wait_alu 0xfffe
	s_lshl_b64 s[38:39], s[38:39], 3
	s_wait_alu 0xfffe
	v_add_co_u32 v8, vcc_lo, v10, s38
	s_wait_alu 0xfffd
	v_add_co_ci_u32_e64 v9, null, s39, v11, vcc_lo
	s_and_saveexec_b32 s25, s1
	s_cbranch_execz .LBB89_21
; %bb.20:                               ;   in Loop: Header=BB89_4 Depth=1
	v_add_co_u32 v27, vcc_lo, v8, s20
	s_wait_alu 0xfffd
	v_add_co_ci_u32_e64 v28, null, s21, v9, vcc_lo
	s_delay_alu instid0(VALU_DEP_2) | instskip(SKIP_1) | instid1(VALU_DEP_2)
	v_add_co_u32 v29, vcc_lo, v27, s16
	s_wait_alu 0xfffd
	v_add_co_ci_u32_e64 v30, null, s17, v28, vcc_lo
	s_delay_alu instid0(VALU_DEP_2) | instskip(SKIP_1) | instid1(VALU_DEP_2)
	v_add_co_u32 v31, vcc_lo, v29, s16
	s_wait_alu 0xfffd
	v_add_co_ci_u32_e64 v32, null, s17, v30, vcc_lo
	s_clause 0x3
	global_load_b64 v[33:34], v[8:9], off
	global_load_b64 v[27:28], v[27:28], off
	;; [unrolled: 1-line block ×4, first 2 shown]
	s_wait_loadcnt 0x2
	ds_store_2addr_stride64_b64 v16, v[33:34], v[27:28] offset1:2
	s_wait_loadcnt 0x0
	ds_store_2addr_stride64_b64 v16, v[29:30], v[31:32] offset0:4 offset1:6
.LBB89_21:                              ;   in Loop: Header=BB89_4 Depth=1
	s_wait_alu 0xfffe
	s_or_b32 exec_lo, exec_lo, s25
	v_add_co_u32 v8, vcc_lo, v8, s14
	s_wait_alu 0xfffd
	v_add_co_ci_u32_e64 v9, null, s15, v9, vcc_lo
	s_delay_alu instid0(VALU_DEP_2) | instskip(SKIP_1) | instid1(VALU_DEP_2)
	v_add_co_u32 v27, vcc_lo, v8, s20
	s_wait_alu 0xfffd
	v_add_co_ci_u32_e64 v28, null, s21, v9, vcc_lo
	s_delay_alu instid0(VALU_DEP_2) | instskip(SKIP_1) | instid1(VALU_DEP_2)
	v_add_co_u32 v29, vcc_lo, v27, s16
	s_wait_alu 0xfffd
	v_add_co_ci_u32_e64 v30, null, s17, v28, vcc_lo
	s_delay_alu instid0(VALU_DEP_2) | instskip(SKIP_1) | instid1(VALU_DEP_2)
	v_add_co_u32 v31, vcc_lo, v29, s16
	s_wait_alu 0xfffd
	v_add_co_ci_u32_e64 v32, null, s17, v30, vcc_lo
	s_clause 0x3
	global_load_b64 v[8:9], v[8:9], off
	global_load_b64 v[27:28], v[27:28], off
	;; [unrolled: 1-line block ×4, first 2 shown]
	s_wait_loadcnt 0x3
	ds_store_b64 v20, v[8:9]
	s_wait_loadcnt 0x2
	ds_store_b64 v21, v[27:28]
	;; [unrolled: 2-line block ×4, first 2 shown]
	s_wait_storecnt_dscnt 0x0
	s_barrier_signal -1
	s_barrier_wait -1
	global_inv scope:SCOPE_SE
	s_and_saveexec_b32 s25, s2
	s_cbranch_execnz .LBB89_35
; %bb.22:                               ;   in Loop: Header=BB89_4 Depth=1
	s_wait_alu 0xfffe
	s_or_b32 exec_lo, exec_lo, s25
	s_and_saveexec_b32 s25, s3
	s_cbranch_execnz .LBB89_36
.LBB89_23:                              ;   in Loop: Header=BB89_4 Depth=1
	s_wait_alu 0xfffe
	s_or_b32 exec_lo, exec_lo, s25
	s_and_saveexec_b32 s25, s4
	s_cbranch_execnz .LBB89_37
.LBB89_24:                              ;   in Loop: Header=BB89_4 Depth=1
	s_wait_alu 0xfffe
	s_or_b32 exec_lo, exec_lo, s25
	s_and_saveexec_b32 s25, s5
	s_cbranch_execnz .LBB89_38
.LBB89_25:                              ;   in Loop: Header=BB89_4 Depth=1
	s_wait_alu 0xfffe
	s_or_b32 exec_lo, exec_lo, s25
	s_and_saveexec_b32 s25, s24
	s_cbranch_execnz .LBB89_39
.LBB89_26:                              ;   in Loop: Header=BB89_4 Depth=1
	s_wait_alu 0xfffe
	s_or_b32 exec_lo, exec_lo, s25
	s_and_saveexec_b32 s25, s6
	s_cbranch_execnz .LBB89_40
.LBB89_27:                              ;   in Loop: Header=BB89_4 Depth=1
	s_wait_alu 0xfffe
	s_or_b32 exec_lo, exec_lo, s25
	s_and_saveexec_b32 s25, s7
	s_cbranch_execnz .LBB89_41
.LBB89_28:                              ;   in Loop: Header=BB89_4 Depth=1
	s_wait_alu 0xfffe
	s_or_b32 exec_lo, exec_lo, s25
	s_and_saveexec_b32 s25, s8
	s_cbranch_execz .LBB89_30
.LBB89_29:                              ;   in Loop: Header=BB89_4 Depth=1
	ds_load_b64 v[8:9], v15 offset:96
	s_wait_dscnt 0x0
	ds_store_b64 v26, v[8:9]
.LBB89_30:                              ;   in Loop: Header=BB89_4 Depth=1
	s_wait_alu 0xfffe
	s_or_b32 exec_lo, exec_lo, s25
	s_wait_loadcnt_dscnt 0x0
	s_barrier_signal -1
	s_barrier_wait -1
	global_inv scope:SCOPE_SE
	ds_load_2addr_b64 v[27:30], v17 offset1:4
	ds_load_b64 v[8:9], v16
	ds_load_b64 v[31:32], v20
	;; [unrolled: 1-line block ×4, first 2 shown]
	s_wait_dscnt 0x3
	v_fma_f64 v[8:9], v[8:9], v[27:28], 0
	ds_load_b64 v[27:28], v24
	ds_load_b64 v[37:38], v25
	;; [unrolled: 1-line block ×4, first 2 shown]
	s_wait_dscnt 0x3
	v_fma_f64 v[8:9], v[27:28], v[29:30], v[8:9]
	ds_load_2addr_b64 v[27:30], v17 offset0:8 offset1:12
	s_wait_dscnt 0x0
	v_fma_f64 v[8:9], v[37:38], v[27:28], v[8:9]
	s_delay_alu instid0(VALU_DEP_1) | instskip(SKIP_3) | instid1(VALU_DEP_1)
	v_fma_f64 v[8:9], v[39:40], v[29:30], v[8:9]
	ds_load_2addr_b64 v[27:30], v17 offset0:16 offset1:20
	s_wait_dscnt 0x0
	v_fma_f64 v[8:9], v[31:32], v[27:28], v[8:9]
	v_fma_f64 v[8:9], v[33:34], v[29:30], v[8:9]
	ds_load_2addr_b64 v[27:30], v17 offset0:24 offset1:28
	s_wait_dscnt 0x0
	v_fma_f64 v[8:9], v[35:36], v[27:28], v[8:9]
	s_delay_alu instid0(VALU_DEP_1)
	v_fma_f64 v[8:9], v[41:42], v[29:30], v[8:9]
	ds_store_b64 v18, v[8:9]
	s_wait_loadcnt_dscnt 0x0
	s_barrier_signal -1
	s_barrier_wait -1
	global_inv scope:SCOPE_SE
	s_and_saveexec_b32 s25, s0
	s_cbranch_execz .LBB89_2
; %bb.31:                               ;   in Loop: Header=BB89_4 Depth=1
	ds_load_2addr_b64 v[27:30], v19 offset1:32
	v_cmp_neq_f64_e32 vcc_lo, 0, v[4:5]
	s_wait_dscnt 0x0
	v_add_f64_e32 v[8:9], 0, v[27:28]
	s_delay_alu instid0(VALU_DEP_1) | instskip(SKIP_3) | instid1(VALU_DEP_1)
	v_add_f64_e32 v[8:9], v[8:9], v[29:30]
	ds_load_2addr_b64 v[27:30], v19 offset0:64 offset1:96
	s_wait_dscnt 0x0
	v_add_f64_e32 v[8:9], v[8:9], v[27:28]
	v_add_f64_e32 v[8:9], v[8:9], v[29:30]
	s_delay_alu instid0(VALU_DEP_1) | instskip(SKIP_2) | instid1(VALU_DEP_1)
	v_mul_f64_e32 v[27:28], v[2:3], v[8:9]
	v_fma_f64 v[2:3], v[2:3], v[8:9], v[6:7]
	s_wait_alu 0xfffd
	v_dual_cndmask_b32 v3, v28, v3 :: v_dual_cndmask_b32 v2, v27, v2
	v_add_co_u32 v4, vcc_lo, s22, v0
	s_wait_alu 0xfffd
	v_add_co_ci_u32_e64 v5, null, s23, v1, vcc_lo
	global_store_b64 v[4:5], v[2:3], off
	s_branch .LBB89_2
.LBB89_32:                              ;   in Loop: Header=BB89_4 Depth=1
	scratch_load_b64 v[2:3], off, off
	s_mul_u64 s[22:23], s[10:11], s[28:29]
	s_wait_alu 0xfffe
	s_lshl_b64 s[22:23], s[22:23], 3
	s_wait_loadcnt 0x0
	s_wait_alu 0xfffe
	v_add_co_u32 v2, vcc_lo, v2, s22
	s_wait_alu 0xfffd
	v_add_co_ci_u32_e64 v3, null, s23, v3, vcc_lo
	flat_load_b64 v[2:3], v[2:3]
	s_cbranch_execnz .LBB89_6
.LBB89_33:                              ;   in Loop: Header=BB89_4 Depth=1
	s_wait_loadcnt_dscnt 0x0
	scratch_load_b64 v[2:3], off, off
	s_and_b32 vcc_lo, exec_lo, s36
	s_mov_b32 s9, -1
                                        ; implicit-def: $vgpr4_vgpr5
	s_wait_alu 0xfffe
	s_cbranch_vccz .LBB89_7
.LBB89_34:                              ;   in Loop: Header=BB89_4 Depth=1
	scratch_load_b64 v[4:5], off, off offset:8
	s_mul_u64 s[22:23], s[30:31], s[28:29]
	s_wait_alu 0xfffe
	s_lshl_b64 s[22:23], s[22:23], 3
	s_wait_loadcnt 0x0
	s_wait_alu 0xfffe
	v_add_co_u32 v4, vcc_lo, v4, s22
	s_wait_alu 0xfffd
	v_add_co_ci_u32_e64 v5, null, s23, v5, vcc_lo
	flat_load_b64 v[4:5], v[4:5]
	s_cbranch_execz .LBB89_8
	s_branch .LBB89_9
.LBB89_35:                              ;   in Loop: Header=BB89_4 Depth=1
	ds_load_b64 v[8:9], v15 offset:128
	s_wait_dscnt 0x0
	ds_store_b64 v20, v[8:9]
	s_wait_alu 0xfffe
	s_or_b32 exec_lo, exec_lo, s25
	s_and_saveexec_b32 s25, s3
	s_cbranch_execz .LBB89_23
.LBB89_36:                              ;   in Loop: Header=BB89_4 Depth=1
	ds_load_b64 v[8:9], v15 offset:160
	s_wait_dscnt 0x0
	ds_store_b64 v21, v[8:9]
	s_wait_alu 0xfffe
	s_or_b32 exec_lo, exec_lo, s25
	s_and_saveexec_b32 s25, s4
	s_cbranch_execz .LBB89_24
.LBB89_37:                              ;   in Loop: Header=BB89_4 Depth=1
	ds_load_b64 v[8:9], v15 offset:192
	s_wait_dscnt 0x0
	ds_store_b64 v22, v[8:9]
	s_wait_alu 0xfffe
	s_or_b32 exec_lo, exec_lo, s25
	s_and_saveexec_b32 s25, s5
	s_cbranch_execz .LBB89_25
.LBB89_38:                              ;   in Loop: Header=BB89_4 Depth=1
	ds_load_b64 v[8:9], v15 offset:224
	s_wait_dscnt 0x0
	ds_store_b64 v23, v[8:9]
	s_wait_alu 0xfffe
	s_or_b32 exec_lo, exec_lo, s25
	s_and_saveexec_b32 s25, s24
	s_cbranch_execz .LBB89_26
.LBB89_39:                              ;   in Loop: Header=BB89_4 Depth=1
	ds_load_b64 v[8:9], v15
	s_wait_dscnt 0x0
	ds_store_b64 v16, v[8:9]
	s_wait_alu 0xfffe
	s_or_b32 exec_lo, exec_lo, s25
	s_and_saveexec_b32 s25, s6
	s_cbranch_execz .LBB89_27
.LBB89_40:                              ;   in Loop: Header=BB89_4 Depth=1
	ds_load_b64 v[8:9], v15 offset:32
	s_wait_dscnt 0x0
	ds_store_b64 v24, v[8:9]
	s_wait_alu 0xfffe
	s_or_b32 exec_lo, exec_lo, s25
	s_and_saveexec_b32 s25, s7
	s_cbranch_execz .LBB89_28
.LBB89_41:                              ;   in Loop: Header=BB89_4 Depth=1
	ds_load_b64 v[8:9], v15 offset:64
	s_wait_dscnt 0x0
	ds_store_b64 v25, v[8:9]
	s_wait_alu 0xfffe
	s_or_b32 exec_lo, exec_lo, s25
	s_and_saveexec_b32 s25, s8
	s_cbranch_execnz .LBB89_29
	s_branch .LBB89_30
.LBB89_42:
	s_endpgm
	.section	.rodata,"a",@progbits
	.p2align	6, 0x0
	.amdhsa_kernel _ZL50rocblas_symv_kernel_upper_double_buffered_diagonalILi32ELi4E24rocblas_internal_val_ptrIdEPKdPdEvbiT1_lT2_lllS6_lllS5_lT3_llli
		.amdhsa_group_segment_fixed_size 10496
		.amdhsa_private_segment_fixed_size 24
		.amdhsa_kernarg_size 140
		.amdhsa_user_sgpr_count 2
		.amdhsa_user_sgpr_dispatch_ptr 0
		.amdhsa_user_sgpr_queue_ptr 0
		.amdhsa_user_sgpr_kernarg_segment_ptr 1
		.amdhsa_user_sgpr_dispatch_id 0
		.amdhsa_user_sgpr_private_segment_size 0
		.amdhsa_wavefront_size32 1
		.amdhsa_uses_dynamic_stack 0
		.amdhsa_enable_private_segment 1
		.amdhsa_system_sgpr_workgroup_id_x 1
		.amdhsa_system_sgpr_workgroup_id_y 0
		.amdhsa_system_sgpr_workgroup_id_z 1
		.amdhsa_system_sgpr_workgroup_info 0
		.amdhsa_system_vgpr_workitem_id 1
		.amdhsa_next_free_vgpr 97
		.amdhsa_next_free_sgpr 40
		.amdhsa_reserve_vcc 1
		.amdhsa_float_round_mode_32 0
		.amdhsa_float_round_mode_16_64 0
		.amdhsa_float_denorm_mode_32 3
		.amdhsa_float_denorm_mode_16_64 3
		.amdhsa_fp16_overflow 0
		.amdhsa_workgroup_processor_mode 1
		.amdhsa_memory_ordered 1
		.amdhsa_forward_progress 1
		.amdhsa_inst_pref_size 19
		.amdhsa_round_robin_scheduling 0
		.amdhsa_exception_fp_ieee_invalid_op 0
		.amdhsa_exception_fp_denorm_src 0
		.amdhsa_exception_fp_ieee_div_zero 0
		.amdhsa_exception_fp_ieee_overflow 0
		.amdhsa_exception_fp_ieee_underflow 0
		.amdhsa_exception_fp_ieee_inexact 0
		.amdhsa_exception_int_div_zero 0
	.end_amdhsa_kernel
	.section	.text._ZL50rocblas_symv_kernel_upper_double_buffered_diagonalILi32ELi4E24rocblas_internal_val_ptrIdEPKdPdEvbiT1_lT2_lllS6_lllS5_lT3_llli,"axG",@progbits,_ZL50rocblas_symv_kernel_upper_double_buffered_diagonalILi32ELi4E24rocblas_internal_val_ptrIdEPKdPdEvbiT1_lT2_lllS6_lllS5_lT3_llli,comdat
.Lfunc_end89:
	.size	_ZL50rocblas_symv_kernel_upper_double_buffered_diagonalILi32ELi4E24rocblas_internal_val_ptrIdEPKdPdEvbiT1_lT2_lllS6_lllS5_lT3_llli, .Lfunc_end89-_ZL50rocblas_symv_kernel_upper_double_buffered_diagonalILi32ELi4E24rocblas_internal_val_ptrIdEPKdPdEvbiT1_lT2_lllS6_lllS5_lT3_llli
                                        ; -- End function
	.set _ZL50rocblas_symv_kernel_upper_double_buffered_diagonalILi32ELi4E24rocblas_internal_val_ptrIdEPKdPdEvbiT1_lT2_lllS6_lllS5_lT3_llli.num_vgpr, 43
	.set _ZL50rocblas_symv_kernel_upper_double_buffered_diagonalILi32ELi4E24rocblas_internal_val_ptrIdEPKdPdEvbiT1_lT2_lllS6_lllS5_lT3_llli.num_agpr, 0
	.set _ZL50rocblas_symv_kernel_upper_double_buffered_diagonalILi32ELi4E24rocblas_internal_val_ptrIdEPKdPdEvbiT1_lT2_lllS6_lllS5_lT3_llli.numbered_sgpr, 40
	.set _ZL50rocblas_symv_kernel_upper_double_buffered_diagonalILi32ELi4E24rocblas_internal_val_ptrIdEPKdPdEvbiT1_lT2_lllS6_lllS5_lT3_llli.num_named_barrier, 0
	.set _ZL50rocblas_symv_kernel_upper_double_buffered_diagonalILi32ELi4E24rocblas_internal_val_ptrIdEPKdPdEvbiT1_lT2_lllS6_lllS5_lT3_llli.private_seg_size, 24
	.set _ZL50rocblas_symv_kernel_upper_double_buffered_diagonalILi32ELi4E24rocblas_internal_val_ptrIdEPKdPdEvbiT1_lT2_lllS6_lllS5_lT3_llli.uses_vcc, 1
	.set _ZL50rocblas_symv_kernel_upper_double_buffered_diagonalILi32ELi4E24rocblas_internal_val_ptrIdEPKdPdEvbiT1_lT2_lllS6_lllS5_lT3_llli.uses_flat_scratch, 1
	.set _ZL50rocblas_symv_kernel_upper_double_buffered_diagonalILi32ELi4E24rocblas_internal_val_ptrIdEPKdPdEvbiT1_lT2_lllS6_lllS5_lT3_llli.has_dyn_sized_stack, 0
	.set _ZL50rocblas_symv_kernel_upper_double_buffered_diagonalILi32ELi4E24rocblas_internal_val_ptrIdEPKdPdEvbiT1_lT2_lllS6_lllS5_lT3_llli.has_recursion, 0
	.set _ZL50rocblas_symv_kernel_upper_double_buffered_diagonalILi32ELi4E24rocblas_internal_val_ptrIdEPKdPdEvbiT1_lT2_lllS6_lllS5_lT3_llli.has_indirect_call, 0
	.section	.AMDGPU.csdata,"",@progbits
; Kernel info:
; codeLenInByte = 2428
; TotalNumSgprs: 42
; NumVgprs: 43
; ScratchSize: 24
; MemoryBound: 0
; FloatMode: 240
; IeeeMode: 1
; LDSByteSize: 10496 bytes/workgroup (compile time only)
; SGPRBlocks: 0
; VGPRBlocks: 12
; NumSGPRsForWavesPerEU: 42
; NumVGPRsForWavesPerEU: 97
; Occupancy: 12
; WaveLimiterHint : 1
; COMPUTE_PGM_RSRC2:SCRATCH_EN: 1
; COMPUTE_PGM_RSRC2:USER_SGPR: 2
; COMPUTE_PGM_RSRC2:TRAP_HANDLER: 0
; COMPUTE_PGM_RSRC2:TGID_X_EN: 1
; COMPUTE_PGM_RSRC2:TGID_Y_EN: 0
; COMPUTE_PGM_RSRC2:TGID_Z_EN: 1
; COMPUTE_PGM_RSRC2:TIDIG_COMP_CNT: 1
	.section	.text._ZL54rocblas_symv_kernel_upper_double_buffered_non_diagonalILi32ELi4ELi4E24rocblas_internal_val_ptrIdEPKdPdEvbiT2_lT3_lllS6_lllT4_llli,"axG",@progbits,_ZL54rocblas_symv_kernel_upper_double_buffered_non_diagonalILi32ELi4ELi4E24rocblas_internal_val_ptrIdEPKdPdEvbiT2_lT3_lllS6_lllT4_llli,comdat
	.globl	_ZL54rocblas_symv_kernel_upper_double_buffered_non_diagonalILi32ELi4ELi4E24rocblas_internal_val_ptrIdEPKdPdEvbiT2_lT3_lllS6_lllT4_llli ; -- Begin function _ZL54rocblas_symv_kernel_upper_double_buffered_non_diagonalILi32ELi4ELi4E24rocblas_internal_val_ptrIdEPKdPdEvbiT2_lT3_lllS6_lllT4_llli
	.p2align	8
	.type	_ZL54rocblas_symv_kernel_upper_double_buffered_non_diagonalILi32ELi4ELi4E24rocblas_internal_val_ptrIdEPKdPdEvbiT2_lT3_lllS6_lllT4_llli,@function
_ZL54rocblas_symv_kernel_upper_double_buffered_non_diagonalILi32ELi4ELi4E24rocblas_internal_val_ptrIdEPKdPdEvbiT2_lT3_lllS6_lllT4_llli: ; @_ZL54rocblas_symv_kernel_upper_double_buffered_non_diagonalILi32ELi4ELi4E24rocblas_internal_val_ptrIdEPKdPdEvbiT2_lT3_lllS6_lllT4_llli
; %bb.0:
	s_load_b64 s[20:21], s[0:1], 0x4
	s_clause 0x1
	s_load_b512 s[4:19], s[2:3], 0x8
	s_load_b32 s1, s[2:3], 0x78
	v_bfe_u32 v2, v0, 10, 10
	v_and_b32_e32 v1, 0x3ff, v0
	v_bfe_u32 v0, v0, 20, 10
	s_wait_kmcnt 0x0
	s_delay_alu instid0(VALU_DEP_3)
	v_mul_u32_u24_e32 v3, s21, v2
	s_lshr_b32 s0, s20, 16
	v_mov_b32_e32 v4, s5
	s_mul_i32 s0, s0, s21
	s_delay_alu instid0(VALU_DEP_2) | instid1(SALU_CYCLE_1)
	v_mad_u32_u24 v5, s0, v1, v3
	v_mov_b32_e32 v3, s4
	s_lshr_b32 s4, ttmp7, 16
	s_wait_alu 0xfffe
	s_cmp_ge_u32 s4, s1
	v_add_lshl_u32 v0, v5, v0, 3
	ds_store_b64 v0, v[3:4] offset:6400
	s_cbranch_scc1 .LBB90_32
; %bb.1:
	s_clause 0x3
	s_load_b32 s0, s[2:3], 0x0
	s_load_b128 s[20:23], s[2:3], 0x48
	s_load_b128 s[24:27], s[2:3], 0x60
	s_load_b64 s[34:35], s[2:3], 0x58
	v_add_nc_u32_e32 v60, 0x1900, v0
	v_lshl_add_u32 v0, v2, 5, v1
	v_lshlrev_b32_e32 v20, 3, v1
	s_load_b64 s[30:31], s[2:3], 0x70
	s_mov_b32 s5, 0
	s_mov_b32 s28, ttmp9
	v_lshrrev_b32_e32 v19, 4, v0
	s_add_nc_u64 s[2:3], s[2:3], 0x80
	s_wait_alu 0xfffe
	s_mov_b32 s29, s5
	v_dual_mov_b32 v4, 0 :: v_dual_add_nc_u32 v63, 0x1000, v20
	v_lshlrev_b32_e32 v15, 2, v19
	v_lshl_add_u32 v62, v19, 5, 0x1800
	v_add_nc_u32_e32 v21, 5, v1
	s_wait_kmcnt 0x0
	s_bitcmp1_b32 s0, 0
	v_mad_co_u64_u32 v[5:6], null, s20, v1, 0
	v_and_b32_e32 v3, 15, v1
	v_mad_co_u64_u32 v[13:14], null, s26, v1, 0
	s_cselect_b32 s0, -1, 0
	s_wait_alu 0xfffe
	s_lshl_b32 s38, ttmp9, 5
	s_xor_b32 s48, s0, -1
	v_mov_b32_e32 v0, v6
	v_or_b32_e32 v18, 16, v3
	v_mad_co_u64_u32 v[9:10], null, s20, v3, 0
	v_cmp_eq_u32_e64 s0, 0, v2
	s_delay_alu instid0(VALU_DEP_4)
	v_mad_co_u64_u32 v[6:7], null, s21, v1, v[0:1]
	v_mad_co_u64_u32 v[7:8], null, s12, v15, v[3:4]
	v_add_nc_u32_e32 v61, 0x1800, v20
	v_mad_co_u64_u32 v[11:12], null, s20, v18, 0
	v_mov_b32_e32 v2, v10
	v_add_nc_u32_e32 v20, 4, v1
	s_lshl_b64 s[18:19], s[18:19], 3
	v_mov_b32_e32 v0, v8
	s_ashr_i32 s39, s38, 31
	s_lshl_b64 s[36:37], s[10:11], 3
	s_delay_alu instid0(VALU_DEP_4)
	v_mov_b32_e32 v4, v12
	v_and_b32_e32 v20, 15, v20
	v_mad_co_u64_u32 v[15:16], null, s13, v15, v[0:1]
	v_mov_b32_e32 v0, v14
	s_and_b32 s33, ttmp7, 0xffff
	s_add_nc_u64 s[10:11], s[16:17], s[18:19]
	s_mul_u64 s[18:19], s[12:13], s[38:39]
	s_lshl_b64 s[24:25], s[24:25], 3
	s_lshl_b32 s49, s33, 5
	s_delay_alu instid0(VALU_DEP_2)
	v_mov_b32_e32 v8, v15
	v_mad_co_u64_u32 v[14:15], null, s27, v1, v[0:1]
	v_lshlrev_b32_e32 v15, 8, v19
	v_mad_co_u64_u32 v[16:17], null, s21, v3, v[2:3]
	v_mad_co_u64_u32 v[17:18], null, s21, v18, v[4:5]
	v_lshlrev_b32_e32 v4, 7, v1
	v_add_nc_u32_e32 v18, 2, v1
	v_lshlrev_b32_e32 v2, 3, v3
	v_xor_b32_e32 v3, 8, v3
	s_lshl_b64 s[18:19], s[18:19], 3
	v_lshl_or_b32 v68, v20, 3, v4
	v_dual_mov_b32 v12, v17 :: v_dual_add_nc_u32 v17, 1, v1
	v_mov_b32_e32 v10, v16
	v_lshlrev_b32_e32 v16, 9, v19
	v_add_nc_u32_e32 v19, 3, v1
	v_and_b32_e32 v18, 15, v18
	v_and_b32_e32 v17, 15, v17
	v_add_nc_u32_e32 v20, 10, v1
	v_lshl_or_b32 v72, v3, 3, v4
	v_and_b32_e32 v19, 15, v19
	v_lshl_or_b32 v66, v18, 3, v4
	v_lshl_or_b32 v65, v17, 3, v4
	v_and_b32_e32 v17, 15, v21
	v_add_nc_u32_e32 v18, 6, v1
	v_lshl_or_b32 v67, v19, 3, v4
	v_add_nc_u32_e32 v19, 7, v1
	v_add_nc_u32_e32 v3, 11, v1
	v_lshl_or_b32 v69, v17, 3, v4
	v_add_nc_u32_e32 v17, 9, v1
	v_and_b32_e32 v18, 15, v18
	v_and_b32_e32 v19, 15, v19
	;; [unrolled: 1-line block ×5, first 2 shown]
	v_lshl_or_b32 v70, v18, 3, v4
	v_lshl_or_b32 v71, v19, 3, v4
	v_add_nc_u32_e32 v18, 13, v1
	v_add_nc_u32_e32 v19, 14, v1
	v_lshl_or_b32 v73, v17, 3, v4
	v_add_nc_u32_e32 v17, 12, v1
	v_add_nc_u32_e32 v1, -1, v1
	v_and_b32_e32 v18, 15, v18
	v_and_b32_e32 v19, 15, v19
	v_or_b32_e32 v0, 0x1000, v2
	v_and_b32_e32 v17, 15, v17
	v_and_b32_e32 v1, 15, v1
	s_cmp_lg_u32 ttmp9, 0
	v_or_b32_e32 v64, v4, v2
	v_lshl_or_b32 v74, v20, 3, v4
	v_lshl_or_b32 v75, v3, 3, v4
	;; [unrolled: 1-line block ×6, first 2 shown]
	v_lshlrev_b64_e32 v[4:5], 3, v[5:6]
	v_lshlrev_b64_e32 v[6:7], 3, v[7:8]
	;; [unrolled: 1-line block ×5, first 2 shown]
	v_add_nc_u32_e32 v80, v0, v15
	v_add_nc_u32_e32 v81, v2, v16
	s_add_nc_u64 s[16:17], s[34:35], s[24:25]
	s_add_nc_u64 s[8:9], s[8:9], s[36:37]
	s_mul_u64 s[36:37], s[20:21], s[38:39]
	s_cselect_b32 s50, -1, 0
	s_mul_u64 s[38:39], s[26:27], s[38:39]
	s_lshl_b64 s[34:35], s[12:13], 3
	s_lshl_b64 s[12:13], s[12:13], 4
	s_add_nc_u64 s[8:9], s[8:9], s[18:19]
	s_lshl_b64 s[18:19], s[20:21], 8
	s_lshl_b64 s[24:25], s[26:27], 8
	s_wait_alu 0xfffe
	s_sub_nc_u64 s[12:13], 0, s[12:13]
	s_lshl_b64 s[36:37], s[36:37], 3
	s_lshl_b64 s[38:39], s[38:39], 3
	s_branch .LBB90_3
.LBB90_2:                               ;   in Loop: Header=BB90_3 Depth=1
	s_or_b32 exec_lo, exec_lo, s51
	s_add_co_i32 s4, s4, 0x10000
	s_wait_alu 0xfffe
	s_cmp_lt_u32 s4, s1
	s_cbranch_scc0 .LBB90_32
.LBB90_3:                               ; =>This Loop Header: Depth=1
                                        ;     Child Loop BB90_17 Depth 2
                                        ;       Child Loop BB90_19 Depth 3
                                        ;     Child Loop BB90_27 Depth 2
                                        ;     Child Loop BB90_31 Depth 2
	s_and_b32 vcc_lo, exec_lo, s48
	s_mov_b32 s40, -1
                                        ; implicit-def: $vgpr14_vgpr15
	s_wait_alu 0xfffe
	s_cbranch_vccz .LBB90_5
; %bb.4:                                ;   in Loop: Header=BB90_3 Depth=1
	ds_load_b64 v[0:1], v60
	s_mul_u64 s[40:41], s[6:7], s[4:5]
	s_wait_alu 0xfffe
	s_lshl_b64 s[40:41], s[40:41], 3
	s_wait_dscnt 0x0
	s_wait_alu 0xfffe
	v_add_co_u32 v0, vcc_lo, v0, s40
	s_wait_alu 0xfffd
	v_add_co_ci_u32_e64 v1, null, s41, v1, vcc_lo
	s_mov_b32 s40, 0
	flat_load_b64 v[14:15], v[0:1]
.LBB90_5:                               ;   in Loop: Header=BB90_3 Depth=1
	s_wait_alu 0xfffe
	s_and_not1_b32 vcc_lo, exec_lo, s40
	s_wait_alu 0xfffe
	s_cbranch_vccnz .LBB90_7
; %bb.6:                                ;   in Loop: Header=BB90_3 Depth=1
	s_wait_loadcnt_dscnt 0x0
	ds_load_b64 v[14:15], v60
.LBB90_7:                               ;   in Loop: Header=BB90_3 Depth=1
	s_mov_b32 s51, exec_lo
	s_wait_loadcnt_dscnt 0x0
	v_cmpx_neq_f64_e32 0, v[14:15]
	s_cbranch_execz .LBB90_2
; %bb.8:                                ;   in Loop: Header=BB90_3 Depth=1
	s_and_not1_b32 vcc_lo, exec_lo, s50
	s_wait_alu 0xfffe
	s_cbranch_vccnz .LBB90_2
; %bb.9:                                ;   in Loop: Header=BB90_3 Depth=1
	s_mul_u64 s[40:41], s[22:23], s[4:5]
	s_wait_alu 0xfffe
	s_lshl_b64 s[40:41], s[40:41], 3
	s_wait_alu 0xfffe
	s_add_nc_u64 s[44:45], s[10:11], s[40:41]
	s_and_saveexec_b32 s40, s0
	s_cbranch_execz .LBB90_11
; %bb.10:                               ;   in Loop: Header=BB90_3 Depth=1
	s_wait_alu 0xfffe
	s_add_nc_u64 s[42:43], s[44:45], s[36:37]
	s_wait_alu 0xfffe
	v_add_co_u32 v0, vcc_lo, s42, v4
	s_wait_alu 0xfffd
	v_add_co_ci_u32_e64 v1, null, s43, v5, vcc_lo
	global_load_b64 v[0:1], v[0:1], off
	s_wait_loadcnt 0x0
	ds_store_b64 v61, v[0:1]
.LBB90_11:                              ;   in Loop: Header=BB90_3 Depth=1
	s_wait_alu 0xfffe
	s_or_b32 exec_lo, exec_lo, s40
	s_load_b32 s40, s[2:3], 0x4
	s_mov_b32 s43, s5
	s_wait_kmcnt 0x0
	s_cvt_f32_u32 s41, s40
	s_sub_co_i32 s42, 0, s40
	s_wait_alu 0xfffe
	s_delay_alu instid0(SALU_CYCLE_1) | instskip(NEXT) | instid1(TRANS32_DEP_1)
	v_rcp_iflag_f32_e32 v0, s41
	v_readfirstlane_b32 s41, v0
	s_mul_f32 s41, s41, 0x4f7ffffe
	s_wait_alu 0xfffe
	s_delay_alu instid0(SALU_CYCLE_2) | instskip(SKIP_1) | instid1(SALU_CYCLE_2)
	s_cvt_u32_f32 s41, s41
	s_wait_alu 0xfffe
	s_mul_i32 s42, s42, s41
	s_wait_alu 0xfffe
	s_mul_hi_u32 s42, s41, s42
	s_wait_alu 0xfffe
	s_add_co_i32 s42, s41, s42
	s_wait_alu 0xfffe
	s_mul_u64 s[42:43], s[28:29], s[42:43]
	s_wait_alu 0xfffe
	s_mul_i32 s41, s43, s40
	s_add_co_i32 s42, s43, 1
	s_wait_alu 0xfffe
	s_sub_co_i32 s41, s28, s41
	s_wait_alu 0xfffe
	s_sub_co_i32 s46, s41, s40
	s_cmp_ge_u32 s41, s40
	s_cselect_b32 s42, s42, s43
	s_wait_alu 0xfffe
	s_cselect_b32 s41, s46, s41
	s_add_co_i32 s43, s42, 1
	s_wait_alu 0xfffe
	s_cmp_ge_u32 s41, s40
	s_cselect_b32 s42, s43, s42
	s_add_co_i32 s41, s40, -1
	s_wait_alu 0xfffe
	s_mov_b32 s52, s42
	s_cmp_lg_u32 s33, s41
	s_cbranch_scc1 .LBB90_13
; %bb.12:                               ;   in Loop: Header=BB90_3 Depth=1
	s_mul_i32 s40, s42, s40
	s_wait_alu 0xfffe
	s_sub_co_i32 s40, s28, s40
	s_wait_alu 0xfffe
	s_add_co_i32 s52, s40, s42
.LBB90_13:                              ;   in Loop: Header=BB90_3 Depth=1
	s_delay_alu instid0(SALU_CYCLE_1)
	s_cmp_eq_u32 s52, 0
	s_cbranch_scc1 .LBB90_2
; %bb.14:                               ;   in Loop: Header=BB90_3 Depth=1
	s_mul_u64 s[40:41], s[30:31], s[4:5]
	s_wait_dscnt 0x0
	s_wait_alu 0xfffe
	s_lshl_b64 s[40:41], s[40:41], 3
	s_cmp_lt_i32 s52, 1
	s_wait_alu 0xfffe
	s_add_nc_u64 s[40:41], s[16:17], s[40:41]
	s_barrier_signal -1
	s_barrier_wait -1
	global_inv scope:SCOPE_SE
	s_cbranch_scc1 .LBB90_23
; %bb.15:                               ;   in Loop: Header=BB90_3 Depth=1
	s_mul_u64 s[46:47], s[14:15], s[4:5]
	s_mul_i32 s54, s49, s42
	s_wait_alu 0xfffe
	s_lshl_b64 s[42:43], s[46:47], 3
	s_ashr_i32 s55, s54, 31
	s_wait_alu 0xfffe
	s_add_nc_u64 s[42:43], s[8:9], s[42:43]
	s_lshl_b64 s[46:47], s[54:55], 3
	s_wait_alu 0xfffe
	s_add_nc_u64 s[42:43], s[42:43], s[46:47]
	s_mul_u64 s[46:47], s[20:21], s[54:55]
	s_wait_alu 0xfffe
	v_add_co_u32 v0, vcc_lo, s42, v6
	s_wait_alu 0xfffd
	v_add_co_ci_u32_e64 v1, null, s43, v7, vcc_lo
	s_lshl_b64 s[46:47], s[46:47], 3
	v_add_co_u32 v2, vcc_lo, v0, s34
	s_wait_alu 0xfffd
	v_add_co_ci_u32_e64 v3, null, s35, v1, vcc_lo
	s_wait_alu 0xfffe
	s_add_nc_u64 s[44:45], s[44:45], s[46:47]
	v_add_co_u32 v16, vcc_lo, v2, s34
	s_wait_alu 0xfffd
	v_add_co_ci_u32_e64 v17, null, s35, v3, vcc_lo
	s_mul_u64 s[46:47], s[26:27], s[54:55]
	v_add_co_u32 v18, vcc_lo, v16, s34
	s_wait_alu 0xfffd
	v_add_co_ci_u32_e64 v19, null, s35, v17, vcc_lo
	s_wait_alu 0xfffe
	v_add_co_u32 v20, vcc_lo, s44, v8
	s_wait_alu 0xfffd
	v_add_co_ci_u32_e64 v21, null, s45, v9, vcc_lo
	s_clause 0x3
	global_load_b64 v[38:39], v[0:1], off
	global_load_b64 v[40:41], v[2:3], off
	global_load_b64 v[42:43], v[16:17], off
	global_load_b64 v[44:45], v[18:19], off
	global_load_b64 v[36:37], v[20:21], off
	v_mov_b32_e32 v16, 0
	v_mov_b32_e32 v17, 0
	s_lshl_b64 s[46:47], s[46:47], 3
	s_cmp_eq_u32 s52, 1
	s_wait_alu 0xfffe
	s_add_nc_u64 s[46:47], s[40:41], s[46:47]
	s_cbranch_scc1 .LBB90_24
; %bb.16:                               ;   in Loop: Header=BB90_3 Depth=1
	v_mov_b32_e32 v18, 0
	v_dual_mov_b32 v20, 0 :: v_dual_mov_b32 v19, 0
	v_dual_mov_b32 v22, 0 :: v_dual_mov_b32 v21, 0
	;; [unrolled: 1-line block ×3, first 2 shown]
	s_wait_alu 0xfffe
	v_dual_mov_b32 v17, 0 :: v_dual_mov_b32 v24, s46
	v_mov_b32_e32 v25, s47
	s_add_co_i32 s46, s52, -2
	s_mov_b32 s47, 0
.LBB90_17:                              ;   Parent Loop BB90_3 Depth=1
                                        ; =>  This Loop Header: Depth=2
                                        ;       Child Loop BB90_19 Depth 3
	s_wait_alu 0xfffe
	v_add_co_u32 v0, vcc_lo, s42, v6
	s_wait_alu 0xfffd
	v_add_co_ci_u32_e64 v1, null, s43, v7, vcc_lo
	s_delay_alu instid0(VALU_DEP_2)
	v_add_co_u32 v2, vcc_lo, v0, s34
	global_load_b64 v[46:47], v[0:1], off offset:128
	s_wait_alu 0xfffd
	v_add_co_ci_u32_e64 v3, null, s35, v1, vcc_lo
	global_load_b64 v[48:49], v[2:3], off offset:128
	v_add_co_u32 v2, vcc_lo, v2, s34
	s_wait_alu 0xfffd
	v_add_co_ci_u32_e64 v3, null, s35, v3, vcc_lo
	global_load_b64 v[50:51], v[2:3], off offset:128
	v_add_co_u32 v2, vcc_lo, v2, s34
	s_wait_alu 0xfffd
	v_add_co_ci_u32_e64 v3, null, s35, v3, vcc_lo
	v_add_co_u32 v26, vcc_lo, s44, v10
	s_wait_alu 0xfffd
	v_add_co_ci_u32_e64 v27, null, s45, v11, vcc_lo
	global_load_b64 v[52:53], v[2:3], off offset:128
	v_add_co_u32 v2, vcc_lo, v2, s12
	s_add_nc_u64 s[44:45], s[44:45], s[18:19]
	s_wait_alu 0xfffd
	v_add_co_ci_u32_e64 v3, null, s13, v3, vcc_lo
	s_wait_alu 0xfffe
	v_add_co_u32 v28, vcc_lo, s44, v8
	s_wait_alu 0xfffd
	v_add_co_ci_u32_e64 v29, null, s45, v9, vcc_lo
	v_add_co_u32 v56, vcc_lo, v2, s34
	s_wait_alu 0xfffd
	v_add_co_ci_u32_e64 v57, null, s35, v3, vcc_lo
	global_load_b64 v[54:55], v[26:27], off
	v_add_co_u32 v26, vcc_lo, v56, s34
	s_wait_alu 0xfffd
	v_add_co_ci_u32_e64 v27, null, s35, v57, vcc_lo
	global_load_b64 v[34:35], v[28:29], off
	s_clause 0x3
	global_load_b64 v[32:33], v[0:1], off offset:256
	global_load_b64 v[30:31], v[2:3], off offset:256
	;; [unrolled: 1-line block ×4, first 2 shown]
	ds_load_b128 v[0:3], v62
	ds_load_b128 v[56:59], v62 offset:16
	s_wait_loadcnt_dscnt 0x0
	s_barrier_signal -1
	s_barrier_wait -1
	global_inv scope:SCOPE_SE
	v_fma_f64 v[82:83], v[38:39], v[0:1], 0
	s_delay_alu instid0(VALU_DEP_1) | instskip(SKIP_1) | instid1(VALU_DEP_1)
	v_fma_f64 v[82:83], v[40:41], v[2:3], v[82:83]
	v_fma_f64 v[0:1], v[46:47], v[0:1], 0
	;; [unrolled: 1-line block ×3, first 2 shown]
	s_delay_alu instid0(VALU_DEP_3) | instskip(NEXT) | instid1(VALU_DEP_2)
	v_fma_f64 v[2:3], v[42:43], v[56:57], v[82:83]
	v_fma_f64 v[0:1], v[50:51], v[56:57], v[0:1]
	s_delay_alu instid0(VALU_DEP_2) | instskip(NEXT) | instid1(VALU_DEP_2)
	v_fma_f64 v[2:3], v[44:45], v[58:59], v[2:3]
	v_fma_f64 v[0:1], v[52:53], v[58:59], v[0:1]
	ds_store_2addr_b64 v80, v[2:3], v[0:1] offset1:16
	s_wait_loadcnt_dscnt 0x0
	s_barrier_signal -1
	s_barrier_wait -1
	global_inv scope:SCOPE_SE
	s_and_saveexec_b32 s52, s0
	s_cbranch_execz .LBB90_21
; %bb.18:                               ;   in Loop: Header=BB90_17 Depth=2
	ds_load_2addr_b64 v[56:59], v63 offset1:32
	ds_load_2addr_b64 v[82:85], v63 offset0:64 offset1:96
	s_mov_b32 s53, 0
	s_wait_dscnt 0x1
	v_add_f64_e32 v[0:1], 0, v[56:57]
	v_add_co_u32 v56, vcc_lo, v24, v12
	s_wait_alu 0xfffd
	v_add_co_ci_u32_e64 v57, null, v25, v13, vcc_lo
	global_load_b64 v[2:3], v[56:57], off
	v_add_f64_e32 v[0:1], v[0:1], v[58:59]
	s_wait_dscnt 0x0
	s_delay_alu instid0(VALU_DEP_1) | instskip(NEXT) | instid1(VALU_DEP_1)
	v_add_f64_e32 v[0:1], v[0:1], v[82:83]
	v_add_f64_e32 v[0:1], v[0:1], v[84:85]
	ds_load_2addr_b64 v[82:85], v63 offset0:128 offset1:160
	s_wait_dscnt 0x0
	v_add_f64_e32 v[0:1], v[0:1], v[82:83]
	s_delay_alu instid0(VALU_DEP_1) | instskip(SKIP_3) | instid1(VALU_DEP_1)
	v_add_f64_e32 v[0:1], v[0:1], v[84:85]
	ds_load_2addr_b64 v[82:85], v63 offset0:192 offset1:224
	s_wait_dscnt 0x0
	v_add_f64_e32 v[0:1], v[0:1], v[82:83]
	v_add_f64_e32 v[0:1], v[0:1], v[84:85]
	s_delay_alu instid0(VALU_DEP_1)
	v_mul_f64_e32 v[58:59], v[14:15], v[0:1]
.LBB90_19:                              ;   Parent Loop BB90_3 Depth=1
                                        ;     Parent Loop BB90_17 Depth=2
                                        ; =>    This Inner Loop Header: Depth=3
	s_wait_loadcnt 0x0
	s_delay_alu instid0(VALU_DEP_1)
	v_add_f64_e32 v[0:1], v[2:3], v[58:59]
	global_atomic_cmpswap_b64 v[0:1], v[56:57], v[0:3], off th:TH_ATOMIC_RETURN scope:SCOPE_DEV
	s_wait_loadcnt 0x0
	v_cmp_eq_u64_e32 vcc_lo, v[0:1], v[2:3]
	v_dual_mov_b32 v3, v1 :: v_dual_mov_b32 v2, v0
	s_or_b32 s53, vcc_lo, s53
	s_delay_alu instid0(SALU_CYCLE_1)
	s_and_not1_b32 exec_lo, exec_lo, s53
	s_cbranch_execnz .LBB90_19
; %bb.20:                               ;   in Loop: Header=BB90_17 Depth=2
	s_or_b32 exec_lo, exec_lo, s53
	v_add_co_u32 v24, vcc_lo, v24, s24
	s_wait_alu 0xfffd
	v_add_co_ci_u32_e64 v25, null, s25, v25, vcc_lo
.LBB90_21:                              ;   in Loop: Header=BB90_17 Depth=2
	s_or_b32 exec_lo, exec_lo, s52
	v_fma_f64 v[0:1], v[36:37], v[38:39], v[18:19]
	v_fma_f64 v[2:3], v[36:37], v[40:41], v[22:23]
	;; [unrolled: 1-line block ×4, first 2 shown]
	s_add_co_i32 s52, s47, 1
	s_cmp_eq_u32 s47, s46
	s_add_nc_u64 s[42:43], s[42:43], 0x100
	s_delay_alu instid0(VALU_DEP_4) | instskip(NEXT) | instid1(VALU_DEP_4)
	v_fma_f64 v[18:19], v[54:55], v[46:47], v[0:1]
	v_fma_f64 v[22:23], v[54:55], v[48:49], v[2:3]
	s_delay_alu instid0(VALU_DEP_4) | instskip(NEXT) | instid1(VALU_DEP_4)
	v_fma_f64 v[20:21], v[54:55], v[50:51], v[20:21]
	v_fma_f64 v[16:17], v[54:55], v[52:53], v[16:17]
	s_cbranch_scc1 .LBB90_25
; %bb.22:                               ;   in Loop: Header=BB90_17 Depth=2
	v_dual_mov_b32 v37, v35 :: v_dual_mov_b32 v36, v34
	v_dual_mov_b32 v39, v33 :: v_dual_mov_b32 v38, v32
	;; [unrolled: 1-line block ×5, first 2 shown]
	s_mov_b32 s47, s52
	s_branch .LBB90_17
.LBB90_23:                              ;   in Loop: Header=BB90_3 Depth=1
	v_mov_b32_e32 v0, 0
	v_dual_mov_b32 v16, 0 :: v_dual_mov_b32 v1, 0
	v_dual_mov_b32 v2, 0 :: v_dual_mov_b32 v17, 0
	;; [unrolled: 1-line block ×3, first 2 shown]
	v_mov_b32_e32 v19, 0
	s_branch .LBB90_29
.LBB90_24:                              ;   in Loop: Header=BB90_3 Depth=1
	v_mov_b32_e32 v20, 0
	v_dual_mov_b32 v18, 0 :: v_dual_mov_b32 v21, 0
	v_dual_mov_b32 v22, 0 :: v_dual_mov_b32 v19, 0
	s_wait_loadcnt 0x0
	v_mov_b32_e32 v34, v36
	s_wait_alu 0xfffe
	v_dual_mov_b32 v24, s46 :: v_dual_mov_b32 v25, s47
	v_dual_mov_b32 v26, v44 :: v_dual_mov_b32 v27, v45
	;; [unrolled: 1-line block ×5, first 2 shown]
	v_mov_b32_e32 v23, 0
	v_mov_b32_e32 v35, v37
.LBB90_25:                              ;   in Loop: Header=BB90_3 Depth=1
	s_wait_alu 0xfffe
	v_add_co_u32 v0, vcc_lo, s42, v6
	s_wait_alu 0xfffd
	v_add_co_ci_u32_e64 v1, null, s43, v7, vcc_lo
	global_load_b64 v[36:37], v[0:1], off offset:128
	v_add_co_u32 v0, vcc_lo, v0, s34
	s_wait_alu 0xfffd
	v_add_co_ci_u32_e64 v1, null, s35, v1, vcc_lo
	global_load_b64 v[38:39], v[0:1], off offset:128
	;; [unrolled: 4-line block ×4, first 2 shown]
	v_add_co_u32 v0, vcc_lo, s44, v10
	s_wait_alu 0xfffd
	v_add_co_ci_u32_e64 v1, null, s45, v11, vcc_lo
	global_load_b64 v[44:45], v[0:1], off
	ds_load_b128 v[0:3], v62
	ds_load_b128 v[46:49], v62 offset:16
	s_wait_loadcnt_dscnt 0x0
	s_barrier_signal -1
	s_barrier_wait -1
	global_inv scope:SCOPE_SE
	v_fma_f64 v[50:51], v[32:33], v[0:1], 0
	s_delay_alu instid0(VALU_DEP_1) | instskip(SKIP_1) | instid1(VALU_DEP_1)
	v_fma_f64 v[50:51], v[30:31], v[2:3], v[50:51]
	v_fma_f64 v[0:1], v[36:37], v[0:1], 0
	;; [unrolled: 1-line block ×3, first 2 shown]
	s_delay_alu instid0(VALU_DEP_3) | instskip(NEXT) | instid1(VALU_DEP_2)
	v_fma_f64 v[2:3], v[28:29], v[46:47], v[50:51]
	v_fma_f64 v[0:1], v[40:41], v[46:47], v[0:1]
	s_delay_alu instid0(VALU_DEP_2) | instskip(NEXT) | instid1(VALU_DEP_2)
	v_fma_f64 v[2:3], v[26:27], v[48:49], v[2:3]
	v_fma_f64 v[0:1], v[42:43], v[48:49], v[0:1]
	ds_store_2addr_b64 v80, v[2:3], v[0:1] offset1:16
	s_wait_loadcnt_dscnt 0x0
	s_barrier_signal -1
	s_barrier_wait -1
	global_inv scope:SCOPE_SE
	s_and_saveexec_b32 s42, s0
	s_cbranch_execz .LBB90_28
; %bb.26:                               ;   in Loop: Header=BB90_3 Depth=1
	ds_load_2addr_b64 v[46:49], v63 offset1:32
	v_add_co_u32 v24, vcc_lo, v24, v12
	s_wait_alu 0xfffd
	v_add_co_ci_u32_e64 v25, null, v25, v13, vcc_lo
	s_mov_b32 s43, 0
	global_load_b64 v[2:3], v[24:25], off
	s_wait_dscnt 0x0
	v_add_f64_e32 v[0:1], 0, v[46:47]
	s_delay_alu instid0(VALU_DEP_1) | instskip(SKIP_3) | instid1(VALU_DEP_1)
	v_add_f64_e32 v[0:1], v[0:1], v[48:49]
	ds_load_2addr_b64 v[46:49], v63 offset0:64 offset1:96
	s_wait_dscnt 0x0
	v_add_f64_e32 v[0:1], v[0:1], v[46:47]
	v_add_f64_e32 v[0:1], v[0:1], v[48:49]
	ds_load_2addr_b64 v[46:49], v63 offset0:128 offset1:160
	s_wait_dscnt 0x0
	v_add_f64_e32 v[0:1], v[0:1], v[46:47]
	s_delay_alu instid0(VALU_DEP_1) | instskip(SKIP_3) | instid1(VALU_DEP_1)
	v_add_f64_e32 v[0:1], v[0:1], v[48:49]
	ds_load_2addr_b64 v[46:49], v63 offset0:192 offset1:224
	s_wait_dscnt 0x0
	v_add_f64_e32 v[0:1], v[0:1], v[46:47]
	v_add_f64_e32 v[0:1], v[0:1], v[48:49]
	s_delay_alu instid0(VALU_DEP_1)
	v_mul_f64_e32 v[46:47], v[14:15], v[0:1]
.LBB90_27:                              ;   Parent Loop BB90_3 Depth=1
                                        ; =>  This Inner Loop Header: Depth=2
	s_wait_loadcnt 0x0
	s_delay_alu instid0(VALU_DEP_1)
	v_add_f64_e32 v[0:1], v[2:3], v[46:47]
	global_atomic_cmpswap_b64 v[0:1], v[24:25], v[0:3], off th:TH_ATOMIC_RETURN scope:SCOPE_DEV
	s_wait_loadcnt 0x0
	v_cmp_eq_u64_e32 vcc_lo, v[0:1], v[2:3]
	v_dual_mov_b32 v3, v1 :: v_dual_mov_b32 v2, v0
	s_wait_alu 0xfffe
	s_or_b32 s43, vcc_lo, s43
	s_wait_alu 0xfffe
	s_and_not1_b32 exec_lo, exec_lo, s43
	s_cbranch_execnz .LBB90_27
.LBB90_28:                              ;   in Loop: Header=BB90_3 Depth=1
	s_wait_alu 0xfffe
	s_or_b32 exec_lo, exec_lo, s42
	v_fma_f64 v[0:1], v[34:35], v[32:33], v[18:19]
	v_fma_f64 v[2:3], v[34:35], v[30:31], v[22:23]
	;; [unrolled: 1-line block ×4, first 2 shown]
	s_delay_alu instid0(VALU_DEP_4) | instskip(NEXT) | instid1(VALU_DEP_4)
	v_fma_f64 v[18:19], v[44:45], v[36:37], v[0:1]
	v_fma_f64 v[16:17], v[44:45], v[38:39], v[2:3]
	s_delay_alu instid0(VALU_DEP_4) | instskip(NEXT) | instid1(VALU_DEP_4)
	v_fma_f64 v[2:3], v[44:45], v[40:41], v[20:21]
	v_fma_f64 v[0:1], v[44:45], v[42:43], v[22:23]
.LBB90_29:                              ;   in Loop: Header=BB90_3 Depth=1
	ds_store_2addr_b64 v81, v[18:19], v[16:17] offset1:16
	ds_store_2addr_b64 v81, v[2:3], v[0:1] offset0:32 offset1:48
	s_wait_loadcnt_dscnt 0x0
	s_barrier_signal -1
	s_barrier_wait -1
	global_inv scope:SCOPE_SE
	s_and_b32 exec_lo, exec_lo, s0
	s_cbranch_execz .LBB90_2
; %bb.30:                               ;   in Loop: Header=BB90_3 Depth=1
	ds_load_b64 v[0:1], v64
	ds_load_b64 v[2:3], v65
	;; [unrolled: 1-line block ×4, first 2 shown]
	s_wait_alu 0xfffe
	s_add_nc_u64 s[40:41], s[40:41], s[38:39]
	s_wait_dscnt 0x3
	v_add_f64_e32 v[0:1], 0, v[0:1]
	s_wait_dscnt 0x2
	s_delay_alu instid0(VALU_DEP_1) | instskip(SKIP_1) | instid1(VALU_DEP_1)
	v_add_f64_e32 v[0:1], v[0:1], v[2:3]
	s_wait_dscnt 0x1
	v_add_f64_e32 v[0:1], v[0:1], v[16:17]
	s_wait_dscnt 0x0
	s_delay_alu instid0(VALU_DEP_1)
	v_add_f64_e32 v[0:1], v[0:1], v[18:19]
	ds_load_b64 v[2:3], v68
	ds_load_b64 v[16:17], v69
	ds_load_b64 v[18:19], v70
	ds_load_b64 v[20:21], v71
	s_wait_dscnt 0x3
	v_add_f64_e32 v[0:1], v[0:1], v[2:3]
	s_wait_dscnt 0x2
	s_delay_alu instid0(VALU_DEP_1)
	v_add_f64_e32 v[0:1], v[0:1], v[16:17]
	s_wait_alu 0xfffe
	v_add_co_u32 v16, vcc_lo, s40, v12
	s_wait_alu 0xfffd
	v_add_co_ci_u32_e64 v17, null, s41, v13, vcc_lo
	s_mov_b32 s40, 0
	s_wait_dscnt 0x1
	v_add_f64_e32 v[0:1], v[0:1], v[18:19]
	s_wait_dscnt 0x0
	s_delay_alu instid0(VALU_DEP_1)
	v_add_f64_e32 v[0:1], v[0:1], v[20:21]
	ds_load_b64 v[2:3], v72
	ds_load_b64 v[18:19], v73
	;; [unrolled: 1-line block ×4, first 2 shown]
	s_wait_dscnt 0x3
	v_add_f64_e32 v[0:1], v[0:1], v[2:3]
	global_load_b64 v[2:3], v[16:17], off
	s_wait_dscnt 0x2
	v_add_f64_e32 v[0:1], v[0:1], v[18:19]
	s_wait_dscnt 0x1
	s_delay_alu instid0(VALU_DEP_1) | instskip(SKIP_1) | instid1(VALU_DEP_1)
	v_add_f64_e32 v[0:1], v[0:1], v[20:21]
	s_wait_dscnt 0x0
	v_add_f64_e32 v[0:1], v[0:1], v[22:23]
	ds_load_b64 v[18:19], v76
	ds_load_b64 v[20:21], v77
	;; [unrolled: 1-line block ×4, first 2 shown]
	s_wait_dscnt 0x3
	v_add_f64_e32 v[0:1], v[0:1], v[18:19]
	s_wait_dscnt 0x2
	s_delay_alu instid0(VALU_DEP_1) | instskip(SKIP_1) | instid1(VALU_DEP_1)
	v_add_f64_e32 v[0:1], v[0:1], v[20:21]
	s_wait_dscnt 0x1
	v_add_f64_e32 v[0:1], v[0:1], v[22:23]
	s_wait_dscnt 0x0
	s_delay_alu instid0(VALU_DEP_1) | instskip(NEXT) | instid1(VALU_DEP_1)
	v_add_f64_e32 v[0:1], v[0:1], v[24:25]
	v_mul_f64_e32 v[14:15], v[14:15], v[0:1]
.LBB90_31:                              ;   Parent Loop BB90_3 Depth=1
                                        ; =>  This Inner Loop Header: Depth=2
	s_wait_loadcnt 0x0
	s_delay_alu instid0(VALU_DEP_1)
	v_add_f64_e32 v[0:1], v[2:3], v[14:15]
	global_atomic_cmpswap_b64 v[0:1], v[16:17], v[0:3], off th:TH_ATOMIC_RETURN scope:SCOPE_DEV
	s_wait_loadcnt 0x0
	v_cmp_eq_u64_e32 vcc_lo, v[0:1], v[2:3]
	v_dual_mov_b32 v3, v1 :: v_dual_mov_b32 v2, v0
	s_wait_alu 0xfffe
	s_or_b32 s40, vcc_lo, s40
	s_wait_alu 0xfffe
	s_and_not1_b32 exec_lo, exec_lo, s40
	s_cbranch_execnz .LBB90_31
	s_branch .LBB90_2
.LBB90_32:
	s_endpgm
	.section	.rodata,"a",@progbits
	.p2align	6, 0x0
	.amdhsa_kernel _ZL54rocblas_symv_kernel_upper_double_buffered_non_diagonalILi32ELi4ELi4E24rocblas_internal_val_ptrIdEPKdPdEvbiT2_lT3_lllS6_lllT4_llli
		.amdhsa_group_segment_fixed_size 7424
		.amdhsa_private_segment_fixed_size 0
		.amdhsa_kernarg_size 384
		.amdhsa_user_sgpr_count 4
		.amdhsa_user_sgpr_dispatch_ptr 1
		.amdhsa_user_sgpr_queue_ptr 0
		.amdhsa_user_sgpr_kernarg_segment_ptr 1
		.amdhsa_user_sgpr_dispatch_id 0
		.amdhsa_user_sgpr_private_segment_size 0
		.amdhsa_wavefront_size32 1
		.amdhsa_uses_dynamic_stack 0
		.amdhsa_enable_private_segment 0
		.amdhsa_system_sgpr_workgroup_id_x 1
		.amdhsa_system_sgpr_workgroup_id_y 1
		.amdhsa_system_sgpr_workgroup_id_z 1
		.amdhsa_system_sgpr_workgroup_info 0
		.amdhsa_system_vgpr_workitem_id 2
		.amdhsa_next_free_vgpr 86
		.amdhsa_next_free_sgpr 56
		.amdhsa_reserve_vcc 1
		.amdhsa_float_round_mode_32 0
		.amdhsa_float_round_mode_16_64 0
		.amdhsa_float_denorm_mode_32 3
		.amdhsa_float_denorm_mode_16_64 3
		.amdhsa_fp16_overflow 0
		.amdhsa_workgroup_processor_mode 1
		.amdhsa_memory_ordered 1
		.amdhsa_forward_progress 1
		.amdhsa_inst_pref_size 29
		.amdhsa_round_robin_scheduling 0
		.amdhsa_exception_fp_ieee_invalid_op 0
		.amdhsa_exception_fp_denorm_src 0
		.amdhsa_exception_fp_ieee_div_zero 0
		.amdhsa_exception_fp_ieee_overflow 0
		.amdhsa_exception_fp_ieee_underflow 0
		.amdhsa_exception_fp_ieee_inexact 0
		.amdhsa_exception_int_div_zero 0
	.end_amdhsa_kernel
	.section	.text._ZL54rocblas_symv_kernel_upper_double_buffered_non_diagonalILi32ELi4ELi4E24rocblas_internal_val_ptrIdEPKdPdEvbiT2_lT3_lllS6_lllT4_llli,"axG",@progbits,_ZL54rocblas_symv_kernel_upper_double_buffered_non_diagonalILi32ELi4ELi4E24rocblas_internal_val_ptrIdEPKdPdEvbiT2_lT3_lllS6_lllT4_llli,comdat
.Lfunc_end90:
	.size	_ZL54rocblas_symv_kernel_upper_double_buffered_non_diagonalILi32ELi4ELi4E24rocblas_internal_val_ptrIdEPKdPdEvbiT2_lT3_lllS6_lllT4_llli, .Lfunc_end90-_ZL54rocblas_symv_kernel_upper_double_buffered_non_diagonalILi32ELi4ELi4E24rocblas_internal_val_ptrIdEPKdPdEvbiT2_lT3_lllS6_lllT4_llli
                                        ; -- End function
	.set _ZL54rocblas_symv_kernel_upper_double_buffered_non_diagonalILi32ELi4ELi4E24rocblas_internal_val_ptrIdEPKdPdEvbiT2_lT3_lllS6_lllT4_llli.num_vgpr, 86
	.set _ZL54rocblas_symv_kernel_upper_double_buffered_non_diagonalILi32ELi4ELi4E24rocblas_internal_val_ptrIdEPKdPdEvbiT2_lT3_lllS6_lllT4_llli.num_agpr, 0
	.set _ZL54rocblas_symv_kernel_upper_double_buffered_non_diagonalILi32ELi4ELi4E24rocblas_internal_val_ptrIdEPKdPdEvbiT2_lT3_lllS6_lllT4_llli.numbered_sgpr, 56
	.set _ZL54rocblas_symv_kernel_upper_double_buffered_non_diagonalILi32ELi4ELi4E24rocblas_internal_val_ptrIdEPKdPdEvbiT2_lT3_lllS6_lllT4_llli.num_named_barrier, 0
	.set _ZL54rocblas_symv_kernel_upper_double_buffered_non_diagonalILi32ELi4ELi4E24rocblas_internal_val_ptrIdEPKdPdEvbiT2_lT3_lllS6_lllT4_llli.private_seg_size, 0
	.set _ZL54rocblas_symv_kernel_upper_double_buffered_non_diagonalILi32ELi4ELi4E24rocblas_internal_val_ptrIdEPKdPdEvbiT2_lT3_lllS6_lllT4_llli.uses_vcc, 1
	.set _ZL54rocblas_symv_kernel_upper_double_buffered_non_diagonalILi32ELi4ELi4E24rocblas_internal_val_ptrIdEPKdPdEvbiT2_lT3_lllS6_lllT4_llli.uses_flat_scratch, 0
	.set _ZL54rocblas_symv_kernel_upper_double_buffered_non_diagonalILi32ELi4ELi4E24rocblas_internal_val_ptrIdEPKdPdEvbiT2_lT3_lllS6_lllT4_llli.has_dyn_sized_stack, 0
	.set _ZL54rocblas_symv_kernel_upper_double_buffered_non_diagonalILi32ELi4ELi4E24rocblas_internal_val_ptrIdEPKdPdEvbiT2_lT3_lllS6_lllT4_llli.has_recursion, 0
	.set _ZL54rocblas_symv_kernel_upper_double_buffered_non_diagonalILi32ELi4ELi4E24rocblas_internal_val_ptrIdEPKdPdEvbiT2_lT3_lllS6_lllT4_llli.has_indirect_call, 0
	.section	.AMDGPU.csdata,"",@progbits
; Kernel info:
; codeLenInByte = 3624
; TotalNumSgprs: 58
; NumVgprs: 86
; ScratchSize: 0
; MemoryBound: 0
; FloatMode: 240
; IeeeMode: 1
; LDSByteSize: 7424 bytes/workgroup (compile time only)
; SGPRBlocks: 0
; VGPRBlocks: 10
; NumSGPRsForWavesPerEU: 58
; NumVGPRsForWavesPerEU: 86
; Occupancy: 16
; WaveLimiterHint : 1
; COMPUTE_PGM_RSRC2:SCRATCH_EN: 0
; COMPUTE_PGM_RSRC2:USER_SGPR: 4
; COMPUTE_PGM_RSRC2:TRAP_HANDLER: 0
; COMPUTE_PGM_RSRC2:TGID_X_EN: 1
; COMPUTE_PGM_RSRC2:TGID_Y_EN: 1
; COMPUTE_PGM_RSRC2:TGID_Z_EN: 1
; COMPUTE_PGM_RSRC2:TIDIG_COMP_CNT: 2
	.section	.text._ZL58rocblas_symv_kernel_upper_double_buffered_diagonal_genericILi32ELi8E24rocblas_internal_val_ptrIdEPKdPdEvbiT1_lT2_lllS6_lllS5_lT3_lllii,"axG",@progbits,_ZL58rocblas_symv_kernel_upper_double_buffered_diagonal_genericILi32ELi8E24rocblas_internal_val_ptrIdEPKdPdEvbiT1_lT2_lllS6_lllS5_lT3_lllii,comdat
	.globl	_ZL58rocblas_symv_kernel_upper_double_buffered_diagonal_genericILi32ELi8E24rocblas_internal_val_ptrIdEPKdPdEvbiT1_lT2_lllS6_lllS5_lT3_lllii ; -- Begin function _ZL58rocblas_symv_kernel_upper_double_buffered_diagonal_genericILi32ELi8E24rocblas_internal_val_ptrIdEPKdPdEvbiT1_lT2_lllS6_lllS5_lT3_lllii
	.p2align	8
	.type	_ZL58rocblas_symv_kernel_upper_double_buffered_diagonal_genericILi32ELi8E24rocblas_internal_val_ptrIdEPKdPdEvbiT1_lT2_lllS6_lllS5_lT3_lllii,@function
_ZL58rocblas_symv_kernel_upper_double_buffered_diagonal_genericILi32ELi8E24rocblas_internal_val_ptrIdEPKdPdEvbiT1_lT2_lllS6_lllS5_lT3_lllii: ; @_ZL58rocblas_symv_kernel_upper_double_buffered_diagonal_genericILi32ELi8E24rocblas_internal_val_ptrIdEPKdPdEvbiT1_lT2_lllS6_lllS5_lT3_lllii
; %bb.0:
	s_load_b64 s[0:1], s[0:1], 0x4
	s_clause 0x1
	s_load_b512 s[8:23], s[2:3], 0x8
	s_load_b256 s[24:31], s[2:3], 0x48
	v_and_b32_e32 v1, 0x3ff, v0
	s_load_b64 s[34:35], s[2:3], 0x88
	v_bfe_u32 v2, v0, 10, 10
	v_bfe_u32 v0, v0, 20, 10
	s_wait_kmcnt 0x0
	s_lshr_b32 s0, s0, 16
	v_mov_b32_e32 v4, s9
	s_mul_i32 s0, s0, s1
	v_mov_b32_e32 v5, s28
	v_mul_lo_u32 v3, s0, v1
	s_lshr_b32 s28, ttmp7, 16
	s_wait_alu 0xfffe
	s_cmp_ge_u32 s28, s35
	s_delay_alu instid0(VALU_DEP_1) | instskip(SKIP_1) | instid1(VALU_DEP_2)
	v_mad_u32_u24 v6, v2, s1, v3
	v_mov_b32_e32 v3, s8
	v_add_lshl_u32 v0, v6, v0, 3
	v_mov_b32_e32 v6, s29
	ds_store_b64 v0, v[3:4] offset:12544
	scratch_store_b64 off, v[5:6], off
	s_cbranch_scc1 .LBB91_51
; %bb.1:
	s_load_b128 s[4:7], s[2:3], 0x70
	v_mad_co_u64_u32 v[3:4], null, s16, v2, 0
	v_add_nc_u32_e32 v16, 0x3100, v0
	s_clause 0x2
	s_load_b32 s8, s[2:3], 0x0
	s_load_b64 s[38:39], s[2:3], 0x68
	s_load_b64 s[36:37], s[2:3], 0x80
	v_mad_co_u64_u32 v[5:6], null, s24, v1, 0
	s_add_nc_u64 s[40:41], s[16:17], 1
	v_lshl_add_u32 v10, v2, 5, v1
	v_mov_b32_e32 v0, v4
	v_cmp_gt_i32_e64 s9, s34, v1
	v_cmp_le_i32_e64 s1, s34, v1
	v_cmp_eq_u32_e64 s0, 0, v2
	v_lshl_add_u32 v25, v10, 3, 0x2000
	v_mad_co_u64_u32 v[7:8], null, s17, v2, v[0:1]
	v_mov_b32_e32 v0, v6
	s_mov_b32 s29, 0
	s_wait_kmcnt 0x0
	v_mad_co_u64_u32 v[8:9], null, s6, v1, 0
	s_bitcmp1_b32 s8, 0
	v_mov_b32_e32 v4, v7
	s_cselect_b32 s8, -1, 0
	s_lshl_b64 s[42:43], s[14:15], 3
	s_lshl_b64 s[14:15], s[22:23], 3
	s_lshl_b32 s22, ttmp9, 5
	v_mov_b32_e32 v6, v9
	s_ashr_i32 s23, s22, 31
	s_lshl_b64 s[4:5], s[4:5], 3
	s_add_nc_u64 s[20:21], s[20:21], s[14:15]
	s_mul_u64 s[14:15], s[40:41], s[22:23]
	v_mad_co_u64_u32 v[6:7], null, s7, v1, v[6:7]
	s_mul_u64 s[6:7], s[6:7], s[22:23]
	v_lshlrev_b64_e32 v[3:4], 3, v[3:4]
	s_add_nc_u64 s[44:45], s[12:13], s[42:43]
	s_add_nc_u64 s[4:5], s[38:39], s[4:5]
	s_wait_alu 0xfffe
	s_lshl_b64 s[6:7], s[6:7], 3
	s_lshl_b64 s[40:41], s[14:15], 3
	v_mov_b32_e32 v9, v6
	v_mad_co_u64_u32 v[6:7], null, s25, v1, v[0:1]
	s_wait_alu 0xfffe
	s_add_nc_u64 s[14:15], s[4:5], s[6:7]
	s_add_nc_u64 s[4:5], s[44:45], s[40:41]
	v_lshlrev_b32_e32 v7, 3, v1
	v_add_co_u32 v0, vcc_lo, s4, v3
	s_delay_alu instid0(VALU_DEP_1)
	v_add_co_ci_u32_e64 v11, null, s5, v4, vcc_lo
	s_mul_u64 s[4:5], s[24:25], s[22:23]
	v_lshlrev_b64_e32 v[5:6], 3, v[5:6]
	v_add_co_u32 v17, vcc_lo, v0, v7
	v_sub_co_u32 v0, s39, v1, v2
	s_wait_alu 0xfffe
	s_lshl_b64 s[4:5], s[4:5], 3
	s_wait_alu 0xfffd
	v_add_co_ci_u32_e64 v18, null, 0, v11, vcc_lo
	s_wait_alu 0xfffe
	s_add_nc_u64 s[6:7], s[20:21], s[4:5]
	v_mul_u32_u24_e32 v1, 0xf8, v1
	s_wait_alu 0xfffe
	v_add_co_u32 v19, vcc_lo, s6, v5
	v_sub_nc_u32_e32 v5, 0, v0
	s_add_nc_u64 s[22:23], s[42:43], s[40:41]
	s_xor_b32 s33, s8, -1
	s_wait_alu 0xfffd
	v_add_co_ci_u32_e64 v20, null, s7, v6, vcc_lo
	v_max_i32_e32 v0, v0, v5
	v_lshlrev_b32_e32 v5, 3, v2
	v_cmp_ne_u32_e64 s4, 0, v2
	v_lshlrev_b32_e32 v6, 8, v2
	s_lshl_b64 s[20:21], s[16:17], 6
	v_cmp_lt_u32_e64 s6, 16, v0
	v_cmp_lt_u32_e64 s7, 24, v0
	v_cmp_lt_u32_e64 s8, 8, v0
	v_add_co_u32 v0, vcc_lo, s22, v3
	v_add3_u32 v23, v7, v1, v5
	s_wait_alu 0xfffd
	v_add_co_ci_u32_e64 v1, null, s23, v4, vcc_lo
	s_delay_alu instid0(VALU_DEP_3)
	v_add_co_u32 v0, vcc_lo, v0, v7
	s_nor_b32 s24, s4, s9
	s_lshr_b32 s25, s34, 3
	s_cmp_gt_u32 s34, 7
	v_add_nc_u32_e32 v22, v7, v6
	v_dual_mov_b32 v4, 0 :: v_dual_add_nc_u32 v11, 0x800, v6
	v_add_nc_u32_e32 v24, 0x3000, v5
	v_add_nc_u32_e32 v5, 0x1000, v6
	;; [unrolled: 1-line block ×3, first 2 shown]
	s_wait_alu 0xfffd
	v_add_co_ci_u32_e64 v1, null, 0, v1, vcc_lo
	s_cselect_b32 s38, -1, 0
	s_and_b32 s5, s34, 7
	v_add_co_u32 v0, vcc_lo, s12, v0
	s_wait_alu 0xfffe
	v_cmp_gt_u32_e64 s5, s5, v2
	v_lshlrev_b64_e32 v[2:3], 3, v[8:9]
	v_add_nc_u32_e32 v21, 0x3000, v7
	v_or_b32_e32 v26, 0x2000, v7
	s_wait_alu 0xfffd
	v_add_co_ci_u32_e64 v1, null, s13, v1, vcc_lo
	v_add_nc_u32_e32 v27, v7, v11
	v_add_nc_u32_e32 v28, v7, v5
	;; [unrolled: 1-line block ×3, first 2 shown]
	s_add_nc_u64 s[12:13], s[2:3], 0x90
	s_xor_b32 s34, s39, -1
	s_lshl_b64 s[22:23], s[18:19], 3
	s_branch .LBB91_4
.LBB91_2:                               ;   in Loop: Header=BB91_4 Depth=1
	s_wait_alu 0xfffe
	s_or_b32 exec_lo, exec_lo, s40
.LBB91_3:                               ;   in Loop: Header=BB91_4 Depth=1
	s_delay_alu instid0(SALU_CYCLE_1)
	s_or_b32 exec_lo, exec_lo, s39
	s_add_co_i32 s28, s28, 0x10000
	s_wait_alu 0xfffe
	s_cmp_lt_u32 s28, s35
	s_cbranch_scc0 .LBB91_51
.LBB91_4:                               ; =>This Loop Header: Depth=1
                                        ;     Child Loop BB91_34 Depth 2
	s_and_b32 vcc_lo, exec_lo, s33
	s_mov_b32 s2, -1
                                        ; implicit-def: $vgpr8_vgpr9
	s_wait_alu 0xfffe
	s_cbranch_vccnz .LBB91_45
; %bb.5:                                ;   in Loop: Header=BB91_4 Depth=1
	s_and_not1_b32 vcc_lo, exec_lo, s2
	s_wait_alu 0xfffe
	s_cbranch_vccz .LBB91_46
.LBB91_6:                               ;   in Loop: Header=BB91_4 Depth=1
	s_and_b32 vcc_lo, exec_lo, s33
	s_mov_b32 s2, -1
                                        ; implicit-def: $vgpr6_vgpr7
	s_wait_alu 0xfffe
	s_cbranch_vccnz .LBB91_47
.LBB91_7:                               ;   in Loop: Header=BB91_4 Depth=1
	s_and_not1_b32 vcc_lo, exec_lo, s2
	s_wait_alu 0xfffe
	s_cbranch_vccnz .LBB91_9
.LBB91_8:                               ;   in Loop: Header=BB91_4 Depth=1
	s_wait_loadcnt_dscnt 0x0
	scratch_load_b64 v[6:7], off, off
.LBB91_9:                               ;   in Loop: Header=BB91_4 Depth=1
	s_wait_loadcnt_dscnt 0x0
	v_cmp_neq_f64_e32 vcc_lo, 0, v[8:9]
	v_cmp_neq_f64_e64 s2, 1.0, v[6:7]
	s_or_b32 s2, vcc_lo, s2
	s_wait_alu 0xfffe
	s_and_saveexec_b32 s39, s2
	s_cbranch_execz .LBB91_3
; %bb.10:                               ;   in Loop: Header=BB91_4 Depth=1
	s_mul_u64 s[2:3], s[36:37], s[28:29]
	s_mov_b32 s40, exec_lo
	s_wait_alu 0xfffe
	s_lshl_b64 s[2:3], s[2:3], 3
	s_wait_alu 0xfffe
	s_add_nc_u64 s[2:3], s[14:15], s[2:3]
	v_cmpx_eq_f64_e32 0, v[8:9]
	s_xor_b32 s40, exec_lo, s40
	s_cbranch_execz .LBB91_17
; %bb.11:                               ;   in Loop: Header=BB91_4 Depth=1
	s_and_saveexec_b32 s41, s0
	s_cbranch_execz .LBB91_16
; %bb.12:                               ;   in Loop: Header=BB91_4 Depth=1
	s_mov_b32 s43, s9
	s_and_saveexec_b32 s42, s1
	s_cbranch_execz .LBB91_14
; %bb.13:                               ;   in Loop: Header=BB91_4 Depth=1
	s_load_b32 s43, s[12:13], 0x0
	s_wait_kmcnt 0x0
	s_add_co_i32 s43, s43, -1
	s_wait_alu 0xfffe
	s_cmp_lt_u32 ttmp9, s43
	s_cselect_b32 s43, -1, 0
	s_and_not1_b32 s44, s9, exec_lo
	s_wait_alu 0xfffe
	s_and_b32 s43, s43, exec_lo
	s_wait_alu 0xfffe
	s_or_b32 s43, s44, s43
.LBB91_14:                              ;   in Loop: Header=BB91_4 Depth=1
	s_wait_alu 0xfffe
	s_or_b32 exec_lo, exec_lo, s42
	s_delay_alu instid0(SALU_CYCLE_1)
	s_and_b32 exec_lo, exec_lo, s43
	s_cbranch_execz .LBB91_16
; %bb.15:                               ;   in Loop: Header=BB91_4 Depth=1
	v_add_co_u32 v8, vcc_lo, s2, v2
	s_wait_alu 0xfffd
	v_add_co_ci_u32_e64 v9, null, s3, v3, vcc_lo
	global_load_b64 v[10:11], v[8:9], off
	s_wait_loadcnt 0x0
	v_mul_f64_e32 v[5:6], v[6:7], v[10:11]
	global_store_b64 v[8:9], v[5:6], off
.LBB91_16:                              ;   in Loop: Header=BB91_4 Depth=1
	s_wait_alu 0xfffe
	s_or_b32 exec_lo, exec_lo, s41
                                        ; implicit-def: $vgpr6_vgpr7
                                        ; implicit-def: $vgpr8_vgpr9
.LBB91_17:                              ;   in Loop: Header=BB91_4 Depth=1
	s_wait_alu 0xfffe
	s_and_not1_saveexec_b32 s40, s40
	s_cbranch_execz .LBB91_3
; %bb.18:                               ;   in Loop: Header=BB91_4 Depth=1
	v_mov_b32_e32 v10, 0
	v_mov_b32_e32 v11, 0
	s_and_saveexec_b32 s40, s0
	s_cbranch_execz .LBB91_26
; %bb.19:                               ;   in Loop: Header=BB91_4 Depth=1
	s_mov_b32 s42, s9
	s_and_saveexec_b32 s41, s1
	s_cbranch_execz .LBB91_21
; %bb.20:                               ;   in Loop: Header=BB91_4 Depth=1
	s_load_b32 s42, s[12:13], 0x0
	s_wait_kmcnt 0x0
	s_add_co_i32 s42, s42, -1
	s_wait_alu 0xfffe
	s_cmp_lt_u32 ttmp9, s42
	s_cselect_b32 s42, -1, 0
	s_and_not1_b32 s43, s9, exec_lo
	s_wait_alu 0xfffe
	s_and_b32 s42, s42, exec_lo
	s_wait_alu 0xfffe
	s_or_b32 s42, s43, s42
.LBB91_21:                              ;   in Loop: Header=BB91_4 Depth=1
	s_wait_alu 0xfffe
	s_or_b32 exec_lo, exec_lo, s41
	v_mov_b32_e32 v10, 0
	v_mov_b32_e32 v11, 0
	s_and_saveexec_b32 s41, s42
	s_cbranch_execz .LBB91_25
; %bb.22:                               ;   in Loop: Header=BB91_4 Depth=1
	s_mul_u64 s[42:43], s[26:27], s[28:29]
	s_wait_alu 0xfffe
	s_lshl_b64 s[42:43], s[42:43], 3
	s_wait_alu 0xfffe
	v_add_co_u32 v10, vcc_lo, v19, s42
	s_wait_alu 0xfffd
	v_add_co_ci_u32_e64 v11, null, s43, v20, vcc_lo
	s_mov_b32 s42, exec_lo
	global_load_b64 v[12:13], v[10:11], off
	v_mov_b32_e32 v10, 0
	v_mov_b32_e32 v11, 0
	s_wait_loadcnt 0x0
	ds_store_b64 v21, v[12:13]
	v_cmpx_neq_f64_e32 0, v[6:7]
	s_cbranch_execz .LBB91_24
; %bb.23:                               ;   in Loop: Header=BB91_4 Depth=1
	v_add_co_u32 v10, vcc_lo, s2, v2
	s_wait_alu 0xfffd
	v_add_co_ci_u32_e64 v11, null, s3, v3, vcc_lo
	global_load_b64 v[10:11], v[10:11], off
	s_wait_loadcnt 0x0
	v_mul_f64_e32 v[10:11], v[6:7], v[10:11]
.LBB91_24:                              ;   in Loop: Header=BB91_4 Depth=1
	s_wait_alu 0xfffe
	s_or_b32 exec_lo, exec_lo, s42
.LBB91_25:                              ;   in Loop: Header=BB91_4 Depth=1
	s_wait_alu 0xfffe
	s_or_b32 exec_lo, exec_lo, s41
.LBB91_26:                              ;   in Loop: Header=BB91_4 Depth=1
	s_wait_alu 0xfffe
	s_or_b32 exec_lo, exec_lo, s40
	s_load_b32 s42, s[12:13], 0x0
	s_mul_u64 s[40:41], s[18:19], s[28:29]
	s_wait_alu 0xfffe
	s_lshl_b64 s[40:41], s[40:41], 3
	s_wait_alu 0xfffe
	v_add_co_u32 v12, vcc_lo, v17, s40
	s_wait_alu 0xfffd
	v_add_co_ci_u32_e64 v13, null, s41, v18, vcc_lo
	s_mov_b32 s41, -1
	s_wait_kmcnt 0x0
	s_add_co_i32 s40, s42, -1
	s_wait_alu 0xfffe
	s_cmp_eq_u32 ttmp9, s40
	s_cbranch_scc1 .LBB91_28
; %bb.27:                               ;   in Loop: Header=BB91_4 Depth=1
	v_add_co_u32 v14, vcc_lo, v12, s20
	s_wait_alu 0xfffd
	v_add_co_ci_u32_e64 v15, null, s21, v13, vcc_lo
	s_mov_b32 s41, 0
	v_add_co_u32 v30, vcc_lo, v14, s20
	s_wait_alu 0xfffd
	v_add_co_ci_u32_e64 v31, null, s21, v15, vcc_lo
	s_delay_alu instid0(VALU_DEP_2) | instskip(SKIP_1) | instid1(VALU_DEP_2)
	v_add_co_u32 v32, vcc_lo, v30, s20
	s_wait_alu 0xfffd
	v_add_co_ci_u32_e64 v33, null, s21, v31, vcc_lo
	s_clause 0x3
	global_load_b64 v[34:35], v[12:13], off
	global_load_b64 v[14:15], v[14:15], off
	;; [unrolled: 1-line block ×4, first 2 shown]
	s_wait_loadcnt 0x2
	ds_store_2addr_stride64_b64 v22, v[34:35], v[14:15] offset1:4
	s_wait_loadcnt 0x0
	ds_store_2addr_stride64_b64 v22, v[30:31], v[32:33] offset0:8 offset1:12
.LBB91_28:                              ;   in Loop: Header=BB91_4 Depth=1
	s_wait_alu 0xfffe
	s_and_not1_b32 vcc_lo, exec_lo, s41
	s_wait_alu 0xfffe
	s_cbranch_vccnz .LBB91_38
; %bb.29:                               ;   in Loop: Header=BB91_4 Depth=1
	s_mov_b32 s42, s29
	s_mov_b32 s43, s29
	s_wait_alu 0xfffe
	v_dual_mov_b32 v14, s42 :: v_dual_mov_b32 v15, s43
	ds_store_2addr_stride64_b64 v22, v[14:15], v[14:15] offset1:4
	ds_store_2addr_stride64_b64 v22, v[14:15], v[14:15] offset0:8 offset1:12
	s_and_saveexec_b32 s41, s24
; %bb.30:                               ;   in Loop: Header=BB91_4 Depth=1
	v_mov_b32_e32 v5, v4
	ds_store_b64 v21, v[4:5]
; %bb.31:                               ;   in Loop: Header=BB91_4 Depth=1
	s_wait_alu 0xfffe
	s_or_b32 exec_lo, exec_lo, s41
	s_and_saveexec_b32 s41, s9
	s_cbranch_execz .LBB91_37
; %bb.32:                               ;   in Loop: Header=BB91_4 Depth=1
	s_and_not1_b32 vcc_lo, exec_lo, s38
	s_mov_b32 s42, 0
	s_wait_alu 0xfffe
	s_cbranch_vccnz .LBB91_35
; %bb.33:                               ;   in Loop: Header=BB91_4 Depth=1
	v_mad_co_u64_u32 v[14:15], null, s22, s28, v[0:1]
	s_mov_b32 s43, s25
	v_mov_b32_e32 v5, v15
	s_delay_alu instid0(VALU_DEP_1) | instskip(SKIP_1) | instid1(VALU_DEP_2)
	v_mad_co_u64_u32 v[30:31], null, s23, s28, v[5:6]
	v_mov_b32_e32 v5, v22
	v_mov_b32_e32 v15, v30
.LBB91_34:                              ;   Parent Loop BB91_4 Depth=1
                                        ; =>  This Inner Loop Header: Depth=2
	global_load_b64 v[30:31], v[14:15], off
	v_add_co_u32 v14, vcc_lo, v14, s20
	s_wait_alu 0xfffd
	v_add_co_ci_u32_e64 v15, null, s21, v15, vcc_lo
	s_wait_alu 0xfffe
	s_add_co_i32 s43, s43, -1
	s_mov_b32 s42, s25
	s_wait_alu 0xfffe
	s_cmp_lg_u32 s43, 0
	s_wait_loadcnt 0x0
	ds_store_b64 v5, v[30:31]
	v_add_nc_u32_e32 v5, 0x800, v5
	s_cbranch_scc1 .LBB91_34
.LBB91_35:                              ;   in Loop: Header=BB91_4 Depth=1
	s_and_b32 exec_lo, exec_lo, s5
	s_cbranch_execz .LBB91_37
; %bb.36:                               ;   in Loop: Header=BB91_4 Depth=1
	s_lshl_b32 s44, s42, 3
	s_mov_b32 s45, s29
	v_lshl_add_u32 v5, s42, 11, v22
	s_wait_alu 0xfffe
	s_mul_u64 s[44:45], s[16:17], s[44:45]
	s_wait_alu 0xfffe
	s_lshl_b64 s[44:45], s[44:45], 3
	s_wait_alu 0xfffe
	v_add_co_u32 v12, vcc_lo, v12, s44
	s_wait_alu 0xfffd
	v_add_co_ci_u32_e64 v13, null, s45, v13, vcc_lo
	global_load_b64 v[12:13], v[12:13], off
	s_wait_loadcnt 0x0
	ds_store_b64 v5, v[12:13]
.LBB91_37:                              ;   in Loop: Header=BB91_4 Depth=1
	s_wait_alu 0xfffe
	s_or_b32 exec_lo, exec_lo, s41
.LBB91_38:                              ;   in Loop: Header=BB91_4 Depth=1
	s_wait_storecnt_dscnt 0x0
	s_barrier_signal -1
	s_barrier_wait -1
	global_inv scope:SCOPE_SE
	s_and_saveexec_b32 s41, s6
	s_cbranch_execnz .LBB91_48
; %bb.39:                               ;   in Loop: Header=BB91_4 Depth=1
	s_wait_alu 0xfffe
	s_or_b32 exec_lo, exec_lo, s41
	s_and_saveexec_b32 s41, s7
	s_cbranch_execnz .LBB91_49
.LBB91_40:                              ;   in Loop: Header=BB91_4 Depth=1
	s_wait_alu 0xfffe
	s_or_b32 exec_lo, exec_lo, s41
	s_and_saveexec_b32 s41, s34
	s_cbranch_execnz .LBB91_50
.LBB91_41:                              ;   in Loop: Header=BB91_4 Depth=1
	s_wait_alu 0xfffe
	s_or_b32 exec_lo, exec_lo, s41
	s_and_saveexec_b32 s41, s8
	s_cbranch_execz .LBB91_43
.LBB91_42:                              ;   in Loop: Header=BB91_4 Depth=1
	ds_load_b64 v[12:13], v23 offset:64
	s_wait_dscnt 0x0
	ds_store_b64 v27, v[12:13]
.LBB91_43:                              ;   in Loop: Header=BB91_4 Depth=1
	s_wait_alu 0xfffe
	s_or_b32 exec_lo, exec_lo, s41
	s_wait_loadcnt_dscnt 0x0
	s_barrier_signal -1
	s_barrier_wait -1
	global_inv scope:SCOPE_SE
	ds_load_2addr_b64 v[12:15], v24 offset1:8
	ds_load_b64 v[30:31], v22
	ds_load_b64 v[32:33], v27
	;; [unrolled: 1-line block ×4, first 2 shown]
	s_cmp_ge_u32 ttmp9, s40
	s_cselect_b32 s40, -1, 0
	s_wait_alu 0xfffe
	s_and_b32 s40, s1, s40
	s_wait_alu 0xfffe
	s_nor_b32 s41, s40, s4
	s_wait_dscnt 0x3
	v_fma_f64 v[12:13], v[30:31], v[12:13], 0
	s_wait_dscnt 0x2
	s_delay_alu instid0(VALU_DEP_1) | instskip(SKIP_3) | instid1(VALU_DEP_1)
	v_fma_f64 v[30:31], v[32:33], v[14:15], v[12:13]
	ds_load_2addr_b64 v[12:15], v24 offset0:16 offset1:24
	s_wait_dscnt 0x0
	v_fma_f64 v[12:13], v[34:35], v[12:13], v[30:31]
	v_fma_f64 v[12:13], v[36:37], v[14:15], v[12:13]
	ds_store_b64 v25, v[12:13]
	s_wait_loadcnt_dscnt 0x0
	s_barrier_signal -1
	s_barrier_wait -1
	global_inv scope:SCOPE_SE
	s_wait_alu 0xfffe
	s_and_saveexec_b32 s40, s41
	s_cbranch_execz .LBB91_2
; %bb.44:                               ;   in Loop: Header=BB91_4 Depth=1
	ds_load_2addr_b64 v[12:15], v26 offset1:32
	v_cmp_neq_f64_e32 vcc_lo, 0, v[6:7]
	s_wait_dscnt 0x0
	v_add_f64_e32 v[12:13], 0, v[12:13]
	s_delay_alu instid0(VALU_DEP_1) | instskip(SKIP_3) | instid1(VALU_DEP_1)
	v_add_f64_e32 v[30:31], v[12:13], v[14:15]
	ds_load_2addr_b64 v[12:15], v26 offset0:64 offset1:96
	s_wait_dscnt 0x0
	v_add_f64_e32 v[12:13], v[30:31], v[12:13]
	v_add_f64_e32 v[30:31], v[12:13], v[14:15]
	ds_load_2addr_b64 v[12:15], v26 offset0:128 offset1:160
	s_wait_dscnt 0x0
	v_add_f64_e32 v[12:13], v[30:31], v[12:13]
	s_delay_alu instid0(VALU_DEP_1) | instskip(SKIP_3) | instid1(VALU_DEP_1)
	v_add_f64_e32 v[30:31], v[12:13], v[14:15]
	ds_load_2addr_b64 v[12:15], v26 offset0:192 offset1:224
	s_wait_dscnt 0x0
	v_add_f64_e32 v[12:13], v[30:31], v[12:13]
	v_add_f64_e32 v[12:13], v[12:13], v[14:15]
	s_delay_alu instid0(VALU_DEP_1) | instskip(SKIP_2) | instid1(VALU_DEP_1)
	v_mul_f64_e32 v[14:15], v[8:9], v[12:13]
	v_fma_f64 v[8:9], v[8:9], v[12:13], v[10:11]
	s_wait_alu 0xfffd
	v_dual_cndmask_b32 v6, v15, v9 :: v_dual_cndmask_b32 v5, v14, v8
	v_add_co_u32 v7, vcc_lo, s2, v2
	s_wait_alu 0xfffd
	v_add_co_ci_u32_e64 v8, null, s3, v3, vcc_lo
	global_store_b64 v[7:8], v[5:6], off
	s_branch .LBB91_2
.LBB91_45:                              ;   in Loop: Header=BB91_4 Depth=1
	ds_load_b64 v[5:6], v16
	s_mul_u64 s[2:3], s[10:11], s[28:29]
	s_wait_alu 0xfffe
	s_lshl_b64 s[2:3], s[2:3], 3
	s_wait_dscnt 0x0
	s_wait_alu 0xfffe
	v_add_co_u32 v5, vcc_lo, v5, s2
	s_wait_alu 0xfffd
	v_add_co_ci_u32_e64 v6, null, s3, v6, vcc_lo
	flat_load_b64 v[8:9], v[5:6]
	s_cbranch_execnz .LBB91_6
.LBB91_46:                              ;   in Loop: Header=BB91_4 Depth=1
	s_wait_loadcnt_dscnt 0x0
	ds_load_b64 v[8:9], v16
	s_and_b32 vcc_lo, exec_lo, s33
	s_mov_b32 s2, -1
                                        ; implicit-def: $vgpr6_vgpr7
	s_wait_alu 0xfffe
	s_cbranch_vccz .LBB91_7
.LBB91_47:                              ;   in Loop: Header=BB91_4 Depth=1
	scratch_load_b64 v[5:6], off, off
	s_mul_u64 s[2:3], s[30:31], s[28:29]
	s_wait_alu 0xfffe
	s_lshl_b64 s[2:3], s[2:3], 3
	s_wait_loadcnt 0x0
	s_wait_alu 0xfffe
	v_add_co_u32 v5, vcc_lo, v5, s2
	s_wait_alu 0xfffd
	v_add_co_ci_u32_e64 v6, null, s3, v6, vcc_lo
	flat_load_b64 v[6:7], v[5:6]
	s_cbranch_execz .LBB91_8
	s_branch .LBB91_9
.LBB91_48:                              ;   in Loop: Header=BB91_4 Depth=1
	ds_load_b64 v[12:13], v23 offset:128
	s_wait_dscnt 0x0
	ds_store_b64 v22, v[12:13] offset:4096
	s_wait_alu 0xfffe
	s_or_b32 exec_lo, exec_lo, s41
	s_and_saveexec_b32 s41, s7
	s_cbranch_execz .LBB91_40
.LBB91_49:                              ;   in Loop: Header=BB91_4 Depth=1
	ds_load_b64 v[12:13], v23 offset:192
	s_wait_dscnt 0x0
	ds_store_b64 v22, v[12:13] offset:6144
	s_wait_alu 0xfffe
	s_or_b32 exec_lo, exec_lo, s41
	s_and_saveexec_b32 s41, s34
	s_cbranch_execz .LBB91_41
.LBB91_50:                              ;   in Loop: Header=BB91_4 Depth=1
	ds_load_b64 v[12:13], v23
	s_wait_dscnt 0x0
	ds_store_b64 v22, v[12:13]
	s_wait_alu 0xfffe
	s_or_b32 exec_lo, exec_lo, s41
	s_and_saveexec_b32 s41, s8
	s_cbranch_execnz .LBB91_42
	s_branch .LBB91_43
.LBB91_51:
	s_endpgm
	.section	.rodata,"a",@progbits
	.p2align	6, 0x0
	.amdhsa_kernel _ZL58rocblas_symv_kernel_upper_double_buffered_diagonal_genericILi32ELi8E24rocblas_internal_val_ptrIdEPKdPdEvbiT1_lT2_lllS6_lllS5_lT3_lllii
		.amdhsa_group_segment_fixed_size 14592
		.amdhsa_private_segment_fixed_size 16
		.amdhsa_kernarg_size 400
		.amdhsa_user_sgpr_count 4
		.amdhsa_user_sgpr_dispatch_ptr 1
		.amdhsa_user_sgpr_queue_ptr 0
		.amdhsa_user_sgpr_kernarg_segment_ptr 1
		.amdhsa_user_sgpr_dispatch_id 0
		.amdhsa_user_sgpr_private_segment_size 0
		.amdhsa_wavefront_size32 1
		.amdhsa_uses_dynamic_stack 0
		.amdhsa_enable_private_segment 1
		.amdhsa_system_sgpr_workgroup_id_x 1
		.amdhsa_system_sgpr_workgroup_id_y 0
		.amdhsa_system_sgpr_workgroup_id_z 1
		.amdhsa_system_sgpr_workgroup_info 0
		.amdhsa_system_vgpr_workitem_id 2
		.amdhsa_next_free_vgpr 38
		.amdhsa_next_free_sgpr 46
		.amdhsa_reserve_vcc 1
		.amdhsa_float_round_mode_32 0
		.amdhsa_float_round_mode_16_64 0
		.amdhsa_float_denorm_mode_32 3
		.amdhsa_float_denorm_mode_16_64 3
		.amdhsa_fp16_overflow 0
		.amdhsa_workgroup_processor_mode 1
		.amdhsa_memory_ordered 1
		.amdhsa_forward_progress 1
		.amdhsa_inst_pref_size 21
		.amdhsa_round_robin_scheduling 0
		.amdhsa_exception_fp_ieee_invalid_op 0
		.amdhsa_exception_fp_denorm_src 0
		.amdhsa_exception_fp_ieee_div_zero 0
		.amdhsa_exception_fp_ieee_overflow 0
		.amdhsa_exception_fp_ieee_underflow 0
		.amdhsa_exception_fp_ieee_inexact 0
		.amdhsa_exception_int_div_zero 0
	.end_amdhsa_kernel
	.section	.text._ZL58rocblas_symv_kernel_upper_double_buffered_diagonal_genericILi32ELi8E24rocblas_internal_val_ptrIdEPKdPdEvbiT1_lT2_lllS6_lllS5_lT3_lllii,"axG",@progbits,_ZL58rocblas_symv_kernel_upper_double_buffered_diagonal_genericILi32ELi8E24rocblas_internal_val_ptrIdEPKdPdEvbiT1_lT2_lllS6_lllS5_lT3_lllii,comdat
.Lfunc_end91:
	.size	_ZL58rocblas_symv_kernel_upper_double_buffered_diagonal_genericILi32ELi8E24rocblas_internal_val_ptrIdEPKdPdEvbiT1_lT2_lllS6_lllS5_lT3_lllii, .Lfunc_end91-_ZL58rocblas_symv_kernel_upper_double_buffered_diagonal_genericILi32ELi8E24rocblas_internal_val_ptrIdEPKdPdEvbiT1_lT2_lllS6_lllS5_lT3_lllii
                                        ; -- End function
	.set _ZL58rocblas_symv_kernel_upper_double_buffered_diagonal_genericILi32ELi8E24rocblas_internal_val_ptrIdEPKdPdEvbiT1_lT2_lllS6_lllS5_lT3_lllii.num_vgpr, 38
	.set _ZL58rocblas_symv_kernel_upper_double_buffered_diagonal_genericILi32ELi8E24rocblas_internal_val_ptrIdEPKdPdEvbiT1_lT2_lllS6_lllS5_lT3_lllii.num_agpr, 0
	.set _ZL58rocblas_symv_kernel_upper_double_buffered_diagonal_genericILi32ELi8E24rocblas_internal_val_ptrIdEPKdPdEvbiT1_lT2_lllS6_lllS5_lT3_lllii.numbered_sgpr, 46
	.set _ZL58rocblas_symv_kernel_upper_double_buffered_diagonal_genericILi32ELi8E24rocblas_internal_val_ptrIdEPKdPdEvbiT1_lT2_lllS6_lllS5_lT3_lllii.num_named_barrier, 0
	.set _ZL58rocblas_symv_kernel_upper_double_buffered_diagonal_genericILi32ELi8E24rocblas_internal_val_ptrIdEPKdPdEvbiT1_lT2_lllS6_lllS5_lT3_lllii.private_seg_size, 16
	.set _ZL58rocblas_symv_kernel_upper_double_buffered_diagonal_genericILi32ELi8E24rocblas_internal_val_ptrIdEPKdPdEvbiT1_lT2_lllS6_lllS5_lT3_lllii.uses_vcc, 1
	.set _ZL58rocblas_symv_kernel_upper_double_buffered_diagonal_genericILi32ELi8E24rocblas_internal_val_ptrIdEPKdPdEvbiT1_lT2_lllS6_lllS5_lT3_lllii.uses_flat_scratch, 0
	.set _ZL58rocblas_symv_kernel_upper_double_buffered_diagonal_genericILi32ELi8E24rocblas_internal_val_ptrIdEPKdPdEvbiT1_lT2_lllS6_lllS5_lT3_lllii.has_dyn_sized_stack, 0
	.set _ZL58rocblas_symv_kernel_upper_double_buffered_diagonal_genericILi32ELi8E24rocblas_internal_val_ptrIdEPKdPdEvbiT1_lT2_lllS6_lllS5_lT3_lllii.has_recursion, 0
	.set _ZL58rocblas_symv_kernel_upper_double_buffered_diagonal_genericILi32ELi8E24rocblas_internal_val_ptrIdEPKdPdEvbiT1_lT2_lllS6_lllS5_lT3_lllii.has_indirect_call, 0
	.section	.AMDGPU.csdata,"",@progbits
; Kernel info:
; codeLenInByte = 2592
; TotalNumSgprs: 48
; NumVgprs: 38
; ScratchSize: 16
; MemoryBound: 0
; FloatMode: 240
; IeeeMode: 1
; LDSByteSize: 14592 bytes/workgroup (compile time only)
; SGPRBlocks: 0
; VGPRBlocks: 4
; NumSGPRsForWavesPerEU: 48
; NumVGPRsForWavesPerEU: 38
; Occupancy: 16
; WaveLimiterHint : 1
; COMPUTE_PGM_RSRC2:SCRATCH_EN: 1
; COMPUTE_PGM_RSRC2:USER_SGPR: 4
; COMPUTE_PGM_RSRC2:TRAP_HANDLER: 0
; COMPUTE_PGM_RSRC2:TGID_X_EN: 1
; COMPUTE_PGM_RSRC2:TGID_Y_EN: 0
; COMPUTE_PGM_RSRC2:TGID_Z_EN: 1
; COMPUTE_PGM_RSRC2:TIDIG_COMP_CNT: 2
	.section	.text._ZL62rocblas_symv_kernel_upper_double_buffered_non_diagonal_genericILi32ELi8ELi2ELi0E24rocblas_internal_val_ptrIdEPKdPdEvbiT3_lT4_lllS6_lllT5_lllii,"axG",@progbits,_ZL62rocblas_symv_kernel_upper_double_buffered_non_diagonal_genericILi32ELi8ELi2ELi0E24rocblas_internal_val_ptrIdEPKdPdEvbiT3_lT4_lllS6_lllT5_lllii,comdat
	.globl	_ZL62rocblas_symv_kernel_upper_double_buffered_non_diagonal_genericILi32ELi8ELi2ELi0E24rocblas_internal_val_ptrIdEPKdPdEvbiT3_lT4_lllS6_lllT5_lllii ; -- Begin function _ZL62rocblas_symv_kernel_upper_double_buffered_non_diagonal_genericILi32ELi8ELi2ELi0E24rocblas_internal_val_ptrIdEPKdPdEvbiT3_lT4_lllS6_lllT5_lllii
	.p2align	8
	.type	_ZL62rocblas_symv_kernel_upper_double_buffered_non_diagonal_genericILi32ELi8ELi2ELi0E24rocblas_internal_val_ptrIdEPKdPdEvbiT3_lT4_lllS6_lllT5_lllii,@function
_ZL62rocblas_symv_kernel_upper_double_buffered_non_diagonal_genericILi32ELi8ELi2ELi0E24rocblas_internal_val_ptrIdEPKdPdEvbiT3_lT4_lllS6_lllT5_lllii: ; @_ZL62rocblas_symv_kernel_upper_double_buffered_non_diagonal_genericILi32ELi8ELi2ELi0E24rocblas_internal_val_ptrIdEPKdPdEvbiT3_lT4_lllS6_lllT5_lllii
; %bb.0:
	s_load_b64 s[0:1], s[0:1], 0x4
	s_load_b512 s[4:19], s[2:3], 0x8
	v_and_b32_e32 v1, 0x3ff, v0
	s_load_b64 s[28:29], s[2:3], 0x78
	v_bfe_u32 v2, v0, 10, 10
	v_bfe_u32 v0, v0, 20, 10
	s_wait_kmcnt 0x0
	s_lshr_b32 s0, s0, 16
	v_mov_b32_e32 v4, s5
	s_mul_i32 s0, s0, s1
	s_delay_alu instid0(SALU_CYCLE_1) | instskip(NEXT) | instid1(VALU_DEP_1)
	v_mul_lo_u32 v3, s0, v1
	v_mad_u32_u24 v5, v2, s1, v3
	v_mov_b32_e32 v3, s4
	s_lshr_b32 s4, ttmp7, 16
	s_wait_alu 0xfffe
	s_cmp_ge_u32 s4, s29
	v_add_lshl_u32 v0, v5, v0, 3
	ds_store_b64 v0, v[3:4] offset:8448
	s_cbranch_scc1 .LBB92_48
; %bb.1:
	s_clause 0x3
	s_load_b32 s5, s[2:3], 0x0
	s_load_b128 s[20:23], s[2:3], 0x48
	s_load_b128 s[24:27], s[2:3], 0x60
	s_load_b64 s[0:1], s[2:3], 0x58
	v_lshl_add_u32 v17, v2, 5, v1
	v_and_b32_e32 v3, 15, v1
	s_load_b64 s[34:35], s[2:3], 0x70
	v_lshlrev_b32_e32 v46, 3, v1
	s_mov_b32 s30, ttmp9
	v_lshrrev_b32_e32 v18, 4, v17
	s_add_nc_u64 s[2:3], s[2:3], 0x80
	s_delay_alu instid0(VALU_DEP_2) | instskip(SKIP_1) | instid1(VALU_DEP_3)
	v_or_b32_e32 v47, 0x2000, v46
	v_add_nc_u32_e32 v68, 0x800, v46
	v_lshlrev_b32_e32 v24, 8, v18
	s_wait_kmcnt 0x0
	s_bitcmp1_b32 s5, 0
	v_mad_co_u64_u32 v[5:6], null, s20, v1, 0
	v_add_nc_u32_e32 v45, 0x2100, v0
	s_cselect_b32 s5, -1, 0
	s_lshl_b32 s38, ttmp9, 5
	s_lshl_b64 s[18:19], s[18:19], 3
	s_lshl_b64 s[24:25], s[24:25], 3
	;; [unrolled: 1-line block ×3, first 2 shown]
	s_delay_alu instid0(VALU_DEP_2)
	v_mov_b32_e32 v0, v6
	s_ashr_i32 s39, s38, 31
	s_and_b32 s33, ttmp7, 0xffff
	s_add_nc_u64 s[10:11], s[16:17], s[18:19]
	s_add_nc_u64 s[16:17], s[0:1], s[24:25]
	v_mad_co_u64_u32 v[6:7], null, s21, v1, v[0:1]
	v_dual_mov_b32 v0, 0 :: v_dual_lshlrev_b32 v13, 1, v18
	s_add_nc_u64 s[0:1], s[8:9], s[36:37]
	s_mul_u64 s[8:9], s[12:13], s[38:39]
	s_wait_alu 0xfffe
	s_xor_b32 s48, s5, -1
	v_mov_b32_e32 v4, v0
	s_lshl_b32 s49, s33, 5
	s_lshl_b64 s[8:9], s[8:9], 3
	s_cmp_lg_u32 ttmp9, 0
	v_or_b32_e32 v16, 16, v3
	v_mad_co_u64_u32 v[7:8], null, s12, v13, v[3:4]
	s_add_nc_u64 s[8:9], s[0:1], s[8:9]
	s_cselect_b32 s50, -1, 0
	s_lshr_b32 s0, s28, 31
	v_mad_co_u64_u32 v[9:10], null, s20, v3, 0
	s_wait_alu 0xfffe
	s_add_co_i32 s0, s28, s0
	v_lshlrev_b32_e32 v23, 3, v3
	s_wait_alu 0xfffe
	s_ashr_i32 s18, s0, 1
	v_cmp_eq_u32_e64 s0, 0, v2
	v_mad_co_u64_u32 v[11:12], null, s20, v16, 0
	v_mov_b32_e32 v2, v8
	v_or_b32_e32 v8, 0x1000, v23
	v_mov_b32_e32 v4, v10
	v_mad_co_u64_u32 v[21:22], null, s26, v1, 0
	s_delay_alu instid0(VALU_DEP_4)
	v_mad_co_u64_u32 v[13:14], null, s13, v13, v[2:3]
	v_mov_b32_e32 v2, v12
	v_add_nc_u32_e32 v49, v8, v24
	v_mad_co_u64_u32 v[14:15], null, s21, v3, v[4:5]
	v_mov_b32_e32 v4, v22
	v_cmp_gt_i32_e64 s1, s28, v1
	v_dual_mov_b32 v8, v13 :: v_dual_add_nc_u32 v13, 2, v1
	v_mad_co_u64_u32 v[15:16], null, s21, v16, v[2:3]
	v_and_b32_e32 v2, 0xfff0, v17
	v_xor_b32_e32 v3, 8, v3
	s_delay_alu instid0(VALU_DEP_4)
	v_and_b32_e32 v13, 15, v13
	v_cmp_gt_i32_e64 s28, s18, v18
	v_or_b32_e32 v48, v23, v24
	v_add_nc_u32_e32 v50, 0x2000, v2
	v_dual_mov_b32 v12, v15 :: v_dual_add_nc_u32 v15, 4, v1
	v_mad_co_u64_u32 v[16:17], null, s27, v1, v[4:5]
	v_add_nc_u32_e32 v4, 1, v1
	s_delay_alu instid0(VALU_DEP_3) | instskip(SKIP_2) | instid1(VALU_DEP_4)
	v_dual_mov_b32 v10, v14 :: v_dual_and_b32 v15, 15, v15
	v_add_nc_u32_e32 v14, 3, v1
	v_lshl_add_u32 v2, v1, 7, 0x1000
	v_and_b32_e32 v4, 15, v4
	v_mov_b32_e32 v22, v16
	v_add_nc_u32_e32 v16, 5, v1
	v_and_b32_e32 v14, 15, v14
	v_lshl_or_b32 v53, v13, 3, v2
	v_lshl_or_b32 v52, v4, 3, v2
	v_add_nc_u32_e32 v13, 6, v1
	v_and_b32_e32 v4, 15, v16
	v_lshl_or_b32 v54, v14, 3, v2
	v_add_nc_u32_e32 v14, 7, v1
	v_lshl_or_b32 v55, v15, 3, v2
	v_and_b32_e32 v13, 15, v13
	v_lshl_or_b32 v56, v4, 3, v2
	v_add_nc_u32_e32 v4, 9, v1
	v_and_b32_e32 v14, 15, v14
	v_add_nc_u32_e32 v15, 10, v1
	v_lshl_or_b32 v57, v13, 3, v2
	v_add_nc_u32_e32 v13, 13, v1
	v_and_b32_e32 v4, 15, v4
	v_lshl_or_b32 v58, v14, 3, v2
	v_add_nc_u32_e32 v14, 14, v1
	v_lshl_or_b32 v59, v3, 3, v2
	v_add_nc_u32_e32 v3, 11, v1
	v_lshl_or_b32 v60, v4, 3, v2
	v_add_nc_u32_e32 v4, 12, v1
	v_add_nc_u32_e32 v1, -1, v1
	v_and_b32_e32 v15, 15, v15
	v_and_b32_e32 v13, 15, v13
	;; [unrolled: 1-line block ×6, first 2 shown]
	v_lshl_or_b32 v61, v15, 3, v2
	v_lshl_or_b32 v64, v13, 3, v2
	;; [unrolled: 1-line block ×3, first 2 shown]
	v_lshlrev_b64_e32 v[13:14], 3, v[5:6]
	v_lshlrev_b64_e32 v[15:16], 3, v[7:8]
	;; [unrolled: 1-line block ×5, first 2 shown]
	v_or_b32_e32 v51, v2, v23
	v_lshl_or_b32 v62, v3, 3, v2
	v_lshl_or_b32 v63, v4, 3, v2
	v_lshl_or_b32 v66, v1, 3, v2
	v_add_nc_u32_e32 v67, v23, v24
	s_mul_u64 s[36:37], s[20:21], s[38:39]
	s_mul_u64 s[38:39], s[26:27], s[38:39]
	s_mov_b32 s5, 0
	s_lshl_b64 s[18:19], s[20:21], 8
	s_lshl_b64 s[24:25], s[26:27], 8
	s_wait_alu 0xfffe
	s_mov_b32 s31, s5
	s_lshl_b64 s[36:37], s[36:37], 3
	s_lshl_b64 s[38:39], s[38:39], 3
	s_branch .LBB92_3
.LBB92_2:                               ;   in Loop: Header=BB92_3 Depth=1
	s_or_b32 exec_lo, exec_lo, s51
	s_add_co_i32 s4, s4, 0x10000
	s_wait_alu 0xfffe
	s_cmp_lt_u32 s4, s29
	s_cbranch_scc0 .LBB92_48
.LBB92_3:                               ; =>This Loop Header: Depth=1
                                        ;     Child Loop BB92_27 Depth 2
                                        ;       Child Loop BB92_33 Depth 3
                                        ;     Child Loop BB92_43 Depth 2
                                        ;     Child Loop BB92_47 Depth 2
	s_and_b32 vcc_lo, exec_lo, s48
	s_mov_b32 s40, -1
                                        ; implicit-def: $vgpr23_vgpr24
	s_wait_alu 0xfffe
	s_cbranch_vccz .LBB92_5
; %bb.4:                                ;   in Loop: Header=BB92_3 Depth=1
	ds_load_b64 v[1:2], v45
	s_mul_u64 s[40:41], s[6:7], s[4:5]
	s_wait_alu 0xfffe
	s_lshl_b64 s[40:41], s[40:41], 3
	s_wait_dscnt 0x0
	s_wait_alu 0xfffe
	v_add_co_u32 v1, vcc_lo, v1, s40
	s_wait_alu 0xfffd
	v_add_co_ci_u32_e64 v2, null, s41, v2, vcc_lo
	s_mov_b32 s40, 0
	flat_load_b64 v[23:24], v[1:2]
.LBB92_5:                               ;   in Loop: Header=BB92_3 Depth=1
	s_wait_alu 0xfffe
	s_and_not1_b32 vcc_lo, exec_lo, s40
	s_wait_alu 0xfffe
	s_cbranch_vccnz .LBB92_7
; %bb.6:                                ;   in Loop: Header=BB92_3 Depth=1
	s_wait_loadcnt_dscnt 0x0
	ds_load_b64 v[23:24], v45
.LBB92_7:                               ;   in Loop: Header=BB92_3 Depth=1
	s_mov_b32 s51, exec_lo
	s_wait_loadcnt_dscnt 0x0
	v_cmpx_neq_f64_e32 0, v[23:24]
	s_cbranch_execz .LBB92_2
; %bb.8:                                ;   in Loop: Header=BB92_3 Depth=1
	s_and_not1_b32 vcc_lo, exec_lo, s50
	s_wait_alu 0xfffe
	s_cbranch_vccnz .LBB92_2
; %bb.9:                                ;   in Loop: Header=BB92_3 Depth=1
	s_load_b32 s40, s[2:3], 0x4
	s_mov_b32 s43, s5
	s_wait_kmcnt 0x0
	s_cvt_f32_u32 s41, s40
	s_sub_co_i32 s42, 0, s40
	s_wait_alu 0xfffe
	s_delay_alu instid0(SALU_CYCLE_1) | instskip(NEXT) | instid1(TRANS32_DEP_1)
	v_rcp_iflag_f32_e32 v1, s41
	v_readfirstlane_b32 s41, v1
	s_mul_f32 s41, s41, 0x4f7ffffe
	s_wait_alu 0xfffe
	s_delay_alu instid0(SALU_CYCLE_2) | instskip(SKIP_1) | instid1(SALU_CYCLE_2)
	s_cvt_u32_f32 s41, s41
	s_wait_alu 0xfffe
	s_mul_i32 s42, s42, s41
	s_wait_alu 0xfffe
	s_mul_hi_u32 s42, s41, s42
	s_wait_alu 0xfffe
	s_add_co_i32 s42, s41, s42
	s_wait_alu 0xfffe
	s_mul_u64 s[42:43], s[30:31], s[42:43]
	s_wait_alu 0xfffe
	s_mul_i32 s41, s43, s40
	s_add_co_i32 s42, s43, 1
	s_wait_alu 0xfffe
	s_sub_co_i32 s41, s30, s41
	s_wait_alu 0xfffe
	s_sub_co_i32 s44, s41, s40
	s_cmp_ge_u32 s41, s40
	s_cselect_b32 s42, s42, s43
	s_wait_alu 0xfffe
	s_cselect_b32 s41, s44, s41
	s_add_co_i32 s43, s42, 1
	s_wait_alu 0xfffe
	s_cmp_ge_u32 s41, s40
	s_cselect_b32 s42, s43, s42
	s_add_co_i32 s41, s40, -1
	s_wait_alu 0xfffe
	s_mov_b32 s54, s42
	s_cmp_lg_u32 s33, s41
	s_cbranch_scc1 .LBB92_11
; %bb.10:                               ;   in Loop: Header=BB92_3 Depth=1
	s_mul_i32 s40, s42, s40
	s_wait_alu 0xfffe
	s_sub_co_i32 s40, s30, s40
	s_wait_alu 0xfffe
	s_add_co_i32 s54, s40, s42
.LBB92_11:                              ;   in Loop: Header=BB92_3 Depth=1
	s_delay_alu instid0(SALU_CYCLE_1)
	s_cmp_eq_u32 s54, 0
	s_cbranch_scc1 .LBB92_2
; %bb.12:                               ;   in Loop: Header=BB92_3 Depth=1
	s_load_b32 s52, s[2:3], 0x0
	s_mul_u64 s[40:41], s[22:23], s[4:5]
	s_mov_b32 s53, -1
	s_wait_alu 0xfffe
	s_lshl_b64 s[40:41], s[40:41], 3
	s_mov_b32 s43, -1
	s_wait_alu 0xfffe
	s_add_nc_u64 s[44:45], s[10:11], s[40:41]
	s_wait_alu 0xfffe
	s_add_nc_u64 s[40:41], s[44:45], s[36:37]
	s_wait_kmcnt 0x0
	s_add_co_i32 s52, s52, -1
	s_delay_alu instid0(SALU_CYCLE_1)
	s_cmp_lg_u32 s30, s52
	s_cbranch_scc0 .LBB92_16
; %bb.13:                               ;   in Loop: Header=BB92_3 Depth=1
	s_and_saveexec_b32 s43, s0
	s_cbranch_execz .LBB92_15
; %bb.14:                               ;   in Loop: Header=BB92_3 Depth=1
	s_wait_alu 0xfffe
	v_add_co_u32 v1, vcc_lo, s40, v13
	s_wait_alu 0xfffd
	v_add_co_ci_u32_e64 v2, null, s41, v14, vcc_lo
	global_load_b64 v[1:2], v[1:2], off
	s_wait_loadcnt 0x0
	ds_store_b64 v47, v[1:2]
.LBB92_15:                              ;   in Loop: Header=BB92_3 Depth=1
	s_wait_alu 0xfffe
	s_or_b32 exec_lo, exec_lo, s43
	s_mov_b32 s43, 0
.LBB92_16:                              ;   in Loop: Header=BB92_3 Depth=1
	s_wait_alu 0xfffe
	s_and_not1_b32 vcc_lo, exec_lo, s43
	s_wait_alu 0xfffe
	s_cbranch_vccnz .LBB92_22
; %bb.17:                               ;   in Loop: Header=BB92_3 Depth=1
	s_and_saveexec_b32 s43, s0
	s_cbranch_execz .LBB92_21
; %bb.18:                               ;   in Loop: Header=BB92_3 Depth=1
	v_mov_b32_e32 v1, 0
	v_mov_b32_e32 v2, 0
	s_and_saveexec_b32 s46, s1
	s_cbranch_execz .LBB92_20
; %bb.19:                               ;   in Loop: Header=BB92_3 Depth=1
	v_add_co_u32 v1, vcc_lo, s40, v13
	s_wait_alu 0xfffd
	v_add_co_ci_u32_e64 v2, null, s41, v14, vcc_lo
	global_load_b64 v[1:2], v[1:2], off
.LBB92_20:                              ;   in Loop: Header=BB92_3 Depth=1
	s_wait_alu 0xfffe
	s_or_b32 exec_lo, exec_lo, s46
	s_wait_loadcnt 0x0
	ds_store_b64 v47, v[1:2]
.LBB92_21:                              ;   in Loop: Header=BB92_3 Depth=1
	s_wait_alu 0xfffe
	s_or_b32 exec_lo, exec_lo, s43
	s_mov_b32 s40, s5
	s_mov_b32 s41, s5
	s_wait_alu 0xfffe
	v_dual_mov_b32 v1, s40 :: v_dual_mov_b32 v2, s41
	s_mov_b32 s53, s28
	ds_store_2addr_b64 v48, v[1:2], v[1:2] offset1:16
	ds_store_2addr_b64 v49, v[1:2], v[1:2] offset1:16
.LBB92_22:                              ;   in Loop: Header=BB92_3 Depth=1
	v_mov_b32_e32 v3, v0
	v_dual_mov_b32 v1, v0 :: v_dual_mov_b32 v2, v0
	s_mul_u64 s[40:41], s[14:15], s[4:5]
	s_mul_i32 s46, s49, s42
	s_wait_alu 0xfffe
	s_lshl_b64 s[40:41], s[40:41], 3
	s_ashr_i32 s47, s46, 31
	v_dual_mov_b32 v8, v3 :: v_dual_mov_b32 v7, v2
	v_dual_mov_b32 v6, v1 :: v_dual_mov_b32 v5, v0
	s_wait_alu 0xfffe
	s_add_nc_u64 s[40:41], s[8:9], s[40:41]
	s_lshl_b64 s[42:43], s[46:47], 3
	s_wait_dscnt 0x0
	s_wait_alu 0xfffe
	s_add_nc_u64 s[42:43], s[40:41], s[42:43]
	s_barrier_signal -1
	s_barrier_wait -1
	global_inv scope:SCOPE_SE
	s_and_saveexec_b32 s40, s53
	s_cbranch_execz .LBB92_24
; %bb.23:                               ;   in Loop: Header=BB92_3 Depth=1
	s_wait_alu 0xfffe
	v_add_co_u32 v1, vcc_lo, s42, v15
	s_wait_alu 0xfffd
	v_add_co_ci_u32_e64 v2, null, s43, v16, vcc_lo
	s_lshl_b64 s[56:57], s[12:13], 3
	s_wait_alu 0xfffe
	v_add_co_u32 v3, vcc_lo, v1, s56
	s_wait_alu 0xfffd
	v_add_co_ci_u32_e64 v4, null, s57, v2, vcc_lo
	s_clause 0x1
	global_load_b64 v[5:6], v[1:2], off
	global_load_b64 v[7:8], v[3:4], off
.LBB92_24:                              ;   in Loop: Header=BB92_3 Depth=1
	s_wait_alu 0xfffe
	s_or_b32 exec_lo, exec_lo, s40
	s_mul_u64 s[40:41], s[34:35], s[4:5]
	s_wait_alu 0xfffe
	s_lshl_b64 s[40:41], s[40:41], 3
	s_cmp_lt_i32 s54, 1
	s_wait_alu 0xfffe
	s_add_nc_u64 s[40:41], s[16:17], s[40:41]
	s_cbranch_scc1 .LBB92_37
; %bb.25:                               ;   in Loop: Header=BB92_3 Depth=1
	s_mul_u64 s[56:57], s[20:21], s[46:47]
	s_mul_u64 s[46:47], s[26:27], s[46:47]
	s_wait_alu 0xfffe
	s_lshl_b64 s[56:57], s[56:57], 3
	v_mov_b32_e32 v29, 0
	s_wait_alu 0xfffe
	s_add_nc_u64 s[44:45], s[44:45], s[56:57]
	v_mov_b32_e32 v30, 0
	s_wait_alu 0xfffe
	v_add_co_u32 v1, vcc_lo, s44, v17
	s_wait_alu 0xfffd
	v_add_co_ci_u32_e64 v2, null, s45, v18, vcc_lo
	s_lshl_b64 s[46:47], s[46:47], 3
	s_cmp_eq_u32 s54, 1
	s_wait_alu 0xfffe
	s_add_nc_u64 s[46:47], s[40:41], s[46:47]
	global_load_b64 v[37:38], v[1:2], off
	s_cbranch_scc1 .LBB92_38
; %bb.26:                               ;   in Loop: Header=BB92_3 Depth=1
	v_mov_b32_e32 v25, 0
	v_dual_mov_b32 v31, 0 :: v_dual_mov_b32 v26, 0
	v_dual_mov_b32 v27, 0 :: v_dual_mov_b32 v32, 0
	v_dual_mov_b32 v29, 0 :: v_dual_mov_b32 v28, 0
	s_wait_alu 0xfffe
	v_dual_mov_b32 v30, 0 :: v_dual_mov_b32 v33, s46
	v_mov_b32_e32 v34, s47
	s_add_co_i32 s46, s54, -2
	s_mov_b32 s47, 0
.LBB92_27:                              ;   Parent Loop BB92_3 Depth=1
                                        ; =>  This Loop Header: Depth=2
                                        ;       Child Loop BB92_33 Depth 3
	v_add_co_u32 v1, vcc_lo, s44, v19
	s_wait_alu 0xfffd
	v_add_co_ci_u32_e64 v2, null, s45, v20, vcc_lo
	global_load_b64 v[39:40], v[1:2], off
	s_and_saveexec_b32 s54, s53
	s_cbranch_execz .LBB92_29
; %bb.28:                               ;   in Loop: Header=BB92_27 Depth=2
	s_wait_alu 0xfffe
	v_add_co_u32 v1, vcc_lo, s42, v15
	s_wait_alu 0xfffd
	v_add_co_ci_u32_e64 v2, null, s43, v16, vcc_lo
	s_lshl_b64 s[56:57], s[12:13], 3
	s_wait_alu 0xfffe
	v_add_co_u32 v3, vcc_lo, v1, s56
	s_wait_alu 0xfffd
	v_add_co_ci_u32_e64 v4, null, s57, v2, vcc_lo
	s_clause 0x1
	global_load_b64 v[31:32], v[1:2], off offset:128
	global_load_b64 v[29:30], v[3:4], off offset:128
.LBB92_29:                              ;   in Loop: Header=BB92_27 Depth=2
	s_or_b32 exec_lo, exec_lo, s54
	ds_load_b128 v[9:12], v50
	s_wait_loadcnt 0x2
	v_dual_mov_b32 v1, v5 :: v_dual_mov_b32 v2, v6
	v_dual_mov_b32 v3, v7 :: v_dual_mov_b32 v4, v8
	s_and_saveexec_b32 s54, s53
	s_cbranch_execz .LBB92_31
; %bb.30:                               ;   in Loop: Header=BB92_27 Depth=2
	s_wait_alu 0xfffe
	v_add_co_u32 v1, vcc_lo, s42, v15
	s_wait_alu 0xfffd
	v_add_co_ci_u32_e64 v2, null, s43, v16, vcc_lo
	s_lshl_b64 s[56:57], s[12:13], 3
	s_wait_alu 0xfffe
	v_add_co_u32 v3, vcc_lo, v1, s56
	s_wait_alu 0xfffd
	v_add_co_ci_u32_e64 v4, null, s57, v2, vcc_lo
	s_clause 0x1
	global_load_b64 v[1:2], v[1:2], off offset:256
	global_load_b64 v[3:4], v[3:4], off offset:256
.LBB92_31:                              ;   in Loop: Header=BB92_27 Depth=2
	s_or_b32 exec_lo, exec_lo, s54
	s_add_nc_u64 s[44:45], s[44:45], s[18:19]
	s_wait_dscnt 0x0
	v_fma_f64 v[41:42], v[5:6], v[9:10], 0
	s_wait_alu 0xfffe
	v_add_co_u32 v35, vcc_lo, s44, v17
	s_wait_alu 0xfffd
	v_add_co_ci_u32_e64 v36, null, s45, v18, vcc_lo
	s_wait_loadcnt 0x1
	v_fma_f64 v[9:10], v[31:32], v[9:10], 0
	global_load_b64 v[35:36], v[35:36], off
	s_wait_loadcnt 0x0
	s_barrier_signal -1
	s_barrier_wait -1
	global_inv scope:SCOPE_SE
	v_fma_f64 v[41:42], v[7:8], v[11:12], v[41:42]
	v_fma_f64 v[9:10], v[29:30], v[11:12], v[9:10]
	ds_store_2addr_b64 v67, v[41:42], v[9:10] offset1:16
	s_wait_loadcnt_dscnt 0x0
	s_barrier_signal -1
	s_barrier_wait -1
	global_inv scope:SCOPE_SE
	s_and_saveexec_b32 s54, s0
	s_cbranch_execz .LBB92_35
; %bb.32:                               ;   in Loop: Header=BB92_27 Depth=2
	ds_load_2addr_b64 v[9:12], v46 offset1:32
	ds_load_2addr_b64 v[69:72], v68 offset0:64 offset1:96
	s_mov_b32 s55, 0
	s_wait_dscnt 0x1
	v_add_f64_e32 v[9:10], 0, v[9:10]
	s_delay_alu instid0(VALU_DEP_1) | instskip(SKIP_3) | instid1(VALU_DEP_1)
	v_add_f64_e32 v[41:42], v[9:10], v[11:12]
	ds_load_2addr_b64 v[9:12], v46 offset0:64 offset1:96
	s_wait_dscnt 0x0
	v_add_f64_e32 v[9:10], v[41:42], v[9:10]
	v_add_f64_e32 v[41:42], v[9:10], v[11:12]
	ds_load_2addr_b64 v[9:12], v46 offset0:128 offset1:160
	s_wait_dscnt 0x0
	v_add_f64_e32 v[9:10], v[41:42], v[9:10]
	s_delay_alu instid0(VALU_DEP_1)
	v_add_f64_e32 v[41:42], v[9:10], v[11:12]
	ds_load_2addr_b64 v[9:12], v46 offset0:192 offset1:224
	s_wait_dscnt 0x0
	v_add_f64_e32 v[9:10], v[41:42], v[9:10]
	ds_load_2addr_b64 v[41:44], v68 offset1:32
	v_add_f64_e32 v[9:10], v[9:10], v[11:12]
	s_wait_dscnt 0x0
	s_delay_alu instid0(VALU_DEP_1)
	v_add_f64_e32 v[9:10], v[9:10], v[41:42]
	v_add_co_u32 v41, vcc_lo, v33, v21
	s_wait_alu 0xfffd
	v_add_co_ci_u32_e64 v42, null, v34, v22, vcc_lo
	global_load_b64 v[11:12], v[41:42], off
	v_add_f64_e32 v[9:10], v[9:10], v[43:44]
	s_delay_alu instid0(VALU_DEP_1) | instskip(NEXT) | instid1(VALU_DEP_1)
	v_add_f64_e32 v[9:10], v[9:10], v[69:70]
	v_add_f64_e32 v[9:10], v[9:10], v[71:72]
	ds_load_2addr_b64 v[69:72], v68 offset0:128 offset1:160
	s_wait_dscnt 0x0
	v_add_f64_e32 v[9:10], v[9:10], v[69:70]
	s_delay_alu instid0(VALU_DEP_1) | instskip(SKIP_3) | instid1(VALU_DEP_1)
	v_add_f64_e32 v[9:10], v[9:10], v[71:72]
	ds_load_2addr_b64 v[69:72], v68 offset0:192 offset1:224
	s_wait_dscnt 0x0
	v_add_f64_e32 v[9:10], v[9:10], v[69:70]
	v_add_f64_e32 v[9:10], v[9:10], v[71:72]
	s_delay_alu instid0(VALU_DEP_1)
	v_mul_f64_e32 v[43:44], v[23:24], v[9:10]
.LBB92_33:                              ;   Parent Loop BB92_3 Depth=1
                                        ;     Parent Loop BB92_27 Depth=2
                                        ; =>    This Inner Loop Header: Depth=3
	s_wait_loadcnt 0x0
	s_delay_alu instid0(VALU_DEP_1)
	v_add_f64_e32 v[9:10], v[11:12], v[43:44]
	global_atomic_cmpswap_b64 v[9:10], v[41:42], v[9:12], off th:TH_ATOMIC_RETURN scope:SCOPE_DEV
	s_wait_loadcnt 0x0
	v_cmp_eq_u64_e32 vcc_lo, v[9:10], v[11:12]
	v_dual_mov_b32 v12, v10 :: v_dual_mov_b32 v11, v9
	s_or_b32 s55, vcc_lo, s55
	s_delay_alu instid0(SALU_CYCLE_1)
	s_and_not1_b32 exec_lo, exec_lo, s55
	s_cbranch_execnz .LBB92_33
; %bb.34:                               ;   in Loop: Header=BB92_27 Depth=2
	s_or_b32 exec_lo, exec_lo, s55
	v_add_co_u32 v33, vcc_lo, v33, s24
	s_wait_alu 0xfffd
	v_add_co_ci_u32_e64 v34, null, s25, v34, vcc_lo
.LBB92_35:                              ;   in Loop: Header=BB92_27 Depth=2
	s_or_b32 exec_lo, exec_lo, s54
	v_fma_f64 v[5:6], v[37:38], v[5:6], v[25:26]
	v_fma_f64 v[7:8], v[37:38], v[7:8], v[27:28]
	s_add_co_i32 s54, s47, 1
	s_cmp_eq_u32 s47, s46
	s_add_nc_u64 s[42:43], s[42:43], 0x100
	s_delay_alu instid0(VALU_DEP_2) | instskip(NEXT) | instid1(VALU_DEP_2)
	v_fma_f64 v[25:26], v[39:40], v[31:32], v[5:6]
	v_fma_f64 v[27:28], v[39:40], v[29:30], v[7:8]
	s_cbranch_scc1 .LBB92_39
; %bb.36:                               ;   in Loop: Header=BB92_27 Depth=2
	v_dual_mov_b32 v8, v4 :: v_dual_mov_b32 v7, v3
	v_dual_mov_b32 v38, v36 :: v_dual_mov_b32 v37, v35
	;; [unrolled: 1-line block ×3, first 2 shown]
	s_mov_b32 s47, s54
	s_branch .LBB92_27
.LBB92_37:                              ;   in Loop: Header=BB92_3 Depth=1
	v_mov_b32_e32 v1, 0
	v_dual_mov_b32 v2, 0 :: v_dual_mov_b32 v3, 0
	v_mov_b32_e32 v4, 0
	s_branch .LBB92_45
.LBB92_38:                              ;   in Loop: Header=BB92_3 Depth=1
	v_mov_b32_e32 v31, 0
	v_dual_mov_b32 v25, 0 :: v_dual_mov_b32 v32, 0
	v_dual_mov_b32 v27, 0 :: v_dual_mov_b32 v26, 0
	s_wait_loadcnt 0x1
	v_mov_b32_e32 v1, v5
	s_wait_alu 0xfffe
	v_dual_mov_b32 v33, s46 :: v_dual_mov_b32 v34, s47
	v_mov_b32_e32 v28, 0
	v_dual_mov_b32 v2, v6 :: v_dual_mov_b32 v3, v7
	s_wait_loadcnt 0x0
	v_dual_mov_b32 v4, v8 :: v_dual_mov_b32 v35, v37
	v_mov_b32_e32 v36, v38
.LBB92_39:                              ;   in Loop: Header=BB92_3 Depth=1
	v_add_co_u32 v5, vcc_lo, s44, v19
	s_wait_alu 0xfffd
	v_add_co_ci_u32_e64 v6, null, s45, v20, vcc_lo
	global_load_b64 v[9:10], v[5:6], off
	s_and_saveexec_b32 s44, s53
	s_cbranch_execz .LBB92_41
; %bb.40:                               ;   in Loop: Header=BB92_3 Depth=1
	s_wait_alu 0xfffe
	v_add_co_u32 v5, vcc_lo, s42, v15
	s_wait_alu 0xfffd
	v_add_co_ci_u32_e64 v6, null, s43, v16, vcc_lo
	s_lshl_b64 s[42:43], s[12:13], 3
	s_wait_alu 0xfffe
	v_add_co_u32 v7, vcc_lo, v5, s42
	s_wait_alu 0xfffd
	v_add_co_ci_u32_e64 v8, null, s43, v6, vcc_lo
	s_clause 0x1
	global_load_b64 v[31:32], v[5:6], off offset:128
	global_load_b64 v[29:30], v[7:8], off offset:128
.LBB92_41:                              ;   in Loop: Header=BB92_3 Depth=1
	s_wait_alu 0xfffe
	s_or_b32 exec_lo, exec_lo, s44
	ds_load_b128 v[5:8], v50
	s_wait_loadcnt_dscnt 0x0
	s_barrier_signal -1
	s_barrier_wait -1
	global_inv scope:SCOPE_SE
	v_fma_f64 v[11:12], v[1:2], v[5:6], 0
	v_fma_f64 v[5:6], v[31:32], v[5:6], 0
	s_delay_alu instid0(VALU_DEP_2) | instskip(NEXT) | instid1(VALU_DEP_2)
	v_fma_f64 v[11:12], v[3:4], v[7:8], v[11:12]
	v_fma_f64 v[5:6], v[29:30], v[7:8], v[5:6]
	ds_store_2addr_b64 v67, v[11:12], v[5:6] offset1:16
	s_wait_loadcnt_dscnt 0x0
	s_barrier_signal -1
	s_barrier_wait -1
	global_inv scope:SCOPE_SE
	s_and_saveexec_b32 s42, s0
	s_cbranch_execz .LBB92_44
; %bb.42:                               ;   in Loop: Header=BB92_3 Depth=1
	ds_load_2addr_b64 v[5:8], v46 offset1:32
	ds_load_2addr_b64 v[37:40], v68 offset1:32
	s_mov_b32 s43, 0
	s_wait_dscnt 0x1
	v_add_f64_e32 v[5:6], 0, v[5:6]
	s_delay_alu instid0(VALU_DEP_1) | instskip(SKIP_3) | instid1(VALU_DEP_1)
	v_add_f64_e32 v[11:12], v[5:6], v[7:8]
	ds_load_2addr_b64 v[5:8], v46 offset0:64 offset1:96
	s_wait_dscnt 0x0
	v_add_f64_e32 v[5:6], v[11:12], v[5:6]
	v_add_f64_e32 v[11:12], v[5:6], v[7:8]
	ds_load_2addr_b64 v[5:8], v46 offset0:128 offset1:160
	s_wait_dscnt 0x0
	v_add_f64_e32 v[5:6], v[11:12], v[5:6]
	s_delay_alu instid0(VALU_DEP_1)
	v_add_f64_e32 v[11:12], v[5:6], v[7:8]
	ds_load_2addr_b64 v[5:8], v46 offset0:192 offset1:224
	s_wait_dscnt 0x0
	v_add_f64_e32 v[5:6], v[11:12], v[5:6]
	v_add_co_u32 v11, vcc_lo, v33, v21
	s_wait_alu 0xfffd
	v_add_co_ci_u32_e64 v12, null, v34, v22, vcc_lo
	s_delay_alu instid0(VALU_DEP_3) | instskip(SKIP_2) | instid1(VALU_DEP_1)
	v_add_f64_e32 v[5:6], v[5:6], v[7:8]
	global_load_b64 v[7:8], v[11:12], off
	v_add_f64_e32 v[5:6], v[5:6], v[37:38]
	v_add_f64_e32 v[5:6], v[5:6], v[39:40]
	ds_load_2addr_b64 v[37:40], v68 offset0:64 offset1:96
	s_wait_dscnt 0x0
	v_add_f64_e32 v[5:6], v[5:6], v[37:38]
	s_delay_alu instid0(VALU_DEP_1) | instskip(SKIP_3) | instid1(VALU_DEP_1)
	v_add_f64_e32 v[5:6], v[5:6], v[39:40]
	ds_load_2addr_b64 v[37:40], v68 offset0:128 offset1:160
	s_wait_dscnt 0x0
	v_add_f64_e32 v[5:6], v[5:6], v[37:38]
	v_add_f64_e32 v[5:6], v[5:6], v[39:40]
	ds_load_2addr_b64 v[37:40], v68 offset0:192 offset1:224
	s_wait_dscnt 0x0
	v_add_f64_e32 v[5:6], v[5:6], v[37:38]
	s_delay_alu instid0(VALU_DEP_1) | instskip(NEXT) | instid1(VALU_DEP_1)
	v_add_f64_e32 v[5:6], v[5:6], v[39:40]
	v_mul_f64_e32 v[33:34], v[23:24], v[5:6]
.LBB92_43:                              ;   Parent Loop BB92_3 Depth=1
                                        ; =>  This Inner Loop Header: Depth=2
	s_wait_loadcnt 0x0
	s_delay_alu instid0(VALU_DEP_1)
	v_add_f64_e32 v[5:6], v[7:8], v[33:34]
	global_atomic_cmpswap_b64 v[5:6], v[11:12], v[5:8], off th:TH_ATOMIC_RETURN scope:SCOPE_DEV
	s_wait_loadcnt 0x0
	v_cmp_eq_u64_e32 vcc_lo, v[5:6], v[7:8]
	v_dual_mov_b32 v8, v6 :: v_dual_mov_b32 v7, v5
	s_wait_alu 0xfffe
	s_or_b32 s43, vcc_lo, s43
	s_wait_alu 0xfffe
	s_and_not1_b32 exec_lo, exec_lo, s43
	s_cbranch_execnz .LBB92_43
.LBB92_44:                              ;   in Loop: Header=BB92_3 Depth=1
	s_wait_alu 0xfffe
	s_or_b32 exec_lo, exec_lo, s42
	v_fma_f64 v[1:2], v[35:36], v[1:2], v[25:26]
	v_fma_f64 v[5:6], v[35:36], v[3:4], v[27:28]
	s_delay_alu instid0(VALU_DEP_2) | instskip(NEXT) | instid1(VALU_DEP_2)
	v_fma_f64 v[3:4], v[9:10], v[31:32], v[1:2]
	v_fma_f64 v[1:2], v[9:10], v[29:30], v[5:6]
.LBB92_45:                              ;   in Loop: Header=BB92_3 Depth=1
	s_cmp_lt_u32 s30, s52
	ds_store_2addr_b64 v49, v[3:4], v[1:2] offset1:16
	s_cselect_b32 s42, -1, 0
	s_wait_loadcnt_dscnt 0x0
	s_wait_alu 0xfffe
	s_or_b32 s42, s1, s42
	s_barrier_signal -1
	s_wait_alu 0xfffe
	s_and_b32 s42, s0, s42
	s_barrier_wait -1
	global_inv scope:SCOPE_SE
	s_wait_alu 0xfffe
	s_and_b32 exec_lo, exec_lo, s42
	s_cbranch_execz .LBB92_2
; %bb.46:                               ;   in Loop: Header=BB92_3 Depth=1
	ds_load_b64 v[1:2], v51
	ds_load_b64 v[3:4], v52
	;; [unrolled: 1-line block ×4, first 2 shown]
	s_add_nc_u64 s[40:41], s[40:41], s[38:39]
	s_wait_dscnt 0x3
	v_add_f64_e32 v[1:2], 0, v[1:2]
	s_wait_dscnt 0x2
	s_delay_alu instid0(VALU_DEP_1) | instskip(SKIP_1) | instid1(VALU_DEP_1)
	v_add_f64_e32 v[1:2], v[1:2], v[3:4]
	s_wait_dscnt 0x1
	v_add_f64_e32 v[1:2], v[1:2], v[5:6]
	s_wait_dscnt 0x0
	s_delay_alu instid0(VALU_DEP_1)
	v_add_f64_e32 v[1:2], v[1:2], v[7:8]
	ds_load_b64 v[3:4], v55
	ds_load_b64 v[5:6], v56
	;; [unrolled: 1-line block ×4, first 2 shown]
	s_wait_dscnt 0x3
	v_add_f64_e32 v[1:2], v[1:2], v[3:4]
	s_wait_dscnt 0x2
	s_delay_alu instid0(VALU_DEP_1)
	v_add_f64_e32 v[1:2], v[1:2], v[5:6]
	s_wait_alu 0xfffe
	v_add_co_u32 v5, vcc_lo, s40, v21
	s_wait_alu 0xfffd
	v_add_co_ci_u32_e64 v6, null, s41, v22, vcc_lo
	s_mov_b32 s40, 0
	s_wait_dscnt 0x1
	v_add_f64_e32 v[1:2], v[1:2], v[7:8]
	s_wait_dscnt 0x0
	s_delay_alu instid0(VALU_DEP_1)
	v_add_f64_e32 v[1:2], v[1:2], v[9:10]
	ds_load_b64 v[3:4], v59
	ds_load_b64 v[7:8], v60
	;; [unrolled: 1-line block ×4, first 2 shown]
	s_wait_dscnt 0x3
	v_add_f64_e32 v[1:2], v[1:2], v[3:4]
	global_load_b64 v[3:4], v[5:6], off
	s_wait_dscnt 0x2
	v_add_f64_e32 v[1:2], v[1:2], v[7:8]
	s_wait_dscnt 0x1
	s_delay_alu instid0(VALU_DEP_1) | instskip(SKIP_1) | instid1(VALU_DEP_1)
	v_add_f64_e32 v[1:2], v[1:2], v[9:10]
	s_wait_dscnt 0x0
	v_add_f64_e32 v[1:2], v[1:2], v[11:12]
	ds_load_b64 v[7:8], v63
	ds_load_b64 v[9:10], v64
	;; [unrolled: 1-line block ×4, first 2 shown]
	s_wait_dscnt 0x3
	v_add_f64_e32 v[1:2], v[1:2], v[7:8]
	s_wait_dscnt 0x2
	s_delay_alu instid0(VALU_DEP_1) | instskip(SKIP_1) | instid1(VALU_DEP_1)
	v_add_f64_e32 v[1:2], v[1:2], v[9:10]
	s_wait_dscnt 0x1
	v_add_f64_e32 v[1:2], v[1:2], v[11:12]
	s_wait_dscnt 0x0
	s_delay_alu instid0(VALU_DEP_1) | instskip(NEXT) | instid1(VALU_DEP_1)
	v_add_f64_e32 v[1:2], v[1:2], v[25:26]
	v_mul_f64_e32 v[7:8], v[23:24], v[1:2]
.LBB92_47:                              ;   Parent Loop BB92_3 Depth=1
                                        ; =>  This Inner Loop Header: Depth=2
	s_wait_loadcnt 0x0
	s_delay_alu instid0(VALU_DEP_1)
	v_add_f64_e32 v[1:2], v[3:4], v[7:8]
	global_atomic_cmpswap_b64 v[1:2], v[5:6], v[1:4], off th:TH_ATOMIC_RETURN scope:SCOPE_DEV
	s_wait_loadcnt 0x0
	v_cmp_eq_u64_e32 vcc_lo, v[1:2], v[3:4]
	v_dual_mov_b32 v4, v2 :: v_dual_mov_b32 v3, v1
	s_wait_alu 0xfffe
	s_or_b32 s40, vcc_lo, s40
	s_wait_alu 0xfffe
	s_and_not1_b32 exec_lo, exec_lo, s40
	s_cbranch_execnz .LBB92_47
	s_branch .LBB92_2
.LBB92_48:
	s_endpgm
	.section	.rodata,"a",@progbits
	.p2align	6, 0x0
	.amdhsa_kernel _ZL62rocblas_symv_kernel_upper_double_buffered_non_diagonal_genericILi32ELi8ELi2ELi0E24rocblas_internal_val_ptrIdEPKdPdEvbiT3_lT4_lllS6_lllT5_lllii
		.amdhsa_group_segment_fixed_size 10496
		.amdhsa_private_segment_fixed_size 0
		.amdhsa_kernarg_size 384
		.amdhsa_user_sgpr_count 4
		.amdhsa_user_sgpr_dispatch_ptr 1
		.amdhsa_user_sgpr_queue_ptr 0
		.amdhsa_user_sgpr_kernarg_segment_ptr 1
		.amdhsa_user_sgpr_dispatch_id 0
		.amdhsa_user_sgpr_private_segment_size 0
		.amdhsa_wavefront_size32 1
		.amdhsa_uses_dynamic_stack 0
		.amdhsa_enable_private_segment 0
		.amdhsa_system_sgpr_workgroup_id_x 1
		.amdhsa_system_sgpr_workgroup_id_y 1
		.amdhsa_system_sgpr_workgroup_id_z 1
		.amdhsa_system_sgpr_workgroup_info 0
		.amdhsa_system_vgpr_workitem_id 2
		.amdhsa_next_free_vgpr 73
		.amdhsa_next_free_sgpr 58
		.amdhsa_reserve_vcc 1
		.amdhsa_float_round_mode_32 0
		.amdhsa_float_round_mode_16_64 0
		.amdhsa_float_denorm_mode_32 3
		.amdhsa_float_denorm_mode_16_64 3
		.amdhsa_fp16_overflow 0
		.amdhsa_workgroup_processor_mode 1
		.amdhsa_memory_ordered 1
		.amdhsa_forward_progress 1
		.amdhsa_inst_pref_size 30
		.amdhsa_round_robin_scheduling 0
		.amdhsa_exception_fp_ieee_invalid_op 0
		.amdhsa_exception_fp_denorm_src 0
		.amdhsa_exception_fp_ieee_div_zero 0
		.amdhsa_exception_fp_ieee_overflow 0
		.amdhsa_exception_fp_ieee_underflow 0
		.amdhsa_exception_fp_ieee_inexact 0
		.amdhsa_exception_int_div_zero 0
	.end_amdhsa_kernel
	.section	.text._ZL62rocblas_symv_kernel_upper_double_buffered_non_diagonal_genericILi32ELi8ELi2ELi0E24rocblas_internal_val_ptrIdEPKdPdEvbiT3_lT4_lllS6_lllT5_lllii,"axG",@progbits,_ZL62rocblas_symv_kernel_upper_double_buffered_non_diagonal_genericILi32ELi8ELi2ELi0E24rocblas_internal_val_ptrIdEPKdPdEvbiT3_lT4_lllS6_lllT5_lllii,comdat
.Lfunc_end92:
	.size	_ZL62rocblas_symv_kernel_upper_double_buffered_non_diagonal_genericILi32ELi8ELi2ELi0E24rocblas_internal_val_ptrIdEPKdPdEvbiT3_lT4_lllS6_lllT5_lllii, .Lfunc_end92-_ZL62rocblas_symv_kernel_upper_double_buffered_non_diagonal_genericILi32ELi8ELi2ELi0E24rocblas_internal_val_ptrIdEPKdPdEvbiT3_lT4_lllS6_lllT5_lllii
                                        ; -- End function
	.set _ZL62rocblas_symv_kernel_upper_double_buffered_non_diagonal_genericILi32ELi8ELi2ELi0E24rocblas_internal_val_ptrIdEPKdPdEvbiT3_lT4_lllS6_lllT5_lllii.num_vgpr, 73
	.set _ZL62rocblas_symv_kernel_upper_double_buffered_non_diagonal_genericILi32ELi8ELi2ELi0E24rocblas_internal_val_ptrIdEPKdPdEvbiT3_lT4_lllS6_lllT5_lllii.num_agpr, 0
	.set _ZL62rocblas_symv_kernel_upper_double_buffered_non_diagonal_genericILi32ELi8ELi2ELi0E24rocblas_internal_val_ptrIdEPKdPdEvbiT3_lT4_lllS6_lllT5_lllii.numbered_sgpr, 58
	.set _ZL62rocblas_symv_kernel_upper_double_buffered_non_diagonal_genericILi32ELi8ELi2ELi0E24rocblas_internal_val_ptrIdEPKdPdEvbiT3_lT4_lllS6_lllT5_lllii.num_named_barrier, 0
	.set _ZL62rocblas_symv_kernel_upper_double_buffered_non_diagonal_genericILi32ELi8ELi2ELi0E24rocblas_internal_val_ptrIdEPKdPdEvbiT3_lT4_lllS6_lllT5_lllii.private_seg_size, 0
	.set _ZL62rocblas_symv_kernel_upper_double_buffered_non_diagonal_genericILi32ELi8ELi2ELi0E24rocblas_internal_val_ptrIdEPKdPdEvbiT3_lT4_lllS6_lllT5_lllii.uses_vcc, 1
	.set _ZL62rocblas_symv_kernel_upper_double_buffered_non_diagonal_genericILi32ELi8ELi2ELi0E24rocblas_internal_val_ptrIdEPKdPdEvbiT3_lT4_lllS6_lllT5_lllii.uses_flat_scratch, 0
	.set _ZL62rocblas_symv_kernel_upper_double_buffered_non_diagonal_genericILi32ELi8ELi2ELi0E24rocblas_internal_val_ptrIdEPKdPdEvbiT3_lT4_lllS6_lllT5_lllii.has_dyn_sized_stack, 0
	.set _ZL62rocblas_symv_kernel_upper_double_buffered_non_diagonal_genericILi32ELi8ELi2ELi0E24rocblas_internal_val_ptrIdEPKdPdEvbiT3_lT4_lllS6_lllT5_lllii.has_recursion, 0
	.set _ZL62rocblas_symv_kernel_upper_double_buffered_non_diagonal_genericILi32ELi8ELi2ELi0E24rocblas_internal_val_ptrIdEPKdPdEvbiT3_lT4_lllS6_lllT5_lllii.has_indirect_call, 0
	.section	.AMDGPU.csdata,"",@progbits
; Kernel info:
; codeLenInByte = 3740
; TotalNumSgprs: 60
; NumVgprs: 73
; ScratchSize: 0
; MemoryBound: 1
; FloatMode: 240
; IeeeMode: 1
; LDSByteSize: 10496 bytes/workgroup (compile time only)
; SGPRBlocks: 0
; VGPRBlocks: 9
; NumSGPRsForWavesPerEU: 60
; NumVGPRsForWavesPerEU: 73
; Occupancy: 16
; WaveLimiterHint : 1
; COMPUTE_PGM_RSRC2:SCRATCH_EN: 0
; COMPUTE_PGM_RSRC2:USER_SGPR: 4
; COMPUTE_PGM_RSRC2:TRAP_HANDLER: 0
; COMPUTE_PGM_RSRC2:TGID_X_EN: 1
; COMPUTE_PGM_RSRC2:TGID_Y_EN: 1
; COMPUTE_PGM_RSRC2:TGID_Z_EN: 1
; COMPUTE_PGM_RSRC2:TIDIG_COMP_CNT: 2
	.section	.text._ZL62rocblas_symv_kernel_upper_double_buffered_non_diagonal_genericILi32ELi8ELi2ELi1E24rocblas_internal_val_ptrIdEPKdPdEvbiT3_lT4_lllS6_lllT5_lllii,"axG",@progbits,_ZL62rocblas_symv_kernel_upper_double_buffered_non_diagonal_genericILi32ELi8ELi2ELi1E24rocblas_internal_val_ptrIdEPKdPdEvbiT3_lT4_lllS6_lllT5_lllii,comdat
	.globl	_ZL62rocblas_symv_kernel_upper_double_buffered_non_diagonal_genericILi32ELi8ELi2ELi1E24rocblas_internal_val_ptrIdEPKdPdEvbiT3_lT4_lllS6_lllT5_lllii ; -- Begin function _ZL62rocblas_symv_kernel_upper_double_buffered_non_diagonal_genericILi32ELi8ELi2ELi1E24rocblas_internal_val_ptrIdEPKdPdEvbiT3_lT4_lllS6_lllT5_lllii
	.p2align	8
	.type	_ZL62rocblas_symv_kernel_upper_double_buffered_non_diagonal_genericILi32ELi8ELi2ELi1E24rocblas_internal_val_ptrIdEPKdPdEvbiT3_lT4_lllS6_lllT5_lllii,@function
_ZL62rocblas_symv_kernel_upper_double_buffered_non_diagonal_genericILi32ELi8ELi2ELi1E24rocblas_internal_val_ptrIdEPKdPdEvbiT3_lT4_lllS6_lllT5_lllii: ; @_ZL62rocblas_symv_kernel_upper_double_buffered_non_diagonal_genericILi32ELi8ELi2ELi1E24rocblas_internal_val_ptrIdEPKdPdEvbiT3_lT4_lllS6_lllT5_lllii
; %bb.0:
	s_load_b64 s[0:1], s[0:1], 0x4
	s_load_b512 s[4:19], s[2:3], 0x8
	v_and_b32_e32 v1, 0x3ff, v0
	s_load_b64 s[28:29], s[2:3], 0x78
	v_bfe_u32 v2, v0, 10, 10
	v_bfe_u32 v0, v0, 20, 10
	s_wait_kmcnt 0x0
	s_lshr_b32 s0, s0, 16
	v_mov_b32_e32 v4, s5
	s_mul_i32 s0, s0, s1
	s_delay_alu instid0(SALU_CYCLE_1) | instskip(NEXT) | instid1(VALU_DEP_1)
	v_mul_lo_u32 v3, s0, v1
	v_mad_u32_u24 v5, v2, s1, v3
	v_mov_b32_e32 v3, s4
	s_lshr_b32 s4, ttmp7, 16
	s_wait_alu 0xfffe
	s_cmp_ge_u32 s4, s29
	v_add_lshl_u32 v0, v5, v0, 3
	ds_store_b64 v0, v[3:4] offset:8448
	s_cbranch_scc1 .LBB93_80
; %bb.1:
	s_clause 0x3
	s_load_b32 s5, s[2:3], 0x0
	s_load_b128 s[20:23], s[2:3], 0x48
	s_load_b128 s[24:27], s[2:3], 0x60
	s_load_b64 s[0:1], s[2:3], 0x58
	v_lshl_add_u32 v19, v2, 5, v1
	v_and_b32_e32 v3, 15, v1
	s_load_b64 s[34:35], s[2:3], 0x70
	s_add_nc_u64 s[36:37], s[2:3], 0x80
	v_lshlrev_b32_e32 v46, 3, v1
	v_lshrrev_b32_e32 v20, 4, v19
	s_mov_b32 s30, ttmp9
	s_delay_alu instid0(VALU_DEP_2)
	v_or_b32_e32 v47, 0x2000, v46
	s_wait_kmcnt 0x0
	s_bitcmp1_b32 s5, 0
	v_mad_co_u64_u32 v[5:6], null, s20, v1, 0
	v_add_nc_u32_e32 v45, 0x2100, v0
	s_cselect_b32 s5, -1, 0
	s_lshl_b32 s40, ttmp9, 5
	s_lshl_b64 s[2:3], s[18:19], 3
	s_ashr_i32 s41, s40, 31
	s_lshl_b64 s[18:19], s[24:25], 3
	s_delay_alu instid0(VALU_DEP_2)
	v_mov_b32_e32 v0, v6
	s_lshl_b64 s[24:25], s[10:11], 3
	s_and_b32 s33, ttmp7, 0xffff
	s_add_nc_u64 s[10:11], s[16:17], s[2:3]
	s_mul_u64 s[2:3], s[12:13], s[40:41]
	v_mad_co_u64_u32 v[6:7], null, s21, v1, v[0:1]
	v_dual_mov_b32 v0, 0 :: v_dual_lshlrev_b32 v15, 1, v20
	s_wait_alu 0xfffe
	s_xor_b32 s50, s5, -1
	s_lshl_b32 s51, s33, 5
	s_lshl_b64 s[2:3], s[2:3], 3
	v_mov_b32_e32 v4, v0
	s_add_nc_u64 s[16:17], s[0:1], s[18:19]
	s_add_nc_u64 s[0:1], s[8:9], s[24:25]
	s_wait_alu 0xfffe
	s_cmp_lg_u32 ttmp9, 0
	v_mad_co_u64_u32 v[9:10], null, s20, v3, 0
	v_mad_co_u64_u32 v[7:8], null, s12, v15, v[3:4]
	s_add_nc_u64 s[8:9], s[0:1], s[2:3]
	s_cselect_b32 s52, -1, 0
	s_lshr_b32 s0, s28, 31
	v_or_b32_e32 v18, 16, v3
	s_wait_alu 0xfffe
	s_add_co_i32 s0, s28, s0
	v_lshlrev_b32_e32 v48, 3, v3
	s_wait_alu 0xfffe
	s_ashr_i32 s3, s0, 1
	v_cmp_eq_u32_e64 s0, 0, v2
	v_dual_mov_b32 v2, v8 :: v_dual_lshlrev_b32 v49, 8, v20
	v_mad_co_u64_u32 v[13:14], null, s26, v1, 0
	v_mad_co_u64_u32 v[11:12], null, s20, v18, 0
	v_or_b32_e32 v17, 0x1000, v48
	v_mov_b32_e32 v4, v10
	v_mad_co_u64_u32 v[15:16], null, s13, v15, v[2:3]
	v_cmp_gt_i32_e64 s1, s28, v1
	s_delay_alu instid0(VALU_DEP_4) | instskip(NEXT) | instid1(VALU_DEP_4)
	v_add_nc_u32_e32 v51, v17, v49
	v_mad_co_u64_u32 v[16:17], null, s21, v3, v[4:5]
	v_mov_b32_e32 v4, v14
	v_mov_b32_e32 v2, v12
	;; [unrolled: 1-line block ×3, first 2 shown]
	v_cmp_le_i32_e64 s2, s3, v20
	v_cmp_eq_u32_e64 s3, s3, v20
	v_mad_co_u64_u32 v[14:15], null, s27, v1, v[4:5]
	v_add_nc_u32_e32 v15, 2, v1
	v_mad_co_u64_u32 v[17:18], null, s21, v18, v[2:3]
	v_and_b32_e32 v2, 0xfff0, v19
	v_add_nc_u32_e32 v4, 1, v1
	v_add_nc_u32_e32 v18, 5, v1
	v_and_b32_e32 v15, 15, v15
	v_xor_b32_e32 v3, 8, v3
	v_add_nc_u32_e32 v52, 0x2000, v2
	v_dual_mov_b32 v12, v17 :: v_dual_add_nc_u32 v17, 4, v1
	v_mov_b32_e32 v10, v16
	v_add_nc_u32_e32 v16, 3, v1
	v_lshl_add_u32 v2, v1, 7, 0x1000
	v_and_b32_e32 v4, 15, v4
	v_and_b32_e32 v17, 15, v17
	v_lshlrev_b64_e32 v[19:20], 3, v[9:10]
	v_and_b32_e32 v16, 15, v16
	v_lshl_or_b32 v55, v15, 3, v2
	v_lshl_or_b32 v54, v4, 3, v2
	v_and_b32_e32 v4, 15, v18
	v_add_nc_u32_e32 v15, 6, v1
	v_lshl_or_b32 v56, v16, 3, v2
	v_add_nc_u32_e32 v16, 7, v1
	v_lshl_or_b32 v57, v17, 3, v2
	v_lshl_or_b32 v58, v4, 3, v2
	v_add_nc_u32_e32 v4, 9, v1
	v_and_b32_e32 v15, 15, v15
	v_and_b32_e32 v16, 15, v16
	v_add_nc_u32_e32 v17, 10, v1
	v_lshl_or_b32 v61, v3, 3, v2
	v_and_b32_e32 v4, 15, v4
	v_lshl_or_b32 v59, v15, 3, v2
	v_lshl_or_b32 v60, v16, 3, v2
	v_add_nc_u32_e32 v15, 13, v1
	v_add_nc_u32_e32 v16, 14, v1
	v_lshl_or_b32 v62, v4, 3, v2
	v_add_nc_u32_e32 v3, 11, v1
	v_add_nc_u32_e32 v4, 12, v1
	v_add_nc_u32_e32 v1, -1, v1
	v_and_b32_e32 v17, 15, v17
	v_and_b32_e32 v15, 15, v15
	;; [unrolled: 1-line block ×6, first 2 shown]
	v_lshl_or_b32 v63, v17, 3, v2
	v_lshl_or_b32 v66, v15, 3, v2
	;; [unrolled: 1-line block ×3, first 2 shown]
	v_lshlrev_b64_e32 v[15:16], 3, v[5:6]
	v_lshlrev_b64_e32 v[17:18], 3, v[7:8]
	;; [unrolled: 1-line block ×3, first 2 shown]
	v_or_b32_e32 v50, v48, v49
	v_or_b32_e32 v53, v2, v48
	v_lshl_or_b32 v64, v3, 3, v2
	v_lshl_or_b32 v65, v4, 3, v2
	;; [unrolled: 1-line block ×3, first 2 shown]
	s_mul_u64 s[38:39], s[20:21], s[40:41]
	s_mul_u64 s[40:41], s[26:27], s[40:41]
	s_mov_b32 s5, 0
	s_lshl_b64 s[18:19], s[20:21], 8
	s_lshl_b64 s[24:25], s[26:27], 8
	s_wait_alu 0xfffe
	s_mov_b32 s31, s5
	s_lshl_b64 s[38:39], s[38:39], 3
	s_lshl_b64 s[40:41], s[40:41], 3
	s_branch .LBB93_3
.LBB93_2:                               ;   in Loop: Header=BB93_3 Depth=1
	s_wait_alu 0xfffe
	s_or_b32 exec_lo, exec_lo, s28
	s_add_co_i32 s4, s4, 0x10000
	s_wait_alu 0xfffe
	s_cmp_lt_u32 s4, s29
	s_cbranch_scc0 .LBB93_80
.LBB93_3:                               ; =>This Loop Header: Depth=1
                                        ;     Child Loop BB93_35 Depth 2
                                        ;       Child Loop BB93_57 Depth 3
                                        ;     Child Loop BB93_75 Depth 2
                                        ;     Child Loop BB93_79 Depth 2
	s_and_b32 vcc_lo, exec_lo, s50
	s_mov_b32 s28, -1
                                        ; implicit-def: $vgpr23_vgpr24
	s_wait_alu 0xfffe
	s_cbranch_vccz .LBB93_5
; %bb.4:                                ;   in Loop: Header=BB93_3 Depth=1
	ds_load_b64 v[1:2], v45
	s_mul_u64 s[42:43], s[6:7], s[4:5]
	s_mov_b32 s28, 0
	s_wait_alu 0xfffe
	s_lshl_b64 s[42:43], s[42:43], 3
	s_wait_dscnt 0x0
	s_wait_alu 0xfffe
	v_add_co_u32 v1, vcc_lo, v1, s42
	s_wait_alu 0xfffd
	v_add_co_ci_u32_e64 v2, null, s43, v2, vcc_lo
	flat_load_b64 v[23:24], v[1:2]
.LBB93_5:                               ;   in Loop: Header=BB93_3 Depth=1
	s_wait_alu 0xfffe
	s_and_not1_b32 vcc_lo, exec_lo, s28
	s_wait_alu 0xfffe
	s_cbranch_vccnz .LBB93_7
; %bb.6:                                ;   in Loop: Header=BB93_3 Depth=1
	s_wait_loadcnt_dscnt 0x0
	ds_load_b64 v[23:24], v45
.LBB93_7:                               ;   in Loop: Header=BB93_3 Depth=1
	s_mov_b32 s28, exec_lo
	s_wait_loadcnt_dscnt 0x0
	v_cmpx_neq_f64_e32 0, v[23:24]
	s_cbranch_execz .LBB93_2
; %bb.8:                                ;   in Loop: Header=BB93_3 Depth=1
	s_and_not1_b32 vcc_lo, exec_lo, s52
	s_wait_alu 0xfffe
	s_cbranch_vccnz .LBB93_2
; %bb.9:                                ;   in Loop: Header=BB93_3 Depth=1
	s_load_b32 s42, s[36:37], 0x4
	s_mov_b32 s45, s5
	s_wait_kmcnt 0x0
	s_cvt_f32_u32 s43, s42
	s_sub_co_i32 s44, 0, s42
	s_wait_alu 0xfffe
	s_delay_alu instid0(SALU_CYCLE_1) | instskip(NEXT) | instid1(TRANS32_DEP_1)
	v_rcp_iflag_f32_e32 v1, s43
	v_readfirstlane_b32 s43, v1
	s_mul_f32 s43, s43, 0x4f7ffffe
	s_wait_alu 0xfffe
	s_delay_alu instid0(SALU_CYCLE_2) | instskip(SKIP_1) | instid1(SALU_CYCLE_2)
	s_cvt_u32_f32 s43, s43
	s_wait_alu 0xfffe
	s_mul_i32 s44, s44, s43
	s_wait_alu 0xfffe
	s_mul_hi_u32 s44, s43, s44
	s_wait_alu 0xfffe
	s_add_co_i32 s44, s43, s44
	s_wait_alu 0xfffe
	s_mul_u64 s[44:45], s[30:31], s[44:45]
	s_wait_alu 0xfffe
	s_mul_i32 s43, s45, s42
	s_add_co_i32 s44, s45, 1
	s_wait_alu 0xfffe
	s_sub_co_i32 s43, s30, s43
	s_wait_alu 0xfffe
	s_sub_co_i32 s46, s43, s42
	s_cmp_ge_u32 s43, s42
	s_cselect_b32 s44, s44, s45
	s_wait_alu 0xfffe
	s_cselect_b32 s43, s46, s43
	s_add_co_i32 s45, s44, 1
	s_wait_alu 0xfffe
	s_cmp_ge_u32 s43, s42
	s_cselect_b32 s44, s45, s44
	s_add_co_i32 s43, s42, -1
	s_wait_alu 0xfffe
	s_mov_b32 s54, s44
	s_cmp_lg_u32 s33, s43
	s_cbranch_scc1 .LBB93_11
; %bb.10:                               ;   in Loop: Header=BB93_3 Depth=1
	s_mul_i32 s42, s44, s42
	s_wait_alu 0xfffe
	s_sub_co_i32 s42, s30, s42
	s_wait_alu 0xfffe
	s_add_co_i32 s54, s42, s44
.LBB93_11:                              ;   in Loop: Header=BB93_3 Depth=1
	s_wait_alu 0xfffe
	s_cmp_eq_u32 s54, 0
	s_cbranch_scc1 .LBB93_2
; %bb.12:                               ;   in Loop: Header=BB93_3 Depth=1
	s_load_b32 s53, s[36:37], 0x0
	s_mul_u64 s[42:43], s[22:23], s[4:5]
	s_mov_b32 s45, -1
	s_wait_alu 0xfffe
	s_lshl_b64 s[42:43], s[42:43], 3
	s_wait_alu 0xfffe
	s_add_nc_u64 s[46:47], s[10:11], s[42:43]
	s_wait_alu 0xfffe
	s_add_nc_u64 s[42:43], s[46:47], s[38:39]
	s_wait_kmcnt 0x0
	s_add_co_i32 s53, s53, -1
	s_delay_alu instid0(SALU_CYCLE_1)
	s_cmp_lg_u32 s30, s53
	s_cselect_b32 s55, -1, 0
	s_wait_alu 0xfffe
	s_and_b32 vcc_lo, exec_lo, s55
	s_wait_alu 0xfffe
	s_cbranch_vccz .LBB93_16
; %bb.13:                               ;   in Loop: Header=BB93_3 Depth=1
	s_and_saveexec_b32 s45, s0
	s_cbranch_execz .LBB93_15
; %bb.14:                               ;   in Loop: Header=BB93_3 Depth=1
	v_add_co_u32 v1, vcc_lo, s42, v15
	s_wait_alu 0xfffd
	v_add_co_ci_u32_e64 v2, null, s43, v16, vcc_lo
	global_load_b64 v[1:2], v[1:2], off
	s_wait_loadcnt 0x0
	ds_store_b64 v47, v[1:2]
.LBB93_15:                              ;   in Loop: Header=BB93_3 Depth=1
	s_wait_alu 0xfffe
	s_or_b32 exec_lo, exec_lo, s45
	s_mov_b32 s45, 0
.LBB93_16:                              ;   in Loop: Header=BB93_3 Depth=1
	s_wait_alu 0xfffe
	s_and_not1_b32 vcc_lo, exec_lo, s45
	s_wait_alu 0xfffe
	s_cbranch_vccnz .LBB93_22
; %bb.17:                               ;   in Loop: Header=BB93_3 Depth=1
	s_and_saveexec_b32 s45, s0
	s_cbranch_execz .LBB93_21
; %bb.18:                               ;   in Loop: Header=BB93_3 Depth=1
	v_mov_b32_e32 v1, 0
	v_mov_b32_e32 v2, 0
	s_and_saveexec_b32 s48, s1
	s_cbranch_execz .LBB93_20
; %bb.19:                               ;   in Loop: Header=BB93_3 Depth=1
	v_add_co_u32 v1, vcc_lo, s42, v15
	s_wait_alu 0xfffd
	v_add_co_ci_u32_e64 v2, null, s43, v16, vcc_lo
	global_load_b64 v[1:2], v[1:2], off
.LBB93_20:                              ;   in Loop: Header=BB93_3 Depth=1
	s_wait_alu 0xfffe
	s_or_b32 exec_lo, exec_lo, s48
	s_wait_loadcnt 0x0
	ds_store_b64 v47, v[1:2]
.LBB93_21:                              ;   in Loop: Header=BB93_3 Depth=1
	s_wait_alu 0xfffe
	s_or_b32 exec_lo, exec_lo, s45
	s_mov_b32 s42, s5
	s_mov_b32 s43, s5
	s_wait_alu 0xfffe
	v_dual_mov_b32 v1, s42 :: v_dual_mov_b32 v2, s43
	ds_store_2addr_b64 v50, v[1:2], v[1:2] offset1:16
	ds_store_2addr_b64 v51, v[1:2], v[1:2] offset1:16
.LBB93_22:                              ;   in Loop: Header=BB93_3 Depth=1
	s_mul_u64 s[42:43], s[14:15], s[4:5]
	s_mul_i32 s48, s51, s44
	s_wait_alu 0xfffe
	s_lshl_b64 s[42:43], s[42:43], 3
	s_ashr_i32 s49, s48, 31
	v_cndmask_b32_e64 v69, 0, 1, s55
	s_wait_alu 0xfffe
	s_add_nc_u64 s[42:43], s[8:9], s[42:43]
	s_lshl_b64 s[44:45], s[48:49], 3
	s_and_not1_b32 vcc_lo, exec_lo, s55
	s_wait_alu 0xfffe
	s_add_nc_u64 s[44:45], s[42:43], s[44:45]
	s_mov_b32 s42, -1
	s_wait_dscnt 0x0
	s_barrier_signal -1
	s_barrier_wait -1
	global_inv scope:SCOPE_SE
                                        ; implicit-def: $vgpr1_vgpr2_vgpr3_vgpr4
	s_cbranch_vccnz .LBB93_24
; %bb.23:                               ;   in Loop: Header=BB93_3 Depth=1
	s_wait_alu 0xfffe
	v_add_co_u32 v1, vcc_lo, s44, v17
	s_wait_alu 0xfffd
	v_add_co_ci_u32_e64 v2, null, s45, v18, vcc_lo
	s_lshl_b64 s[42:43], s[12:13], 3
	s_wait_alu 0xfffe
	v_add_co_u32 v3, vcc_lo, v1, s42
	s_wait_alu 0xfffd
	v_add_co_ci_u32_e64 v4, null, s43, v2, vcc_lo
	s_mov_b32 s42, 0
	s_clause 0x1
	global_load_b64 v[1:2], v[1:2], off
	global_load_b64 v[3:4], v[3:4], off
.LBB93_24:                              ;   in Loop: Header=BB93_3 Depth=1
	s_wait_alu 0xfffe
	s_and_not1_b32 vcc_lo, exec_lo, s42
	s_wait_alu 0xfffe
	s_cbranch_vccnz .LBB93_32
; %bb.25:                               ;   in Loop: Header=BB93_3 Depth=1
                                        ; implicit-def: $vgpr1_vgpr2_vgpr3_vgpr4
	s_and_saveexec_b32 s42, s2
	s_wait_alu 0xfffe
	s_xor_b32 s42, exec_lo, s42
	s_cbranch_execz .LBB93_29
; %bb.26:                               ;   in Loop: Header=BB93_3 Depth=1
	s_wait_loadcnt 0x0
	v_mov_b32_e32 v3, v0
	v_dual_mov_b32 v1, v0 :: v_dual_mov_b32 v2, v0
	s_delay_alu instid0(VALU_DEP_2) | instskip(NEXT) | instid1(VALU_DEP_2)
	v_mov_b32_e32 v4, v3
	v_mov_b32_e32 v3, v2
	s_delay_alu instid0(VALU_DEP_3)
	v_mov_b32_e32 v2, v1
	v_mov_b32_e32 v1, v0
	s_and_saveexec_b32 s43, s3
	s_cbranch_execz .LBB93_28
; %bb.27:                               ;   in Loop: Header=BB93_3 Depth=1
	v_add_co_u32 v1, vcc_lo, s44, v17
	s_wait_alu 0xfffd
	v_add_co_ci_u32_e64 v2, null, s45, v18, vcc_lo
	v_dual_mov_b32 v3, v0 :: v_dual_mov_b32 v4, v0
	global_load_b64 v[1:2], v[1:2], off
.LBB93_28:                              ;   in Loop: Header=BB93_3 Depth=1
	s_wait_alu 0xfffe
	s_or_b32 exec_lo, exec_lo, s43
.LBB93_29:                              ;   in Loop: Header=BB93_3 Depth=1
	s_wait_alu 0xfffe
	s_and_not1_saveexec_b32 s42, s42
	s_cbranch_execz .LBB93_31
; %bb.30:                               ;   in Loop: Header=BB93_3 Depth=1
	s_wait_loadcnt 0x0
	v_add_co_u32 v1, vcc_lo, s44, v17
	s_wait_alu 0xfffd
	v_add_co_ci_u32_e64 v2, null, s45, v18, vcc_lo
	s_lshl_b64 s[56:57], s[12:13], 3
	s_wait_alu 0xfffe
	v_add_co_u32 v3, vcc_lo, v1, s56
	s_wait_alu 0xfffd
	v_add_co_ci_u32_e64 v4, null, s57, v2, vcc_lo
	s_clause 0x1
	global_load_b64 v[1:2], v[1:2], off
	global_load_b64 v[3:4], v[3:4], off
.LBB93_31:                              ;   in Loop: Header=BB93_3 Depth=1
	s_wait_alu 0xfffe
	s_or_b32 exec_lo, exec_lo, s42
.LBB93_32:                              ;   in Loop: Header=BB93_3 Depth=1
	s_mul_u64 s[42:43], s[34:35], s[4:5]
	s_wait_alu 0xfffe
	s_lshl_b64 s[42:43], s[42:43], 3
	s_cmp_lt_i32 s54, 1
	s_wait_alu 0xfffe
	s_add_nc_u64 s[42:43], s[16:17], s[42:43]
	s_cbranch_scc1 .LBB93_61
; %bb.33:                               ;   in Loop: Header=BB93_3 Depth=1
	s_mul_u64 s[56:57], s[20:21], s[48:49]
	s_mul_u64 s[48:49], s[26:27], s[48:49]
	s_wait_alu 0xfffe
	s_lshl_b64 s[56:57], s[56:57], 3
	v_mov_b32_e32 v31, 0
	s_wait_alu 0xfffe
	s_add_nc_u64 s[46:47], s[46:47], s[56:57]
	v_mov_b32_e32 v32, 0
	s_wait_alu 0xfffe
	v_add_co_u32 v5, vcc_lo, s46, v19
	s_wait_alu 0xfffd
	v_add_co_ci_u32_e64 v6, null, s47, v20, vcc_lo
	s_lshl_b64 s[48:49], s[48:49], 3
	s_cmp_eq_u32 s54, 1
	s_wait_alu 0xfffe
	s_add_nc_u64 s[48:49], s[42:43], s[48:49]
	global_load_b64 v[35:36], v[5:6], off
	s_cbranch_scc1 .LBB93_62
; %bb.34:                               ;   in Loop: Header=BB93_3 Depth=1
	v_mov_b32_e32 v25, 0
	v_dual_mov_b32 v7, 0 :: v_dual_mov_b32 v26, 0
	v_dual_mov_b32 v27, 0 :: v_dual_mov_b32 v8, 0
	;; [unrolled: 1-line block ×3, first 2 shown]
	s_wait_alu 0xfffe
	v_dual_mov_b32 v6, 0 :: v_dual_mov_b32 v29, s48
	v_mov_b32_e32 v30, s49
	s_add_co_i32 s48, s54, -2
	s_mov_b32 s49, 0
.LBB93_35:                              ;   Parent Loop BB93_3 Depth=1
                                        ; =>  This Loop Header: Depth=2
                                        ;       Child Loop BB93_57 Depth 3
	v_add_co_u32 v9, vcc_lo, s46, v21
	s_wait_alu 0xfffd
	v_add_co_ci_u32_e64 v10, null, s47, v22, vcc_lo
	v_cmp_ne_u32_e32 vcc_lo, 1, v69
	s_mov_b32 s54, -1
                                        ; implicit-def: $vgpr31_vgpr32
                                        ; implicit-def: $vgpr33_vgpr34
	global_load_b64 v[39:40], v[9:10], off
	s_cbranch_vccnz .LBB93_37
; %bb.36:                               ;   in Loop: Header=BB93_35 Depth=2
	v_add_co_u32 v9, vcc_lo, s44, v17
	s_wait_alu 0xfffd
	v_add_co_ci_u32_e64 v10, null, s45, v18, vcc_lo
	s_lshl_b64 s[54:55], s[12:13], 3
	s_wait_alu 0xfffe
	v_add_co_u32 v11, vcc_lo, v9, s54
	s_wait_alu 0xfffd
	v_add_co_ci_u32_e64 v12, null, s55, v10, vcc_lo
	s_mov_b32 s54, 0
	s_clause 0x1
	global_load_b64 v[33:34], v[9:10], off offset:128
	global_load_b64 v[31:32], v[11:12], off offset:128
.LBB93_37:                              ;   in Loop: Header=BB93_35 Depth=2
	s_wait_alu 0xfffe
	s_and_not1_b32 vcc_lo, exec_lo, s54
	s_wait_alu 0xfffe
	s_cbranch_vccnz .LBB93_45
; %bb.38:                               ;   in Loop: Header=BB93_35 Depth=2
	s_and_saveexec_b32 s54, s2
	s_wait_alu 0xfffe
	s_xor_b32 s54, exec_lo, s54
	s_cbranch_execz .LBB93_42
; %bb.39:                               ;   in Loop: Header=BB93_35 Depth=2
	s_and_saveexec_b32 s55, s3
	s_cbranch_execz .LBB93_41
; %bb.40:                               ;   in Loop: Header=BB93_35 Depth=2
	v_add_co_u32 v7, vcc_lo, s44, v17
	s_wait_alu 0xfffd
	v_add_co_ci_u32_e64 v8, null, s45, v18, vcc_lo
	global_load_b64 v[7:8], v[7:8], off offset:128
.LBB93_41:                              ;   in Loop: Header=BB93_35 Depth=2
	s_wait_alu 0xfffe
	s_or_b32 exec_lo, exec_lo, s55
.LBB93_42:                              ;   in Loop: Header=BB93_35 Depth=2
	s_wait_alu 0xfffe
	s_and_not1_saveexec_b32 s54, s54
	s_cbranch_execz .LBB93_44
; %bb.43:                               ;   in Loop: Header=BB93_35 Depth=2
	v_add_co_u32 v5, vcc_lo, s44, v17
	s_wait_alu 0xfffd
	v_add_co_ci_u32_e64 v6, null, s45, v18, vcc_lo
	s_lshl_b64 s[56:57], s[12:13], 3
	s_wait_alu 0xfffe
	v_add_co_u32 v9, vcc_lo, v5, s56
	s_wait_alu 0xfffd
	v_add_co_ci_u32_e64 v10, null, s57, v6, vcc_lo
	s_wait_loadcnt 0x0
	s_clause 0x1
	global_load_b64 v[7:8], v[5:6], off offset:128
	global_load_b64 v[5:6], v[9:10], off offset:128
.LBB93_44:                              ;   in Loop: Header=BB93_35 Depth=2
	s_wait_alu 0xfffe
	s_or_b32 exec_lo, exec_lo, s54
	s_wait_loadcnt 0x0
	v_dual_mov_b32 v34, v8 :: v_dual_mov_b32 v33, v7
	v_dual_mov_b32 v32, v6 :: v_dual_mov_b32 v31, v5
.LBB93_45:                              ;   in Loop: Header=BB93_35 Depth=2
	ds_load_b128 v[9:12], v52
	v_cmp_ne_u32_e32 vcc_lo, 1, v69
	s_mov_b32 s54, -1
                                        ; implicit-def: $vgpr5_vgpr6_vgpr7_vgpr8
	s_cbranch_vccnz .LBB93_47
; %bb.46:                               ;   in Loop: Header=BB93_35 Depth=2
	v_add_co_u32 v5, vcc_lo, s44, v17
	s_wait_alu 0xfffd
	v_add_co_ci_u32_e64 v6, null, s45, v18, vcc_lo
	s_lshl_b64 s[54:55], s[12:13], 3
	s_wait_alu 0xfffe
	v_add_co_u32 v7, vcc_lo, v5, s54
	s_wait_alu 0xfffd
	v_add_co_ci_u32_e64 v8, null, s55, v6, vcc_lo
	s_mov_b32 s54, 0
	s_clause 0x1
	global_load_b64 v[5:6], v[5:6], off offset:256
	global_load_b64 v[7:8], v[7:8], off offset:256
.LBB93_47:                              ;   in Loop: Header=BB93_35 Depth=2
	s_wait_alu 0xfffe
	s_and_not1_b32 vcc_lo, exec_lo, s54
	s_wait_alu 0xfffe
	s_cbranch_vccnz .LBB93_55
; %bb.48:                               ;   in Loop: Header=BB93_35 Depth=2
                                        ; implicit-def: $vgpr5_vgpr6_vgpr7_vgpr8
	s_and_saveexec_b32 s54, s2
	s_wait_alu 0xfffe
	s_xor_b32 s54, exec_lo, s54
	s_cbranch_execz .LBB93_52
; %bb.49:                               ;   in Loop: Header=BB93_35 Depth=2
	s_wait_loadcnt 0x0
	v_dual_mov_b32 v8, v4 :: v_dual_mov_b32 v7, v3
	v_dual_mov_b32 v6, v2 :: v_dual_mov_b32 v5, v1
	s_and_saveexec_b32 s55, s3
	s_cbranch_execz .LBB93_51
; %bb.50:                               ;   in Loop: Header=BB93_35 Depth=2
	v_add_co_u32 v5, vcc_lo, s44, v17
	s_wait_alu 0xfffd
	v_add_co_ci_u32_e64 v6, null, s45, v18, vcc_lo
	global_load_b64 v[37:38], v[5:6], off offset:256
	v_dual_mov_b32 v8, v4 :: v_dual_mov_b32 v7, v3
	v_dual_mov_b32 v6, v2 :: v_dual_mov_b32 v5, v1
	s_wait_loadcnt 0x0
	v_dual_mov_b32 v5, v37 :: v_dual_mov_b32 v6, v38
.LBB93_51:                              ;   in Loop: Header=BB93_35 Depth=2
	s_wait_alu 0xfffe
	s_or_b32 exec_lo, exec_lo, s55
.LBB93_52:                              ;   in Loop: Header=BB93_35 Depth=2
	s_wait_alu 0xfffe
	s_and_not1_saveexec_b32 s54, s54
	s_cbranch_execz .LBB93_54
; %bb.53:                               ;   in Loop: Header=BB93_35 Depth=2
	s_wait_loadcnt 0x1
	v_add_co_u32 v5, vcc_lo, s44, v17
	s_wait_alu 0xfffd
	v_add_co_ci_u32_e64 v6, null, s45, v18, vcc_lo
	s_lshl_b64 s[56:57], s[12:13], 3
	s_wait_loadcnt 0x0
	s_wait_alu 0xfffe
	v_add_co_u32 v7, vcc_lo, v5, s56
	s_wait_alu 0xfffd
	v_add_co_ci_u32_e64 v8, null, s57, v6, vcc_lo
	s_clause 0x1
	global_load_b64 v[5:6], v[5:6], off offset:256
	global_load_b64 v[7:8], v[7:8], off offset:256
.LBB93_54:                              ;   in Loop: Header=BB93_35 Depth=2
	s_wait_alu 0xfffe
	s_or_b32 exec_lo, exec_lo, s54
.LBB93_55:                              ;   in Loop: Header=BB93_35 Depth=2
	s_add_nc_u64 s[46:47], s[46:47], s[18:19]
	s_wait_loadcnt_dscnt 0x200
	v_fma_f64 v[41:42], v[1:2], v[9:10], 0
	s_wait_alu 0xfffe
	v_add_co_u32 v37, vcc_lo, s46, v19
	s_wait_alu 0xfffd
	v_add_co_ci_u32_e64 v38, null, s47, v20, vcc_lo
	s_wait_loadcnt 0x1
	v_fma_f64 v[9:10], v[33:34], v[9:10], 0
	global_load_b64 v[37:38], v[37:38], off
	s_wait_loadcnt 0x0
	s_barrier_signal -1
	s_barrier_wait -1
	global_inv scope:SCOPE_SE
	v_fma_f64 v[41:42], v[3:4], v[11:12], v[41:42]
	v_fma_f64 v[9:10], v[31:32], v[11:12], v[9:10]
	v_add_nc_u32_e32 v11, v48, v49
	ds_store_2addr_b64 v11, v[41:42], v[9:10] offset1:16
	s_wait_loadcnt_dscnt 0x0
	s_barrier_signal -1
	s_barrier_wait -1
	global_inv scope:SCOPE_SE
	s_and_saveexec_b32 s54, s0
	s_cbranch_execz .LBB93_59
; %bb.56:                               ;   in Loop: Header=BB93_35 Depth=2
	ds_load_2addr_b64 v[9:12], v46 offset1:32
	v_add_nc_u32_e32 v74, 0x800, v46
	s_mov_b32 s55, 0
	ds_load_2addr_b64 v[70:73], v74 offset0:64 offset1:96
	s_wait_dscnt 0x1
	v_add_f64_e32 v[9:10], 0, v[9:10]
	s_delay_alu instid0(VALU_DEP_1) | instskip(SKIP_3) | instid1(VALU_DEP_1)
	v_add_f64_e32 v[41:42], v[9:10], v[11:12]
	ds_load_2addr_b64 v[9:12], v46 offset0:64 offset1:96
	s_wait_dscnt 0x0
	v_add_f64_e32 v[9:10], v[41:42], v[9:10]
	v_add_f64_e32 v[41:42], v[9:10], v[11:12]
	ds_load_2addr_b64 v[9:12], v46 offset0:128 offset1:160
	s_wait_dscnt 0x0
	v_add_f64_e32 v[9:10], v[41:42], v[9:10]
	s_delay_alu instid0(VALU_DEP_1)
	v_add_f64_e32 v[41:42], v[9:10], v[11:12]
	ds_load_2addr_b64 v[9:12], v46 offset0:192 offset1:224
	s_wait_dscnt 0x0
	v_add_f64_e32 v[9:10], v[41:42], v[9:10]
	ds_load_2addr_b64 v[41:44], v74 offset1:32
	v_add_f64_e32 v[9:10], v[9:10], v[11:12]
	v_lshlrev_b64_e32 v[11:12], 3, v[13:14]
	s_wait_dscnt 0x0
	s_delay_alu instid0(VALU_DEP_2) | instskip(NEXT) | instid1(VALU_DEP_2)
	v_add_f64_e32 v[9:10], v[9:10], v[41:42]
	v_add_co_u32 v41, vcc_lo, v29, v11
	s_wait_alu 0xfffd
	s_delay_alu instid0(VALU_DEP_3) | instskip(SKIP_2) | instid1(VALU_DEP_1)
	v_add_co_ci_u32_e64 v42, null, v30, v12, vcc_lo
	global_load_b64 v[11:12], v[41:42], off
	v_add_f64_e32 v[9:10], v[9:10], v[43:44]
	v_add_f64_e32 v[9:10], v[9:10], v[70:71]
	s_delay_alu instid0(VALU_DEP_1) | instskip(SKIP_3) | instid1(VALU_DEP_1)
	v_add_f64_e32 v[9:10], v[9:10], v[72:73]
	ds_load_2addr_b64 v[70:73], v74 offset0:128 offset1:160
	s_wait_dscnt 0x0
	v_add_f64_e32 v[9:10], v[9:10], v[70:71]
	v_add_f64_e32 v[9:10], v[9:10], v[72:73]
	ds_load_2addr_b64 v[70:73], v74 offset0:192 offset1:224
	s_wait_dscnt 0x0
	v_add_f64_e32 v[9:10], v[9:10], v[70:71]
	s_delay_alu instid0(VALU_DEP_1) | instskip(NEXT) | instid1(VALU_DEP_1)
	v_add_f64_e32 v[9:10], v[9:10], v[72:73]
	v_mul_f64_e32 v[43:44], v[23:24], v[9:10]
.LBB93_57:                              ;   Parent Loop BB93_3 Depth=1
                                        ;     Parent Loop BB93_35 Depth=2
                                        ; =>    This Inner Loop Header: Depth=3
	s_wait_loadcnt 0x0
	s_delay_alu instid0(VALU_DEP_1)
	v_add_f64_e32 v[9:10], v[11:12], v[43:44]
	global_atomic_cmpswap_b64 v[9:10], v[41:42], v[9:12], off th:TH_ATOMIC_RETURN scope:SCOPE_DEV
	s_wait_loadcnt 0x0
	v_cmp_eq_u64_e32 vcc_lo, v[9:10], v[11:12]
	v_dual_mov_b32 v12, v10 :: v_dual_mov_b32 v11, v9
	s_wait_alu 0xfffe
	s_or_b32 s55, vcc_lo, s55
	s_wait_alu 0xfffe
	s_and_not1_b32 exec_lo, exec_lo, s55
	s_cbranch_execnz .LBB93_57
; %bb.58:                               ;   in Loop: Header=BB93_35 Depth=2
	s_or_b32 exec_lo, exec_lo, s55
	v_add_co_u32 v29, vcc_lo, v29, s24
	s_wait_alu 0xfffd
	v_add_co_ci_u32_e64 v30, null, s25, v30, vcc_lo
.LBB93_59:                              ;   in Loop: Header=BB93_35 Depth=2
	s_wait_alu 0xfffe
	s_or_b32 exec_lo, exec_lo, s54
	v_fma_f64 v[1:2], v[35:36], v[1:2], v[25:26]
	v_fma_f64 v[3:4], v[35:36], v[3:4], v[27:28]
	s_add_co_i32 s54, s49, 1
	s_cmp_eq_u32 s49, s48
	s_add_nc_u64 s[44:45], s[44:45], 0x100
	s_delay_alu instid0(VALU_DEP_2) | instskip(NEXT) | instid1(VALU_DEP_2)
	v_fma_f64 v[25:26], v[39:40], v[33:34], v[1:2]
	v_fma_f64 v[27:28], v[39:40], v[31:32], v[3:4]
	s_cbranch_scc1 .LBB93_63
; %bb.60:                               ;   in Loop: Header=BB93_35 Depth=2
	v_dual_mov_b32 v1, v5 :: v_dual_mov_b32 v2, v6
	v_dual_mov_b32 v35, v37 :: v_dual_mov_b32 v36, v38
	;; [unrolled: 1-line block ×5, first 2 shown]
	s_wait_alu 0xfffe
	s_mov_b32 s49, s54
	s_branch .LBB93_35
.LBB93_61:                              ;   in Loop: Header=BB93_3 Depth=1
	s_wait_loadcnt 0x0
	v_mov_b32_e32 v1, 0
	v_dual_mov_b32 v2, 0 :: v_dual_mov_b32 v3, 0
	v_mov_b32_e32 v4, 0
	s_branch .LBB93_77
.LBB93_62:                              ;   in Loop: Header=BB93_3 Depth=1
	v_mov_b32_e32 v33, 0
	v_dual_mov_b32 v34, 0 :: v_dual_mov_b32 v27, 0
	s_wait_loadcnt 0x1
	v_dual_mov_b32 v25, 0 :: v_dual_mov_b32 v8, v4
	s_wait_alu 0xfffe
	v_dual_mov_b32 v29, s48 :: v_dual_mov_b32 v30, s49
	v_mov_b32_e32 v28, 0
	v_dual_mov_b32 v26, 0 :: v_dual_mov_b32 v7, v3
	v_dual_mov_b32 v6, v2 :: v_dual_mov_b32 v5, v1
	s_wait_loadcnt 0x0
	v_dual_mov_b32 v38, v36 :: v_dual_mov_b32 v37, v35
.LBB93_63:                              ;   in Loop: Header=BB93_3 Depth=1
	v_add_co_u32 v1, vcc_lo, s46, v21
	s_wait_alu 0xfffd
	v_add_co_ci_u32_e64 v2, null, s47, v22, vcc_lo
	v_cmp_ne_u32_e32 vcc_lo, 1, v69
	s_mov_b32 s46, -1
                                        ; implicit-def: $vgpr35_vgpr36
                                        ; implicit-def: $vgpr11_vgpr12
	global_load_b64 v[9:10], v[1:2], off
	s_cbranch_vccnz .LBB93_65
; %bb.64:                               ;   in Loop: Header=BB93_3 Depth=1
	s_wait_alu 0xfffe
	v_add_co_u32 v1, vcc_lo, s44, v17
	s_wait_alu 0xfffd
	v_add_co_ci_u32_e64 v2, null, s45, v18, vcc_lo
	s_lshl_b64 s[46:47], s[12:13], 3
	s_wait_alu 0xfffe
	v_add_co_u32 v3, vcc_lo, v1, s46
	s_wait_alu 0xfffd
	v_add_co_ci_u32_e64 v4, null, s47, v2, vcc_lo
	s_mov_b32 s46, 0
	s_clause 0x1
	global_load_b64 v[11:12], v[1:2], off offset:128
	global_load_b64 v[35:36], v[3:4], off offset:128
.LBB93_65:                              ;   in Loop: Header=BB93_3 Depth=1
	s_wait_alu 0xfffe
	s_and_not1_b32 vcc_lo, exec_lo, s46
	s_wait_alu 0xfffe
	s_cbranch_vccnz .LBB93_73
; %bb.66:                               ;   in Loop: Header=BB93_3 Depth=1
	s_and_saveexec_b32 s46, s2
	s_wait_alu 0xfffe
	s_xor_b32 s46, exec_lo, s46
	s_cbranch_execz .LBB93_70
; %bb.67:                               ;   in Loop: Header=BB93_3 Depth=1
	s_and_saveexec_b32 s47, s3
	s_cbranch_execz .LBB93_69
; %bb.68:                               ;   in Loop: Header=BB93_3 Depth=1
	v_add_co_u32 v1, vcc_lo, s44, v17
	s_wait_alu 0xfffd
	v_add_co_ci_u32_e64 v2, null, s45, v18, vcc_lo
	global_load_b64 v[33:34], v[1:2], off offset:128
.LBB93_69:                              ;   in Loop: Header=BB93_3 Depth=1
	s_wait_alu 0xfffe
	s_or_b32 exec_lo, exec_lo, s47
.LBB93_70:                              ;   in Loop: Header=BB93_3 Depth=1
	s_wait_alu 0xfffe
	s_and_not1_saveexec_b32 s46, s46
	s_cbranch_execz .LBB93_72
; %bb.71:                               ;   in Loop: Header=BB93_3 Depth=1
	v_add_co_u32 v1, vcc_lo, s44, v17
	s_wait_alu 0xfffd
	v_add_co_ci_u32_e64 v2, null, s45, v18, vcc_lo
	s_lshl_b64 s[44:45], s[12:13], 3
	s_wait_alu 0xfffe
	v_add_co_u32 v3, vcc_lo, v1, s44
	s_wait_alu 0xfffd
	v_add_co_ci_u32_e64 v4, null, s45, v2, vcc_lo
	s_wait_loadcnt 0x0
	s_clause 0x1
	global_load_b64 v[33:34], v[1:2], off offset:128
	global_load_b64 v[31:32], v[3:4], off offset:128
.LBB93_72:                              ;   in Loop: Header=BB93_3 Depth=1
	s_wait_alu 0xfffe
	s_or_b32 exec_lo, exec_lo, s46
	s_wait_loadcnt 0x0
	v_dual_mov_b32 v11, v33 :: v_dual_mov_b32 v12, v34
	v_dual_mov_b32 v36, v32 :: v_dual_mov_b32 v35, v31
.LBB93_73:                              ;   in Loop: Header=BB93_3 Depth=1
	ds_load_b128 v[1:4], v52
	s_wait_loadcnt_dscnt 0x0
	s_barrier_signal -1
	s_barrier_wait -1
	global_inv scope:SCOPE_SE
	v_fma_f64 v[31:32], v[5:6], v[1:2], 0
	v_fma_f64 v[1:2], v[11:12], v[1:2], 0
	s_delay_alu instid0(VALU_DEP_2) | instskip(NEXT) | instid1(VALU_DEP_2)
	v_fma_f64 v[31:32], v[7:8], v[3:4], v[31:32]
	v_fma_f64 v[1:2], v[35:36], v[3:4], v[1:2]
	v_add_nc_u32_e32 v3, v48, v49
	ds_store_2addr_b64 v3, v[31:32], v[1:2] offset1:16
	s_wait_loadcnt_dscnt 0x0
	s_barrier_signal -1
	s_barrier_wait -1
	global_inv scope:SCOPE_SE
	s_and_saveexec_b32 s44, s0
	s_cbranch_execz .LBB93_76
; %bb.74:                               ;   in Loop: Header=BB93_3 Depth=1
	ds_load_2addr_b64 v[1:4], v46 offset1:32
	v_add_nc_u32_e32 v39, 0x800, v46
	s_mov_b32 s45, 0
	s_wait_dscnt 0x0
	v_add_f64_e32 v[1:2], 0, v[1:2]
	s_delay_alu instid0(VALU_DEP_1) | instskip(SKIP_3) | instid1(VALU_DEP_1)
	v_add_f64_e32 v[31:32], v[1:2], v[3:4]
	ds_load_2addr_b64 v[1:4], v46 offset0:64 offset1:96
	s_wait_dscnt 0x0
	v_add_f64_e32 v[1:2], v[31:32], v[1:2]
	v_add_f64_e32 v[31:32], v[1:2], v[3:4]
	ds_load_2addr_b64 v[1:4], v46 offset0:128 offset1:160
	s_wait_dscnt 0x0
	v_add_f64_e32 v[1:2], v[31:32], v[1:2]
	s_delay_alu instid0(VALU_DEP_1)
	v_add_f64_e32 v[31:32], v[1:2], v[3:4]
	ds_load_2addr_b64 v[1:4], v46 offset0:192 offset1:224
	s_wait_dscnt 0x0
	v_add_f64_e32 v[1:2], v[31:32], v[1:2]
	ds_load_2addr_b64 v[31:34], v39 offset1:32
	v_add_f64_e32 v[1:2], v[1:2], v[3:4]
	v_lshlrev_b64_e32 v[3:4], 3, v[13:14]
	s_delay_alu instid0(VALU_DEP_1) | instskip(SKIP_1) | instid1(VALU_DEP_2)
	v_add_co_u32 v29, vcc_lo, v29, v3
	s_wait_alu 0xfffd
	v_add_co_ci_u32_e64 v30, null, v30, v4, vcc_lo
	global_load_b64 v[3:4], v[29:30], off
	s_wait_dscnt 0x0
	v_add_f64_e32 v[1:2], v[1:2], v[31:32]
	s_delay_alu instid0(VALU_DEP_1) | instskip(SKIP_3) | instid1(VALU_DEP_1)
	v_add_f64_e32 v[1:2], v[1:2], v[33:34]
	ds_load_2addr_b64 v[31:34], v39 offset0:64 offset1:96
	s_wait_dscnt 0x0
	v_add_f64_e32 v[1:2], v[1:2], v[31:32]
	v_add_f64_e32 v[1:2], v[1:2], v[33:34]
	ds_load_2addr_b64 v[31:34], v39 offset0:128 offset1:160
	s_wait_dscnt 0x0
	v_add_f64_e32 v[1:2], v[1:2], v[31:32]
	s_delay_alu instid0(VALU_DEP_1) | instskip(SKIP_3) | instid1(VALU_DEP_1)
	v_add_f64_e32 v[1:2], v[1:2], v[33:34]
	ds_load_2addr_b64 v[31:34], v39 offset0:192 offset1:224
	s_wait_dscnt 0x0
	v_add_f64_e32 v[1:2], v[1:2], v[31:32]
	v_add_f64_e32 v[1:2], v[1:2], v[33:34]
	s_delay_alu instid0(VALU_DEP_1)
	v_mul_f64_e32 v[31:32], v[23:24], v[1:2]
.LBB93_75:                              ;   Parent Loop BB93_3 Depth=1
                                        ; =>  This Inner Loop Header: Depth=2
	s_wait_loadcnt 0x0
	s_delay_alu instid0(VALU_DEP_1)
	v_add_f64_e32 v[1:2], v[3:4], v[31:32]
	global_atomic_cmpswap_b64 v[1:2], v[29:30], v[1:4], off th:TH_ATOMIC_RETURN scope:SCOPE_DEV
	s_wait_loadcnt 0x0
	v_cmp_eq_u64_e32 vcc_lo, v[1:2], v[3:4]
	v_dual_mov_b32 v4, v2 :: v_dual_mov_b32 v3, v1
	s_wait_alu 0xfffe
	s_or_b32 s45, vcc_lo, s45
	s_wait_alu 0xfffe
	s_and_not1_b32 exec_lo, exec_lo, s45
	s_cbranch_execnz .LBB93_75
.LBB93_76:                              ;   in Loop: Header=BB93_3 Depth=1
	s_wait_alu 0xfffe
	s_or_b32 exec_lo, exec_lo, s44
	v_fma_f64 v[1:2], v[37:38], v[5:6], v[25:26]
	v_fma_f64 v[5:6], v[37:38], v[7:8], v[27:28]
	s_delay_alu instid0(VALU_DEP_2) | instskip(NEXT) | instid1(VALU_DEP_2)
	v_fma_f64 v[3:4], v[9:10], v[11:12], v[1:2]
	v_fma_f64 v[1:2], v[9:10], v[35:36], v[5:6]
.LBB93_77:                              ;   in Loop: Header=BB93_3 Depth=1
	s_cmp_lt_u32 s30, s53
	ds_store_2addr_b64 v51, v[3:4], v[1:2] offset1:16
	s_cselect_b32 s44, -1, 0
	s_wait_loadcnt_dscnt 0x0
	s_wait_alu 0xfffe
	s_or_b32 s44, s1, s44
	s_barrier_signal -1
	s_wait_alu 0xfffe
	s_and_b32 s44, s0, s44
	s_barrier_wait -1
	global_inv scope:SCOPE_SE
	s_wait_alu 0xfffe
	s_and_b32 exec_lo, exec_lo, s44
	s_cbranch_execz .LBB93_2
; %bb.78:                               ;   in Loop: Header=BB93_3 Depth=1
	ds_load_b64 v[1:2], v53
	ds_load_b64 v[3:4], v54
	;; [unrolled: 1-line block ×4, first 2 shown]
	s_add_nc_u64 s[42:43], s[42:43], s[40:41]
	s_wait_dscnt 0x3
	v_add_f64_e32 v[1:2], 0, v[1:2]
	s_wait_dscnt 0x2
	s_delay_alu instid0(VALU_DEP_1) | instskip(SKIP_1) | instid1(VALU_DEP_1)
	v_add_f64_e32 v[1:2], v[1:2], v[3:4]
	s_wait_dscnt 0x1
	v_add_f64_e32 v[1:2], v[1:2], v[5:6]
	s_wait_dscnt 0x0
	s_delay_alu instid0(VALU_DEP_1)
	v_add_f64_e32 v[1:2], v[1:2], v[7:8]
	ds_load_b64 v[3:4], v57
	ds_load_b64 v[5:6], v58
	;; [unrolled: 1-line block ×4, first 2 shown]
	s_wait_dscnt 0x3
	v_add_f64_e32 v[1:2], v[1:2], v[3:4]
	s_wait_dscnt 0x2
	s_delay_alu instid0(VALU_DEP_1) | instskip(SKIP_1) | instid1(VALU_DEP_1)
	v_add_f64_e32 v[1:2], v[1:2], v[5:6]
	s_wait_dscnt 0x1
	v_add_f64_e32 v[1:2], v[1:2], v[7:8]
	s_wait_dscnt 0x0
	s_delay_alu instid0(VALU_DEP_1)
	v_add_f64_e32 v[1:2], v[1:2], v[9:10]
	ds_load_b64 v[3:4], v61
	ds_load_b64 v[7:8], v62
	ds_load_b64 v[9:10], v63
	ds_load_b64 v[11:12], v64
	s_wait_dscnt 0x3
	v_add_f64_e32 v[1:2], v[1:2], v[3:4]
	v_lshlrev_b64_e32 v[3:4], 3, v[13:14]
	s_wait_alu 0xfffe
	s_delay_alu instid0(VALU_DEP_1) | instskip(SKIP_1) | instid1(VALU_DEP_2)
	v_add_co_u32 v5, vcc_lo, s42, v3
	s_wait_alu 0xfffd
	v_add_co_ci_u32_e64 v6, null, s43, v4, vcc_lo
	s_mov_b32 s42, 0
	global_load_b64 v[3:4], v[5:6], off
	s_wait_dscnt 0x2
	v_add_f64_e32 v[1:2], v[1:2], v[7:8]
	s_wait_dscnt 0x1
	s_delay_alu instid0(VALU_DEP_1) | instskip(SKIP_1) | instid1(VALU_DEP_1)
	v_add_f64_e32 v[1:2], v[1:2], v[9:10]
	s_wait_dscnt 0x0
	v_add_f64_e32 v[1:2], v[1:2], v[11:12]
	ds_load_b64 v[7:8], v65
	ds_load_b64 v[9:10], v66
	;; [unrolled: 1-line block ×4, first 2 shown]
	s_wait_dscnt 0x3
	v_add_f64_e32 v[1:2], v[1:2], v[7:8]
	s_wait_dscnt 0x2
	s_delay_alu instid0(VALU_DEP_1) | instskip(SKIP_1) | instid1(VALU_DEP_1)
	v_add_f64_e32 v[1:2], v[1:2], v[9:10]
	s_wait_dscnt 0x1
	v_add_f64_e32 v[1:2], v[1:2], v[11:12]
	s_wait_dscnt 0x0
	s_delay_alu instid0(VALU_DEP_1) | instskip(NEXT) | instid1(VALU_DEP_1)
	v_add_f64_e32 v[1:2], v[1:2], v[25:26]
	v_mul_f64_e32 v[7:8], v[23:24], v[1:2]
.LBB93_79:                              ;   Parent Loop BB93_3 Depth=1
                                        ; =>  This Inner Loop Header: Depth=2
	s_wait_loadcnt 0x0
	s_delay_alu instid0(VALU_DEP_1)
	v_add_f64_e32 v[1:2], v[3:4], v[7:8]
	global_atomic_cmpswap_b64 v[1:2], v[5:6], v[1:4], off th:TH_ATOMIC_RETURN scope:SCOPE_DEV
	s_wait_loadcnt 0x0
	v_cmp_eq_u64_e32 vcc_lo, v[1:2], v[3:4]
	v_dual_mov_b32 v4, v2 :: v_dual_mov_b32 v3, v1
	s_wait_alu 0xfffe
	s_or_b32 s42, vcc_lo, s42
	s_wait_alu 0xfffe
	s_and_not1_b32 exec_lo, exec_lo, s42
	s_cbranch_execnz .LBB93_79
	s_branch .LBB93_2
.LBB93_80:
	s_endpgm
	.section	.rodata,"a",@progbits
	.p2align	6, 0x0
	.amdhsa_kernel _ZL62rocblas_symv_kernel_upper_double_buffered_non_diagonal_genericILi32ELi8ELi2ELi1E24rocblas_internal_val_ptrIdEPKdPdEvbiT3_lT4_lllS6_lllT5_lllii
		.amdhsa_group_segment_fixed_size 10496
		.amdhsa_private_segment_fixed_size 0
		.amdhsa_kernarg_size 384
		.amdhsa_user_sgpr_count 4
		.amdhsa_user_sgpr_dispatch_ptr 1
		.amdhsa_user_sgpr_queue_ptr 0
		.amdhsa_user_sgpr_kernarg_segment_ptr 1
		.amdhsa_user_sgpr_dispatch_id 0
		.amdhsa_user_sgpr_private_segment_size 0
		.amdhsa_wavefront_size32 1
		.amdhsa_uses_dynamic_stack 0
		.amdhsa_enable_private_segment 0
		.amdhsa_system_sgpr_workgroup_id_x 1
		.amdhsa_system_sgpr_workgroup_id_y 1
		.amdhsa_system_sgpr_workgroup_id_z 1
		.amdhsa_system_sgpr_workgroup_info 0
		.amdhsa_system_vgpr_workitem_id 2
		.amdhsa_next_free_vgpr 75
		.amdhsa_next_free_sgpr 58
		.amdhsa_reserve_vcc 1
		.amdhsa_float_round_mode_32 0
		.amdhsa_float_round_mode_16_64 0
		.amdhsa_float_denorm_mode_32 3
		.amdhsa_float_denorm_mode_16_64 3
		.amdhsa_fp16_overflow 0
		.amdhsa_workgroup_processor_mode 1
		.amdhsa_memory_ordered 1
		.amdhsa_forward_progress 1
		.amdhsa_inst_pref_size 37
		.amdhsa_round_robin_scheduling 0
		.amdhsa_exception_fp_ieee_invalid_op 0
		.amdhsa_exception_fp_denorm_src 0
		.amdhsa_exception_fp_ieee_div_zero 0
		.amdhsa_exception_fp_ieee_overflow 0
		.amdhsa_exception_fp_ieee_underflow 0
		.amdhsa_exception_fp_ieee_inexact 0
		.amdhsa_exception_int_div_zero 0
	.end_amdhsa_kernel
	.section	.text._ZL62rocblas_symv_kernel_upper_double_buffered_non_diagonal_genericILi32ELi8ELi2ELi1E24rocblas_internal_val_ptrIdEPKdPdEvbiT3_lT4_lllS6_lllT5_lllii,"axG",@progbits,_ZL62rocblas_symv_kernel_upper_double_buffered_non_diagonal_genericILi32ELi8ELi2ELi1E24rocblas_internal_val_ptrIdEPKdPdEvbiT3_lT4_lllS6_lllT5_lllii,comdat
.Lfunc_end93:
	.size	_ZL62rocblas_symv_kernel_upper_double_buffered_non_diagonal_genericILi32ELi8ELi2ELi1E24rocblas_internal_val_ptrIdEPKdPdEvbiT3_lT4_lllS6_lllT5_lllii, .Lfunc_end93-_ZL62rocblas_symv_kernel_upper_double_buffered_non_diagonal_genericILi32ELi8ELi2ELi1E24rocblas_internal_val_ptrIdEPKdPdEvbiT3_lT4_lllS6_lllT5_lllii
                                        ; -- End function
	.set _ZL62rocblas_symv_kernel_upper_double_buffered_non_diagonal_genericILi32ELi8ELi2ELi1E24rocblas_internal_val_ptrIdEPKdPdEvbiT3_lT4_lllS6_lllT5_lllii.num_vgpr, 75
	.set _ZL62rocblas_symv_kernel_upper_double_buffered_non_diagonal_genericILi32ELi8ELi2ELi1E24rocblas_internal_val_ptrIdEPKdPdEvbiT3_lT4_lllS6_lllT5_lllii.num_agpr, 0
	.set _ZL62rocblas_symv_kernel_upper_double_buffered_non_diagonal_genericILi32ELi8ELi2ELi1E24rocblas_internal_val_ptrIdEPKdPdEvbiT3_lT4_lllS6_lllT5_lllii.numbered_sgpr, 58
	.set _ZL62rocblas_symv_kernel_upper_double_buffered_non_diagonal_genericILi32ELi8ELi2ELi1E24rocblas_internal_val_ptrIdEPKdPdEvbiT3_lT4_lllS6_lllT5_lllii.num_named_barrier, 0
	.set _ZL62rocblas_symv_kernel_upper_double_buffered_non_diagonal_genericILi32ELi8ELi2ELi1E24rocblas_internal_val_ptrIdEPKdPdEvbiT3_lT4_lllS6_lllT5_lllii.private_seg_size, 0
	.set _ZL62rocblas_symv_kernel_upper_double_buffered_non_diagonal_genericILi32ELi8ELi2ELi1E24rocblas_internal_val_ptrIdEPKdPdEvbiT3_lT4_lllS6_lllT5_lllii.uses_vcc, 1
	.set _ZL62rocblas_symv_kernel_upper_double_buffered_non_diagonal_genericILi32ELi8ELi2ELi1E24rocblas_internal_val_ptrIdEPKdPdEvbiT3_lT4_lllS6_lllT5_lllii.uses_flat_scratch, 0
	.set _ZL62rocblas_symv_kernel_upper_double_buffered_non_diagonal_genericILi32ELi8ELi2ELi1E24rocblas_internal_val_ptrIdEPKdPdEvbiT3_lT4_lllS6_lllT5_lllii.has_dyn_sized_stack, 0
	.set _ZL62rocblas_symv_kernel_upper_double_buffered_non_diagonal_genericILi32ELi8ELi2ELi1E24rocblas_internal_val_ptrIdEPKdPdEvbiT3_lT4_lllS6_lllT5_lllii.has_recursion, 0
	.set _ZL62rocblas_symv_kernel_upper_double_buffered_non_diagonal_genericILi32ELi8ELi2ELi1E24rocblas_internal_val_ptrIdEPKdPdEvbiT3_lT4_lllS6_lllT5_lllii.has_indirect_call, 0
	.section	.AMDGPU.csdata,"",@progbits
; Kernel info:
; codeLenInByte = 4632
; TotalNumSgprs: 60
; NumVgprs: 75
; ScratchSize: 0
; MemoryBound: 1
; FloatMode: 240
; IeeeMode: 1
; LDSByteSize: 10496 bytes/workgroup (compile time only)
; SGPRBlocks: 0
; VGPRBlocks: 9
; NumSGPRsForWavesPerEU: 60
; NumVGPRsForWavesPerEU: 75
; Occupancy: 16
; WaveLimiterHint : 1
; COMPUTE_PGM_RSRC2:SCRATCH_EN: 0
; COMPUTE_PGM_RSRC2:USER_SGPR: 4
; COMPUTE_PGM_RSRC2:TRAP_HANDLER: 0
; COMPUTE_PGM_RSRC2:TGID_X_EN: 1
; COMPUTE_PGM_RSRC2:TGID_Y_EN: 1
; COMPUTE_PGM_RSRC2:TGID_Z_EN: 1
; COMPUTE_PGM_RSRC2:TIDIG_COMP_CNT: 2
	.section	.text._ZL26rocblas_hemvn_kernel_upperILb0ELi64ELi4ELi33ELi32ELi16ElPKdS1_PdEviT6_lT7_lT5_lS4_lS5_lS3_lT8_i,"axG",@progbits,_ZL26rocblas_hemvn_kernel_upperILb0ELi64ELi4ELi33ELi32ELi16ElPKdS1_PdEviT6_lT7_lT5_lS4_lS5_lS3_lT8_i,comdat
	.globl	_ZL26rocblas_hemvn_kernel_upperILb0ELi64ELi4ELi33ELi32ELi16ElPKdS1_PdEviT6_lT7_lT5_lS4_lS5_lS3_lT8_i ; -- Begin function _ZL26rocblas_hemvn_kernel_upperILb0ELi64ELi4ELi33ELi32ELi16ElPKdS1_PdEviT6_lT7_lT5_lS4_lS5_lS3_lT8_i
	.p2align	8
	.type	_ZL26rocblas_hemvn_kernel_upperILb0ELi64ELi4ELi33ELi32ELi16ElPKdS1_PdEviT6_lT7_lT5_lS4_lS5_lS3_lT8_i,@function
_ZL26rocblas_hemvn_kernel_upperILb0ELi64ELi4ELi33ELi32ELi16ElPKdS1_PdEviT6_lT7_lT5_lS4_lS5_lS3_lT8_i: ; @_ZL26rocblas_hemvn_kernel_upperILb0ELi64ELi4ELi33ELi32ELi16ElPKdS1_PdEviT6_lT7_lT5_lS4_lS5_lS3_lT8_i
; %bb.0:
	s_clause 0x1
	s_load_b64 s[2:3], s[0:1], 0x84
	s_load_b32 s33, s[0:1], 0x70
	s_lshr_b32 s28, ttmp7, 16
	s_wait_kmcnt 0x0
	s_lshr_b32 s4, s2, 16
	s_and_b32 s2, s2, 0xffff
	s_and_b32 s3, s3, 0xffff
	s_mul_i32 s2, s4, s2
	s_delay_alu instid0(SALU_CYCLE_1) | instskip(NEXT) | instid1(SALU_CYCLE_1)
	s_mul_i32 s2, s2, s3
	s_cmp_lg_u32 s2, 0x100
	s_cselect_b32 s2, -1, 0
	s_cmp_ge_u32 s28, s33
	s_cselect_b32 s3, -1, 0
	s_delay_alu instid0(SALU_CYCLE_1) | instskip(NEXT) | instid1(SALU_CYCLE_1)
	s_or_b32 s2, s2, s3
	s_and_b32 vcc_lo, exec_lo, s2
	s_cbranch_vccnz .LBB94_129
; %bb.1:
	s_clause 0x1
	s_load_b256 s[20:27], s[0:1], 0x48
	s_load_b32 s4, s[0:1], 0x0
	v_dual_mov_b32 v56, 0 :: v_dual_and_b32 v95, 0x3ff, v0
	s_lshl_b32 s18, ttmp9, 6
	s_load_b512 s[36:51], s[0:1], 0x8
	v_bfe_u32 v9, v0, 10, 10
	s_delay_alu instid0(VALU_DEP_2)
	v_add_nc_u32_e32 v1, s18, v95
	s_add_nc_u64 s[6:7], s[0:1], 0x78
	v_and_b32_e32 v55, 31, v0
	s_load_b32 s30, s[6:7], 0x0
	v_lshl_add_u32 v7, v9, 6, v95
	v_ashrrev_i32_e32 v2, 31, v1
	s_load_b64 s[8:9], s[0:1], 0x68
	s_mov_b32 s2, ttmp9
	s_mov_b32 s29, 0
	v_lshrrev_b32_e32 v11, 5, v7
	s_mov_b32 s31, s29
	v_lshlrev_b32_e32 v22, 5, v9
	v_and_b32_e32 v14, 0x7fe0, v7
	s_wait_kmcnt 0x0
	v_mul_lo_u32 v8, s20, v2
	v_mul_lo_u32 v10, s21, v1
	v_mad_co_u64_u32 v[3:4], null, s20, v1, 0
	s_ashr_i32 s5, s4, 31
	v_mad_co_u64_u32 v[5:6], null, s44, v11, v[55:56]
	s_lshl_b64 s[0:1], s[50:51], 3
	s_lshr_b32 s3, s5, 26
	s_add_nc_u64 s[0:1], s[48:49], s[0:1]
	v_add3_u32 v4, v4, v8, v10
	s_add_co_i32 s3, s4, s3
	s_add_co_i32 s10, s30, -1
	s_and_not1_b32 s3, s3, 63
	s_lshl_b64 s[6:7], s[42:43], 3
	v_lshlrev_b64_e32 v[3:4], 3, v[3:4]
	s_sub_co_i32 s64, s4, s3
	s_cmp_eq_u32 ttmp9, s10
	s_add_nc_u64 s[6:7], s[40:41], s[6:7]
	v_lshlrev_b32_e32 v98, 3, v95
	s_cselect_b32 s34, s64, 0
	v_add_co_u32 v96, vcc_lo, s0, v3
	v_mov_b32_e32 v3, v6
	v_add_co_ci_u32_e64 v97, null, s1, v4, vcc_lo
	s_cmp_lg_u32 s34, 0
	v_cmp_gt_i32_e32 vcc_lo, s34, v95
	v_mad_co_u64_u32 v[3:4], null, s45, v11, v[3:4]
	s_cselect_b32 s65, -1, 0
	s_cmp_eq_u32 s34, 0
	s_mul_u64 s[40:41], s[30:31], s[4:5]
	s_cselect_b32 s1, -1, 0
	s_ashr_i32 s3, ttmp9, 31
	s_ashr_i32 s19, s18, 31
	v_mov_b32_e32 v6, v3
	s_mul_u64 s[2:3], s[4:5], s[2:3]
	s_wait_alu 0xfffe
	s_lshl_b64 s[4:5], s[18:19], 3
	s_lshl_b64 s[2:3], s[2:3], 3
	s_or_b32 s66, s1, vcc_lo
	v_lshlrev_b64_e32 v[3:4], 3, v[5:6]
	s_add_nc_u64 s[42:43], s[8:9], s[2:3]
	s_add_nc_u64 s[2:3], s[6:7], s[4:5]
	s_mul_u64 s[4:5], s[44:45], s[18:19]
	v_add_nc_u32_e32 v8, 8, v11
	s_sub_co_i32 s15, s34, 32
	v_add_co_u32 v5, vcc_lo, s2, v3
	s_wait_alu 0xfffd
	v_add_co_ci_u32_e64 v6, null, s3, v4, vcc_lo
	s_lshl_b64 s[2:3], s[4:5], 3
	v_add_nc_u32_e32 v10, 16, v11
	s_wait_alu 0xfffe
	v_add_co_u32 v100, vcc_lo, v5, s2
	s_wait_alu 0xfffd
	v_add_co_ci_u32_e64 v101, null, s3, v6, vcc_lo
	v_cmp_gt_i32_e64 s3, s34, v8
	v_cmp_gt_i32_e64 s13, s15, v8
	v_lshrrev_b32_e32 v8, 4, v7
	v_sub_co_u32 v5, s2, 0, v55
	s_wait_alu 0xf1ff
	v_sub_co_ci_u32_e64 v6, null, 0, 0, s2
	v_cmp_gt_i32_e64 s2, s34, v11
	v_mul_u32_u24_e32 v19, 0x108, v11
	v_cmp_gt_i32_e64 s4, s34, v10
	v_add_nc_u32_e32 v12, 24, v11
	v_lshlrev_b32_e32 v13, 2, v11
	v_mul_u32_u24_e32 v20, 0x420, v11
	v_lshlrev_b32_e32 v17, 3, v11
	v_cmp_gt_i32_e64 s12, s15, v11
	v_cmp_gt_i32_e64 s14, s15, v10
	v_cmp_eq_u32_e64 s16, 1, v11
	v_mul_i32_i24_e32 v106, 0xffffffe8, v11
	v_and_b32_e32 v10, 15, v0
	v_lshlrev_b32_e32 v11, 5, v8
	s_add_co_i32 s17, ttmp9, 1
	v_and_b32_e32 v0, 48, v0
	s_ashr_i32 s35, s34, 31
	s_lshl_b64 s[48:49], s[44:45], 6
	v_mad_u32_u24 v111, 0x218, v10, v11
	v_add_nc_u32_e32 v11, 0x100, v22
	s_lshl_b64 s[50:51], s[44:45], 7
	s_lshl_b64 s[56:57], s[44:45], 5
	v_cmp_gt_u32_e64 s10, 32, v7
	s_cmp_lt_u32 s17, s30
	v_mul_i32_i24_e32 v23, 0xffffffe8, v8
	v_cmp_gt_u32_e64 s17, 64, v7
	v_mad_co_u64_u32 v[7:8], null, s44, v11, 0
	v_lshlrev_b32_e32 v0, 3, v0
	v_or_b32_e32 v15, 1, v13
	v_or_b32_e32 v16, 2, v13
	v_cmp_gt_i32_e64 s5, s34, v12
	v_cmp_gt_i32_e64 s15, s15, v12
	v_mad_u32_u24 v112, 0x218, v10, v0
	v_mov_b32_e32 v0, v8
	v_lshlrev_b32_e32 v18, 3, v55
	v_cmp_gt_u32_e64 s6, v13, v55
	v_cmp_ge_u32_e64 s7, v13, v55
	v_or_b32_e32 v13, 3, v13
	v_or_b32_e32 v12, 0x78, v98
	v_lshl_or_b32 v102, v55, 8, v18
	v_add_nc_u32_e32 v8, 0x118, v22
	v_add_nc_u32_e32 v104, 0x2380, v14
	v_cmp_gt_u32_e64 s9, v13, v55
	v_or_b32_e32 v13, 32, v55
	v_mad_u32_u24 v113, 0x218, v10, v12
	v_mad_co_u64_u32 v[11:12], null, s45, v11, v[0:1]
	v_cmp_eq_u32_e64 s0, 0, v9
	s_delay_alu instid0(VALU_DEP_4)
	v_cmp_gt_i32_e64 s11, s34, v13
	v_mad_co_u64_u32 v[12:13], null, s44, v8, 0
	v_add_nc_u32_e32 v103, v102, v14
	v_add_nc_u32_e32 v14, 0x110, v22
	v_lshlrev_b32_e32 v107, 2, v9
	v_mad_u32_u24 v110, 0x860, v9, v98
	v_mad_u32_u24 v129, 0x218, v9, v98
	v_mul_u32_u24_e32 v21, 0x108, v15
	v_mad_co_u64_u32 v[9:10], null, s44, v14, 0
	v_mul_u32_u24_e32 v15, 33, v55
	v_add_nc_u32_e32 v99, 0x2380, v98
	v_add_nc_u32_e32 v130, v102, v17
	;; [unrolled: 1-line block ×3, first 2 shown]
	v_cmp_gt_u32_e64 s8, v16, v55
	v_lshl_add_u32 v105, v15, 3, v17
	v_dual_mov_b32 v0, v10 :: v_dual_add_nc_u32 v17, 0x108, v22
	v_sub_co_u32 v132, vcc_lo, v7, v3
	s_wait_alu 0xfffd
	v_sub_co_ci_u32_e64 v133, null, v11, v4, vcc_lo
	s_delay_alu instid0(VALU_DEP_3)
	v_mad_co_u64_u32 v[14:15], null, s45, v14, v[0:1]
	v_mad_co_u64_u32 v[15:16], null, s44, v17, 0
	v_mov_b32_e32 v0, v13
	v_sub_co_u32 v134, vcc_lo, v9, v3
	v_add_nc_u32_e32 v11, 0x180, v22
	s_wait_alu 0xfffd
	v_sub_co_ci_u32_e64 v135, null, v14, v4, vcc_lo
	v_mad_co_u64_u32 v[8:9], null, s45, v8, v[0:1]
	v_mov_b32_e32 v7, v16
	v_mad_co_u64_u32 v[9:10], null, s44, v11, 0
	v_sub_co_u32 v136, vcc_lo, v12, v3
	v_add_nc_u32_e32 v16, 0x190, v22
	s_delay_alu instid0(VALU_DEP_4) | instskip(SKIP_4) | instid1(VALU_DEP_3)
	v_mad_co_u64_u32 v[13:14], null, s45, v17, v[7:8]
	v_add_nc_u32_e32 v14, 0x188, v22
	s_wait_alu 0xfffd
	v_sub_co_ci_u32_e64 v137, null, v8, v4, vcc_lo
	v_dual_mov_b32 v0, v10 :: v_dual_add_nc_u32 v17, 0x198, v22
	v_mad_co_u64_u32 v[7:8], null, s44, v14, 0
	v_sub_co_u32 v138, vcc_lo, v15, v3
	s_delay_alu instid0(VALU_DEP_3) | instskip(SKIP_1) | instid1(VALU_DEP_4)
	v_mad_co_u64_u32 v[10:11], null, s45, v11, v[0:1]
	v_mad_co_u64_u32 v[11:12], null, s44, v16, 0
	v_mov_b32_e32 v0, v8
	s_wait_alu 0xfffd
	v_sub_co_ci_u32_e64 v139, null, v13, v4, vcc_lo
	v_sub_co_u32 v140, vcc_lo, v9, v3
	s_delay_alu instid0(VALU_DEP_3)
	v_mad_co_u64_u32 v[13:14], null, s45, v14, v[0:1]
	v_mad_co_u64_u32 v[14:15], null, s44, v17, 0
	v_mov_b32_e32 v0, v12
	v_add_nc_u32_e32 v24, 0x200, v22
	s_wait_alu 0xfffd
	v_sub_co_ci_u32_e64 v141, null, v10, v4, vcc_lo
	v_sub_co_u32 v142, vcc_lo, v7, v3
	v_mad_co_u64_u32 v[8:9], null, s45, v16, v[0:1]
	v_mov_b32_e32 v7, v15
	v_mad_co_u64_u32 v[9:10], null, s44, v24, 0
	s_wait_alu 0xfffd
	v_sub_co_ci_u32_e64 v143, null, v13, v4, vcc_lo
	v_sub_co_u32 v144, vcc_lo, v11, v3
	v_mad_co_u64_u32 v[12:13], null, s45, v17, v[7:8]
	v_add_nc_u32_e32 v13, 0x208, v22
	s_wait_alu 0xfffd
	v_sub_co_ci_u32_e64 v145, null, v8, v4, vcc_lo
	v_mov_b32_e32 v0, v10
	v_add_nc_u32_e32 v16, 0x210, v22
	v_mad_co_u64_u32 v[7:8], null, s44, v13, 0
	v_sub_co_u32 v146, vcc_lo, v14, v3
	s_delay_alu instid0(VALU_DEP_4)
	v_mad_co_u64_u32 v[10:11], null, s45, v24, v[0:1]
	s_wait_alu 0xfffd
	v_sub_co_ci_u32_e64 v147, null, v12, v4, vcc_lo
	v_mad_co_u64_u32 v[11:12], null, s44, v16, 0
	v_dual_mov_b32 v0, v8 :: v_dual_add_nc_u32 v109, 0x2180, v22
	v_add_nc_u32_e32 v17, 0x218, v22
	v_add_nc_u32_e32 v117, 16, v107
	v_sub_co_u32 v148, vcc_lo, v9, v3
	s_delay_alu instid0(VALU_DEP_4) | instskip(NEXT) | instid1(VALU_DEP_4)
	v_mad_co_u64_u32 v[13:14], null, s45, v13, v[0:1]
	v_mad_co_u64_u32 v[14:15], null, s44, v17, 0
	v_mov_b32_e32 v0, v12
	s_wait_alu 0xfffd
	v_sub_co_ci_u32_e64 v149, null, v10, v4, vcc_lo
	v_sub_co_u32 v150, vcc_lo, v7, v3
	s_delay_alu instid0(VALU_DEP_3)
	v_mad_co_u64_u32 v[8:9], null, s45, v16, v[0:1]
	v_dual_mov_b32 v7, v15 :: v_dual_add_nc_u32 v24, 0x280, v22
	s_wait_alu 0xfffd
	v_sub_co_ci_u32_e64 v151, null, v13, v4, vcc_lo
	v_add_nc_u32_e32 v25, 0x288, v22
	v_add_nc_u32_e32 v26, 0x290, v22
	v_mad_co_u64_u32 v[9:10], null, s45, v17, v[7:8]
	v_mad_co_u64_u32 v[12:13], null, s44, v24, 0
	v_sub_co_u32 v152, vcc_lo, v11, v3
	v_mad_co_u64_u32 v[15:16], null, s44, v25, 0
	s_wait_alu 0xfffd
	v_sub_co_ci_u32_e64 v153, null, v8, v4, vcc_lo
	v_sub_co_u32 v154, vcc_lo, v14, v3
	v_dual_mov_b32 v0, v13 :: v_dual_add_nc_u32 v119, 18, v107
	s_wait_alu 0xfffd
	v_sub_co_ci_u32_e64 v155, null, v9, v4, vcc_lo
	v_mad_co_u64_u32 v[8:9], null, s44, v26, 0
	v_dual_mov_b32 v7, v16 :: v_dual_add_nc_u32 v22, 0x298, v22
	v_mad_co_u64_u32 v[10:11], null, s45, v24, v[0:1]
	v_add_nc_u32_e32 v121, 32, v107
	s_delay_alu instid0(VALU_DEP_3)
	v_mad_co_u64_u32 v[16:17], null, s44, v22, 0
	v_mov_b32_e32 v0, v9
	v_sub_co_u32 v156, vcc_lo, v12, v3
	v_add_nc_u32_e32 v123, 34, v107
	s_wait_alu 0xfffd
	v_sub_co_ci_u32_e64 v157, null, v10, v4, vcc_lo
	v_mad_co_u64_u32 v[9:10], null, s45, v26, v[0:1]
	v_mov_b32_e32 v0, v17
	v_mad_co_u64_u32 v[13:14], null, s45, v25, v[7:8]
	v_sub_co_u32 v158, vcc_lo, v15, v3
	s_delay_alu instid0(VALU_DEP_3)
	v_mad_co_u64_u32 v[10:11], null, s45, v22, v[0:1]
	s_mul_u64 s[54:55], s[20:21], s[18:19]
	v_lshlrev_b64_e32 v[57:58], 3, v[1:2]
	s_wait_alu 0xfffd
	v_sub_co_ci_u32_e64 v159, null, v13, v4, vcc_lo
	v_sub_co_u32 v160, vcc_lo, v8, v3
	s_wait_alu 0xfffd
	v_sub_co_ci_u32_e64 v161, null, v9, v4, vcc_lo
	v_sub_co_u32 v162, vcc_lo, v16, v3
	v_lshlrev_b64_e32 v[59:60], 3, v[5:6]
	v_cmp_gt_i32_e64 s1, s34, v55
	v_add_nc_u32_e32 v108, 0x2180, v98
	v_or_b32_e32 v114, 1, v107
	v_or_b32_e32 v115, 2, v107
	;; [unrolled: 1-line block ×3, first 2 shown]
	v_add_nc_u32_e32 v118, 17, v107
	v_add_nc_u32_e32 v120, 19, v107
	;; [unrolled: 1-line block ×8, first 2 shown]
	s_wait_alu 0xfffd
	v_sub_co_ci_u32_e64 v163, null, v10, v4, vcc_lo
	v_add_nc_u32_e32 v164, v111, v23
	v_add_nc_u32_e32 v165, v18, v19
	v_lshlrev_b32_e32 v166, 3, v55
	v_add_nc_u32_e32 v167, v18, v20
	v_add_nc_u32_e32 v168, v18, v21
	s_sub_nc_u64 s[58:59], 0, s[54:55]
	s_mul_u64 s[52:53], s[44:45], 0xc0
	s_cselect_b32 s19, -1, 0
	s_add_co_i32 s31, s30, -2
	s_and_b32 s67, s0, s66
	s_wait_alu 0xfffe
	s_sub_nc_u64 s[54:55], 0, s[34:35]
	s_add_co_i32 s68, s18, 64
	s_lshl_b64 s[44:45], s[44:45], 9
	s_lshl_b64 s[56:57], s[56:57], 3
	;; [unrolled: 1-line block ×3, first 2 shown]
	s_branch .LBB94_4
.LBB94_2:                               ;   in Loop: Header=BB94_4 Depth=1
	s_wait_alu 0xfffe
	s_or_b32 exec_lo, exec_lo, s18
.LBB94_3:                               ;   in Loop: Header=BB94_4 Depth=1
	s_add_co_i32 s28, s28, 0x10000
	s_delay_alu instid0(SALU_CYCLE_1)
	s_cmp_lt_u32 s28, s33
	s_cbranch_scc0 .LBB94_129
.LBB94_4:                               ; =>This Loop Header: Depth=1
                                        ;     Child Loop BB94_69 Depth 2
	s_mul_u64 s[60:61], s[38:39], s[28:29]
	s_mul_u64 s[62:63], s[26:27], s[28:29]
	s_wait_alu 0xfffe
	s_lshl_b64 s[60:61], s[60:61], 3
	s_lshl_b64 s[62:63], s[62:63], 3
	s_wait_alu 0xfffe
	s_add_nc_u64 s[60:61], s[36:37], s[60:61]
	s_add_nc_u64 s[62:63], s[24:25], s[62:63]
	s_clause 0x1
	global_load_b64 v[0:1], v56, s[60:61]
	global_load_b64 v[2:3], v56, s[62:63]
	s_wait_loadcnt 0x1
	v_cmp_eq_f64_e64 s18, 0, v[0:1]
	s_wait_loadcnt 0x0
	v_cmp_eq_f64_e32 vcc_lo, 1.0, v[2:3]
	s_and_b32 s60, s18, vcc_lo
	s_wait_alu 0xfffe
	s_and_b32 vcc_lo, exec_lo, s60
	s_wait_alu 0xfffe
	s_cbranch_vccnz .LBB94_3
; %bb.5:                                ;   in Loop: Header=BB94_4 Depth=1
	s_and_b32 vcc_lo, exec_lo, s18
	s_wait_alu 0xfffe
	s_cbranch_vccnz .LBB94_3
; %bb.6:                                ;   in Loop: Header=BB94_4 Depth=1
	s_mul_u64 s[60:61], s[22:23], s[28:29]
	s_wait_alu 0xfffe
	s_lshl_b64 s[60:61], s[60:61], 3
	s_wait_alu 0xfffe
	v_add_co_u32 v12, vcc_lo, v96, s60
	s_wait_alu 0xfffd
	v_add_co_ci_u32_e64 v13, null, s61, v97, vcc_lo
	s_and_saveexec_b32 s18, s0
	s_cbranch_execz .LBB94_10
; %bb.7:                                ;   in Loop: Header=BB94_4 Depth=1
	v_mov_b32_e32 v0, 0
	v_mov_b32_e32 v1, 0
	s_and_saveexec_b32 s60, s66
	s_cbranch_execz .LBB94_9
; %bb.8:                                ;   in Loop: Header=BB94_4 Depth=1
	global_load_b64 v[0:1], v[12:13], off
.LBB94_9:                               ;   in Loop: Header=BB94_4 Depth=1
	s_wait_alu 0xfffe
	s_or_b32 exec_lo, exec_lo, s60
	s_wait_loadcnt 0x0
	ds_store_b64 v99, v[0:1]
.LBB94_10:                              ;   in Loop: Header=BB94_4 Depth=1
	s_wait_alu 0xfffe
	s_or_b32 exec_lo, exec_lo, s18
	s_mul_u64 s[60:61], s[46:47], s[28:29]
	s_mov_b32 s18, -1
	s_wait_alu 0xfffe
	s_lshl_b64 s[60:61], s[60:61], 3
                                        ; implicit-def: $vgpr0_vgpr1
	s_wait_alu 0xfffe
	v_add_co_u32 v2, vcc_lo, v100, s60
	s_wait_alu 0xfffd
	v_add_co_ci_u32_e64 v3, null, s61, v101, vcc_lo
	s_and_b32 vcc_lo, exec_lo, s65
	s_wait_alu 0xfffe
	s_cbranch_vccz .LBB94_20
; %bb.11:                               ;   in Loop: Header=BB94_4 Depth=1
	v_add_co_u32 v0, vcc_lo, v2, v59
	s_wait_alu 0xfffd
	v_add_co_ci_u32_e64 v1, null, v3, v60, vcc_lo
	s_lshl_b64 s[60:61], s[34:35], 3
	v_mov_b32_e32 v6, 0
	s_wait_alu 0xfffe
	v_add_co_u32 v0, vcc_lo, v0, s60
	s_wait_alu 0xfffd
	v_add_co_ci_u32_e64 v1, null, s61, v1, vcc_lo
	v_dual_mov_b32 v7, 0 :: v_dual_mov_b32 v4, 0
	s_delay_alu instid0(VALU_DEP_3) | instskip(SKIP_1) | instid1(VALU_DEP_3)
	v_add_co_u32 v0, vcc_lo, v0, -8
	s_wait_alu 0xfffd
	v_add_co_ci_u32_e64 v1, null, -1, v1, vcc_lo
	v_mov_b32_e32 v5, 0
	s_delay_alu instid0(VALU_DEP_3) | instskip(NEXT) | instid1(VALU_DEP_3)
	v_cndmask_b32_e64 v0, v0, v2, s1
	v_cndmask_b32_e64 v1, v1, v3, s1
	s_and_saveexec_b32 s18, s2
	s_cbranch_execz .LBB94_13
; %bb.12:                               ;   in Loop: Header=BB94_4 Depth=1
	global_load_b64 v[4:5], v[0:1], off
.LBB94_13:                              ;   in Loop: Header=BB94_4 Depth=1
	s_wait_alu 0xfffe
	s_or_b32 exec_lo, exec_lo, s18
	s_wait_loadcnt 0x0
	ds_store_b64 v165, v[4:5]
	s_and_saveexec_b32 s18, s3
	s_cbranch_execz .LBB94_15
; %bb.14:                               ;   in Loop: Header=BB94_4 Depth=1
	v_add_co_u32 v4, vcc_lo, v0, s48
	s_wait_alu 0xfffd
	v_add_co_ci_u32_e64 v5, null, s49, v1, vcc_lo
	global_load_b64 v[6:7], v[4:5], off
.LBB94_15:                              ;   in Loop: Header=BB94_4 Depth=1
	s_wait_alu 0xfffe
	s_or_b32 exec_lo, exec_lo, s18
	v_mov_b32_e32 v4, 0
	v_dual_mov_b32 v5, 0 :: v_dual_mov_b32 v8, 0
	v_mov_b32_e32 v9, 0
	s_wait_loadcnt 0x0
	ds_store_b64 v165, v[6:7] offset:2112
	s_and_saveexec_b32 s18, s4
	s_cbranch_execz .LBB94_17
; %bb.16:                               ;   in Loop: Header=BB94_4 Depth=1
	v_add_co_u32 v6, vcc_lo, v0, s50
	s_wait_alu 0xfffd
	v_add_co_ci_u32_e64 v7, null, s51, v1, vcc_lo
	global_load_b64 v[8:9], v[6:7], off
.LBB94_17:                              ;   in Loop: Header=BB94_4 Depth=1
	s_wait_alu 0xfffe
	s_or_b32 exec_lo, exec_lo, s18
	s_wait_loadcnt 0x0
	ds_store_b64 v165, v[8:9] offset:4224
	s_and_saveexec_b32 s18, s5
	s_cbranch_execz .LBB94_19
; %bb.18:                               ;   in Loop: Header=BB94_4 Depth=1
	v_add_co_u32 v4, vcc_lo, v0, s52
	s_wait_alu 0xfffd
	v_add_co_ci_u32_e64 v5, null, s53, v1, vcc_lo
	global_load_b64 v[4:5], v[4:5], off
.LBB94_19:                              ;   in Loop: Header=BB94_4 Depth=1
	s_wait_alu 0xfffe
	s_or_b32 exec_lo, exec_lo, s18
	v_add_co_u32 v0, vcc_lo, v0, v166
	s_wait_alu 0xfffd
	v_add_co_ci_u32_e64 v1, null, 0, v1, vcc_lo
	s_lshl_b64 s[60:61], s[54:55], 3
	s_mov_b32 s18, 0
	s_wait_alu 0xfffe
	v_add_co_u32 v0, vcc_lo, v0, s60
	s_wait_alu 0xfffd
	v_add_co_ci_u32_e64 v1, null, s61, v1, vcc_lo
	s_wait_loadcnt 0x0
	ds_store_b64 v165, v[4:5] offset:6336
	v_add_co_u32 v0, vcc_lo, v0, 8
	s_wait_alu 0xfffd
	v_add_co_ci_u32_e64 v1, null, 0, v1, vcc_lo
	s_delay_alu instid0(VALU_DEP_2) | instskip(NEXT) | instid1(VALU_DEP_2)
	v_cndmask_b32_e64 v0, v0, v2, s1
	v_cndmask_b32_e64 v1, v1, v3, s1
.LBB94_20:                              ;   in Loop: Header=BB94_4 Depth=1
	s_and_b32 vcc_lo, exec_lo, s18
	s_wait_alu 0xfffe
	s_cbranch_vccz .LBB94_22
; %bb.21:                               ;   in Loop: Header=BB94_4 Depth=1
	v_add_co_u32 v0, vcc_lo, v2, s48
	s_wait_alu 0xfffd
	v_add_co_ci_u32_e64 v1, null, s49, v3, vcc_lo
	s_delay_alu instid0(VALU_DEP_2) | instskip(SKIP_1) | instid1(VALU_DEP_2)
	v_add_co_u32 v4, vcc_lo, v0, s48
	s_wait_alu 0xfffd
	v_add_co_ci_u32_e64 v5, null, s49, v1, vcc_lo
	s_delay_alu instid0(VALU_DEP_2) | instskip(SKIP_1) | instid1(VALU_DEP_2)
	v_add_co_u32 v6, vcc_lo, v4, s48
	s_wait_alu 0xfffd
	v_add_co_ci_u32_e64 v7, null, s49, v5, vcc_lo
	s_clause 0x3
	global_load_b64 v[8:9], v[2:3], off
	global_load_b64 v[10:11], v[0:1], off
	;; [unrolled: 1-line block ×4, first 2 shown]
	v_dual_mov_b32 v0, v2 :: v_dual_mov_b32 v1, v3
	s_wait_loadcnt 0x3
	ds_store_b64 v165, v[8:9]
	s_wait_loadcnt 0x2
	ds_store_b64 v165, v[10:11] offset:2112
	s_wait_loadcnt 0x1
	ds_store_b64 v165, v[4:5] offset:4224
	;; [unrolled: 2-line block ×3, first 2 shown]
.LBB94_22:                              ;   in Loop: Header=BB94_4 Depth=1
	s_wait_dscnt 0x0
	s_barrier_signal -1
	s_barrier_wait -1
	global_inv scope:SCOPE_SE
	s_and_saveexec_b32 s18, s6
	s_cbranch_execnz .LBB94_123
; %bb.23:                               ;   in Loop: Header=BB94_4 Depth=1
	s_wait_alu 0xfffe
	s_or_b32 exec_lo, exec_lo, s18
	s_and_saveexec_b32 s18, s7
	s_cbranch_execnz .LBB94_124
.LBB94_24:                              ;   in Loop: Header=BB94_4 Depth=1
	s_wait_alu 0xfffe
	s_or_b32 exec_lo, exec_lo, s18
	s_and_saveexec_b32 s18, s8
	s_cbranch_execnz .LBB94_125
.LBB94_25:                              ;   in Loop: Header=BB94_4 Depth=1
	s_wait_alu 0xfffe
	s_or_b32 exec_lo, exec_lo, s18
	s_and_saveexec_b32 s18, s9
	s_cbranch_execz .LBB94_27
.LBB94_26:                              ;   in Loop: Header=BB94_4 Depth=1
	ds_load_b64 v[2:3], v168 offset:528
	s_wait_dscnt 0x0
	ds_store_b64 v103, v[2:3] offset:24
.LBB94_27:                              ;   in Loop: Header=BB94_4 Depth=1
	s_wait_alu 0xfffe
	s_or_b32 exec_lo, exec_lo, s18
	s_wait_loadcnt_dscnt 0x0
	s_barrier_signal -1
	s_barrier_wait -1
	global_inv scope:SCOPE_SE
	ds_load_b64 v[10:11], v167
	ds_load_b128 v[2:5], v104
	ds_load_b128 v[6:9], v104 offset:16
	ds_load_b64 v[18:19], v168 offset:528
	ds_load_2addr_b64 v[14:17], v168 offset1:33
	v_mov_b32_e32 v61, 0
	v_mov_b32_e32 v62, 0
	s_wait_loadcnt_dscnt 0x0
	s_barrier_signal -1
	s_barrier_wait -1
	global_inv scope:SCOPE_SE
	v_fma_f64 v[2:3], v[10:11], v[2:3], 0
	s_delay_alu instid0(VALU_DEP_1) | instskip(NEXT) | instid1(VALU_DEP_1)
	v_fma_f64 v[2:3], v[14:15], v[4:5], v[2:3]
	v_fma_f64 v[2:3], v[16:17], v[6:7], v[2:3]
	s_delay_alu instid0(VALU_DEP_1)
	v_fma_f64 v[2:3], v[18:19], v[8:9], v[2:3]
	ds_store_b64 v105, v[2:3]
	s_wait_loadcnt_dscnt 0x0
	s_barrier_signal -1
	s_barrier_wait -1
	global_inv scope:SCOPE_SE
	s_and_saveexec_b32 s18, s10
	s_cbranch_execz .LBB94_29
; %bb.28:                               ;   in Loop: Header=BB94_4 Depth=1
	ds_load_2addr_b64 v[2:5], v102 offset1:1
	ds_load_2addr_b64 v[6:9], v102 offset0:2 offset1:3
	s_wait_dscnt 0x1
	v_add_f64_e32 v[2:3], v[2:3], v[4:5]
	s_wait_dscnt 0x0
	s_delay_alu instid0(VALU_DEP_1) | instskip(NEXT) | instid1(VALU_DEP_1)
	v_add_f64_e32 v[2:3], v[2:3], v[6:7]
	v_add_f64_e32 v[10:11], v[2:3], v[8:9]
	ds_load_2addr_b64 v[2:5], v102 offset0:4 offset1:5
	ds_load_2addr_b64 v[6:9], v102 offset0:6 offset1:7
	s_wait_dscnt 0x1
	v_add_f64_e32 v[2:3], v[10:11], v[2:3]
	s_delay_alu instid0(VALU_DEP_1) | instskip(SKIP_1) | instid1(VALU_DEP_1)
	v_add_f64_e32 v[2:3], v[2:3], v[4:5]
	s_wait_dscnt 0x0
	v_add_f64_e32 v[2:3], v[2:3], v[6:7]
	s_delay_alu instid0(VALU_DEP_1)
	v_add_f64_e32 v[61:62], v[2:3], v[8:9]
.LBB94_29:                              ;   in Loop: Header=BB94_4 Depth=1
	s_wait_alu 0xfffe
	s_or_b32 exec_lo, exec_lo, s18
	v_add_co_u32 v4, vcc_lo, v0, s56
	s_wait_alu 0xfffd
	v_add_co_ci_u32_e64 v5, null, s57, v1, vcc_lo
	s_mov_b32 s18, -1
	v_add_co_u32 v2, vcc_lo, 0x100, v4
	s_wait_alu 0xfffd
	v_add_co_ci_u32_e64 v3, null, 0, v5, vcc_lo
	s_and_b32 vcc_lo, exec_lo, s65
	s_wait_loadcnt 0x0
	s_barrier_signal -1
	s_barrier_wait -1
	global_inv scope:SCOPE_SE
                                        ; implicit-def: $vgpr0_vgpr1
	s_wait_alu 0xfffe
	s_cbranch_vccz .LBB94_39
; %bb.30:                               ;   in Loop: Header=BB94_4 Depth=1
	v_add_co_u32 v0, vcc_lo, v4, v59
	s_wait_alu 0xfffd
	v_add_co_ci_u32_e64 v1, null, v5, v60, vcc_lo
	s_lshl_b64 s[60:61], s[34:35], 3
	v_mov_b32_e32 v8, 0
	s_wait_alu 0xfffe
	v_add_co_u32 v0, vcc_lo, v0, s60
	s_wait_alu 0xfffd
	v_add_co_ci_u32_e64 v1, null, s61, v1, vcc_lo
	v_dual_mov_b32 v9, 0 :: v_dual_mov_b32 v6, 0
	s_delay_alu instid0(VALU_DEP_3) | instskip(SKIP_1) | instid1(VALU_DEP_3)
	v_add_co_u32 v0, vcc_lo, v0, -8
	s_wait_alu 0xfffd
	v_add_co_ci_u32_e64 v1, null, -1, v1, vcc_lo
	v_mov_b32_e32 v7, 0
	s_delay_alu instid0(VALU_DEP_3) | instskip(NEXT) | instid1(VALU_DEP_3)
	v_cndmask_b32_e64 v0, v0, v2, s11
	v_cndmask_b32_e64 v1, v1, v3, s11
	s_and_saveexec_b32 s18, s12
	s_cbranch_execz .LBB94_32
; %bb.31:                               ;   in Loop: Header=BB94_4 Depth=1
	global_load_b64 v[6:7], v[0:1], off
.LBB94_32:                              ;   in Loop: Header=BB94_4 Depth=1
	s_wait_alu 0xfffe
	s_or_b32 exec_lo, exec_lo, s18
	s_wait_loadcnt 0x0
	ds_store_b64 v165, v[6:7]
	s_and_saveexec_b32 s18, s13
	s_cbranch_execz .LBB94_34
; %bb.33:                               ;   in Loop: Header=BB94_4 Depth=1
	v_add_co_u32 v6, vcc_lo, v0, s48
	s_wait_alu 0xfffd
	v_add_co_ci_u32_e64 v7, null, s49, v1, vcc_lo
	global_load_b64 v[8:9], v[6:7], off
.LBB94_34:                              ;   in Loop: Header=BB94_4 Depth=1
	s_wait_alu 0xfffe
	s_or_b32 exec_lo, exec_lo, s18
	v_mov_b32_e32 v6, 0
	v_dual_mov_b32 v7, 0 :: v_dual_mov_b32 v10, 0
	v_mov_b32_e32 v11, 0
	s_wait_loadcnt 0x0
	ds_store_b64 v165, v[8:9] offset:2112
	s_and_saveexec_b32 s18, s14
	s_cbranch_execz .LBB94_36
; %bb.35:                               ;   in Loop: Header=BB94_4 Depth=1
	v_add_co_u32 v8, vcc_lo, v0, s50
	s_wait_alu 0xfffd
	v_add_co_ci_u32_e64 v9, null, s51, v1, vcc_lo
	global_load_b64 v[10:11], v[8:9], off
.LBB94_36:                              ;   in Loop: Header=BB94_4 Depth=1
	s_wait_alu 0xfffe
	s_or_b32 exec_lo, exec_lo, s18
	s_wait_loadcnt 0x0
	ds_store_b64 v165, v[10:11] offset:4224
	s_and_saveexec_b32 s18, s15
	s_cbranch_execz .LBB94_38
; %bb.37:                               ;   in Loop: Header=BB94_4 Depth=1
	v_add_co_u32 v6, vcc_lo, v0, s52
	s_wait_alu 0xfffd
	v_add_co_ci_u32_e64 v7, null, s53, v1, vcc_lo
	global_load_b64 v[6:7], v[6:7], off
.LBB94_38:                              ;   in Loop: Header=BB94_4 Depth=1
	s_wait_alu 0xfffe
	s_or_b32 exec_lo, exec_lo, s18
	v_add_co_u32 v0, vcc_lo, v0, v166
	s_wait_alu 0xfffd
	v_add_co_ci_u32_e64 v1, null, 0, v1, vcc_lo
	s_lshl_b64 s[60:61], s[54:55], 3
	s_mov_b32 s18, 0
	s_wait_alu 0xfffe
	v_add_co_u32 v0, vcc_lo, v0, s60
	s_wait_alu 0xfffd
	v_add_co_ci_u32_e64 v1, null, s61, v1, vcc_lo
	s_wait_loadcnt 0x0
	ds_store_b64 v165, v[6:7] offset:6336
	v_add_co_u32 v0, vcc_lo, 0x108, v0
	s_wait_alu 0xfffd
	v_add_co_ci_u32_e64 v1, null, 0, v1, vcc_lo
	s_delay_alu instid0(VALU_DEP_2) | instskip(NEXT) | instid1(VALU_DEP_2)
	v_cndmask_b32_e64 v0, v0, v2, s11
	v_cndmask_b32_e64 v1, v1, v3, s11
.LBB94_39:                              ;   in Loop: Header=BB94_4 Depth=1
	s_and_b32 vcc_lo, exec_lo, s18
	s_wait_alu 0xfffe
	s_cbranch_vccz .LBB94_41
; %bb.40:                               ;   in Loop: Header=BB94_4 Depth=1
	v_add_co_u32 v0, vcc_lo, v4, s48
	s_wait_alu 0xfffd
	v_add_co_ci_u32_e64 v1, null, s49, v5, vcc_lo
	s_delay_alu instid0(VALU_DEP_2) | instskip(SKIP_1) | instid1(VALU_DEP_2)
	v_add_co_u32 v6, vcc_lo, v0, s48
	s_wait_alu 0xfffd
	v_add_co_ci_u32_e64 v7, null, s49, v1, vcc_lo
	s_delay_alu instid0(VALU_DEP_2) | instskip(SKIP_1) | instid1(VALU_DEP_2)
	v_add_co_u32 v8, vcc_lo, v6, s48
	s_wait_alu 0xfffd
	v_add_co_ci_u32_e64 v9, null, s49, v7, vcc_lo
	s_clause 0x3
	global_load_b64 v[4:5], v[4:5], off offset:256
	global_load_b64 v[10:11], v[0:1], off offset:256
	;; [unrolled: 1-line block ×4, first 2 shown]
	v_dual_mov_b32 v0, v2 :: v_dual_mov_b32 v1, v3
	s_wait_loadcnt 0x3
	ds_store_b64 v165, v[4:5]
	s_wait_loadcnt 0x2
	ds_store_b64 v165, v[10:11] offset:2112
	s_wait_loadcnt 0x1
	ds_store_b64 v165, v[6:7] offset:4224
	;; [unrolled: 2-line block ×3, first 2 shown]
.LBB94_41:                              ;   in Loop: Header=BB94_4 Depth=1
	s_wait_loadcnt_dscnt 0x0
	s_barrier_signal -1
	s_barrier_wait -1
	global_inv scope:SCOPE_SE
	s_and_saveexec_b32 s18, s6
	s_cbranch_execnz .LBB94_126
; %bb.42:                               ;   in Loop: Header=BB94_4 Depth=1
	s_wait_alu 0xfffe
	s_or_b32 exec_lo, exec_lo, s18
	s_and_saveexec_b32 s18, s7
	s_cbranch_execnz .LBB94_127
.LBB94_43:                              ;   in Loop: Header=BB94_4 Depth=1
	s_wait_alu 0xfffe
	s_or_b32 exec_lo, exec_lo, s18
	s_and_saveexec_b32 s18, s8
	s_cbranch_execnz .LBB94_128
.LBB94_44:                              ;   in Loop: Header=BB94_4 Depth=1
	s_wait_alu 0xfffe
	s_or_b32 exec_lo, exec_lo, s18
	s_and_saveexec_b32 s18, s9
	s_cbranch_execz .LBB94_46
.LBB94_45:                              ;   in Loop: Header=BB94_4 Depth=1
	ds_load_b64 v[2:3], v168 offset:528
	s_wait_dscnt 0x0
	ds_store_b64 v103, v[2:3] offset:24
.LBB94_46:                              ;   in Loop: Header=BB94_4 Depth=1
	s_wait_alu 0xfffe
	s_or_b32 exec_lo, exec_lo, s18
	s_wait_loadcnt_dscnt 0x0
	s_barrier_signal -1
	s_barrier_wait -1
	global_inv scope:SCOPE_SE
	ds_load_b64 v[10:11], v167
	ds_load_b128 v[2:5], v104 offset:256
	ds_load_b128 v[6:9], v104 offset:272
	ds_load_b64 v[18:19], v168 offset:528
	ds_load_2addr_b64 v[14:17], v168 offset1:33
	s_wait_loadcnt_dscnt 0x0
	s_barrier_signal -1
	s_barrier_wait -1
	global_inv scope:SCOPE_SE
	v_fma_f64 v[2:3], v[10:11], v[2:3], 0
	s_delay_alu instid0(VALU_DEP_1) | instskip(NEXT) | instid1(VALU_DEP_1)
	v_fma_f64 v[2:3], v[14:15], v[4:5], v[2:3]
	v_fma_f64 v[2:3], v[16:17], v[6:7], v[2:3]
	s_delay_alu instid0(VALU_DEP_1)
	v_fma_f64 v[2:3], v[18:19], v[8:9], v[2:3]
	ds_store_b64 v105, v[2:3]
	s_wait_loadcnt_dscnt 0x0
	s_barrier_signal -1
	s_barrier_wait -1
	global_inv scope:SCOPE_SE
	s_and_saveexec_b32 s18, s16
	s_cbranch_execz .LBB94_48
; %bb.47:                               ;   in Loop: Header=BB94_4 Depth=1
	ds_load_2addr_b64 v[2:5], v102 offset1:1
	ds_load_2addr_b64 v[6:9], v102 offset0:2 offset1:3
	s_wait_dscnt 0x1
	v_add_f64_e32 v[2:3], v[2:3], v[4:5]
	s_wait_dscnt 0x0
	s_delay_alu instid0(VALU_DEP_1) | instskip(NEXT) | instid1(VALU_DEP_1)
	v_add_f64_e32 v[2:3], v[2:3], v[6:7]
	v_add_f64_e32 v[10:11], v[2:3], v[8:9]
	ds_load_2addr_b64 v[2:5], v102 offset0:4 offset1:5
	ds_load_2addr_b64 v[6:9], v102 offset0:6 offset1:7
	s_wait_dscnt 0x1
	v_add_f64_e32 v[2:3], v[10:11], v[2:3]
	s_delay_alu instid0(VALU_DEP_1) | instskip(SKIP_1) | instid1(VALU_DEP_1)
	v_add_f64_e32 v[2:3], v[2:3], v[4:5]
	s_wait_dscnt 0x0
	v_add_f64_e32 v[2:3], v[2:3], v[6:7]
	s_delay_alu instid0(VALU_DEP_1)
	v_add_f64_e32 v[61:62], v[2:3], v[8:9]
.LBB94_48:                              ;   in Loop: Header=BB94_4 Depth=1
	s_wait_alu 0xfffe
	s_or_b32 exec_lo, exec_lo, s18
	v_add_co_u32 v2, vcc_lo, 0xffffff00, v0
	s_wait_alu 0xfffd
	v_add_co_ci_u32_e64 v3, null, -1, v1, vcc_lo
	s_and_b32 vcc_lo, exec_lo, s65
	s_mov_b32 s18, -1
	s_wait_loadcnt 0x0
	s_barrier_signal -1
	s_barrier_wait -1
	global_inv scope:SCOPE_SE
                                        ; implicit-def: $vgpr14_vgpr15
	s_wait_alu 0xfffe
	s_cbranch_vccz .LBB94_58
; %bb.49:                               ;   in Loop: Header=BB94_4 Depth=1
	v_add_co_u32 v4, vcc_lo, v0, v59
	s_wait_alu 0xfffd
	v_add_co_ci_u32_e64 v5, null, v1, v60, vcc_lo
	s_lshl_b64 s[60:61], s[34:35], 3
	v_mov_b32_e32 v8, 0
	s_wait_alu 0xfffe
	v_add_co_u32 v4, vcc_lo, v4, s60
	s_wait_alu 0xfffd
	v_add_co_ci_u32_e64 v5, null, s61, v5, vcc_lo
	v_dual_mov_b32 v9, 0 :: v_dual_mov_b32 v6, 0
	s_delay_alu instid0(VALU_DEP_3) | instskip(SKIP_1) | instid1(VALU_DEP_3)
	v_add_co_u32 v4, vcc_lo, 0xfffffef8, v4
	s_wait_alu 0xfffd
	v_add_co_ci_u32_e64 v5, null, -1, v5, vcc_lo
	v_mov_b32_e32 v7, 0
	s_delay_alu instid0(VALU_DEP_3) | instskip(NEXT) | instid1(VALU_DEP_3)
	v_cndmask_b32_e64 v4, v4, v2, s1
	v_cndmask_b32_e64 v5, v5, v3, s1
	s_and_saveexec_b32 s18, s12
	s_cbranch_execz .LBB94_51
; %bb.50:                               ;   in Loop: Header=BB94_4 Depth=1
	global_load_b64 v[6:7], v[4:5], off
.LBB94_51:                              ;   in Loop: Header=BB94_4 Depth=1
	s_wait_alu 0xfffe
	s_or_b32 exec_lo, exec_lo, s18
	s_wait_loadcnt 0x0
	ds_store_b64 v165, v[6:7]
	s_and_saveexec_b32 s18, s13
	s_cbranch_execz .LBB94_53
; %bb.52:                               ;   in Loop: Header=BB94_4 Depth=1
	v_add_co_u32 v6, vcc_lo, v4, s48
	s_wait_alu 0xfffd
	v_add_co_ci_u32_e64 v7, null, s49, v5, vcc_lo
	global_load_b64 v[8:9], v[6:7], off
.LBB94_53:                              ;   in Loop: Header=BB94_4 Depth=1
	s_wait_alu 0xfffe
	s_or_b32 exec_lo, exec_lo, s18
	v_mov_b32_e32 v6, 0
	v_dual_mov_b32 v7, 0 :: v_dual_mov_b32 v10, 0
	v_mov_b32_e32 v11, 0
	s_wait_loadcnt 0x0
	ds_store_b64 v165, v[8:9] offset:2112
	s_and_saveexec_b32 s18, s14
	s_cbranch_execz .LBB94_55
; %bb.54:                               ;   in Loop: Header=BB94_4 Depth=1
	v_add_co_u32 v8, vcc_lo, v4, s50
	s_wait_alu 0xfffd
	v_add_co_ci_u32_e64 v9, null, s51, v5, vcc_lo
	global_load_b64 v[10:11], v[8:9], off
.LBB94_55:                              ;   in Loop: Header=BB94_4 Depth=1
	s_wait_alu 0xfffe
	s_or_b32 exec_lo, exec_lo, s18
	s_wait_loadcnt 0x0
	ds_store_b64 v165, v[10:11] offset:4224
	s_and_saveexec_b32 s18, s15
	s_cbranch_execz .LBB94_57
; %bb.56:                               ;   in Loop: Header=BB94_4 Depth=1
	v_add_co_u32 v6, vcc_lo, v4, s52
	s_wait_alu 0xfffd
	v_add_co_ci_u32_e64 v7, null, s53, v5, vcc_lo
	global_load_b64 v[6:7], v[6:7], off
.LBB94_57:                              ;   in Loop: Header=BB94_4 Depth=1
	s_wait_alu 0xfffe
	s_or_b32 exec_lo, exec_lo, s18
	v_add_co_u32 v4, vcc_lo, v4, v166
	s_wait_alu 0xfffd
	v_add_co_ci_u32_e64 v5, null, 0, v5, vcc_lo
	s_lshl_b64 s[60:61], s[54:55], 3
	s_mov_b32 s18, 0
	s_wait_alu 0xfffe
	v_add_co_u32 v4, vcc_lo, v4, s60
	s_wait_alu 0xfffd
	v_add_co_ci_u32_e64 v5, null, s61, v5, vcc_lo
	s_wait_loadcnt 0x0
	ds_store_b64 v165, v[6:7] offset:6336
	v_add_co_u32 v4, vcc_lo, v4, 8
	s_wait_alu 0xfffd
	v_add_co_ci_u32_e64 v5, null, 0, v5, vcc_lo
	s_delay_alu instid0(VALU_DEP_2) | instskip(NEXT) | instid1(VALU_DEP_2)
	v_cndmask_b32_e64 v14, v4, v2, s1
	v_cndmask_b32_e64 v15, v5, v3, s1
.LBB94_58:                              ;   in Loop: Header=BB94_4 Depth=1
	s_and_b32 vcc_lo, exec_lo, s18
	s_wait_alu 0xfffe
	s_cbranch_vccz .LBB94_60
; %bb.59:                               ;   in Loop: Header=BB94_4 Depth=1
	v_add_co_u32 v4, vcc_lo, v0, s48
	s_wait_alu 0xfffd
	v_add_co_ci_u32_e64 v5, null, s49, v1, vcc_lo
	v_dual_mov_b32 v15, v3 :: v_dual_mov_b32 v14, v2
	s_delay_alu instid0(VALU_DEP_3) | instskip(SKIP_1) | instid1(VALU_DEP_3)
	v_add_co_u32 v6, vcc_lo, v4, s48
	s_wait_alu 0xfffd
	v_add_co_ci_u32_e64 v7, null, s49, v5, vcc_lo
	s_delay_alu instid0(VALU_DEP_2) | instskip(SKIP_1) | instid1(VALU_DEP_2)
	v_add_co_u32 v8, vcc_lo, v6, s48
	s_wait_alu 0xfffd
	v_add_co_ci_u32_e64 v9, null, s49, v7, vcc_lo
	s_clause 0x3
	global_load_b64 v[0:1], v[0:1], off offset:-256
	global_load_b64 v[4:5], v[4:5], off offset:-256
	;; [unrolled: 1-line block ×4, first 2 shown]
	s_wait_loadcnt 0x3
	ds_store_b64 v165, v[0:1]
	s_wait_loadcnt 0x2
	ds_store_b64 v165, v[4:5] offset:2112
	s_wait_loadcnt 0x1
	ds_store_b64 v165, v[6:7] offset:4224
	s_wait_loadcnt 0x0
	ds_store_b64 v165, v[8:9] offset:6336
.LBB94_60:                              ;   in Loop: Header=BB94_4 Depth=1
	v_add_nc_u32_e32 v0, v103, v106
	v_add_nc_u32_e32 v2, v104, v106
	s_wait_loadcnt_dscnt 0x0
	s_barrier_signal -1
	s_barrier_wait -1
	global_inv scope:SCOPE_SE
	ds_load_b64 v[0:1], v0
	ds_load_b64 v[2:3], v2
	ds_load_b64 v[8:9], v131 offset:192
	s_wait_dscnt 0x1
	v_fma_f64 v[10:11], v[0:1], v[2:3], 0
	ds_load_2addr_b64 v[0:3], v130 offset0:8 offset1:16
	ds_load_2addr_b64 v[4:7], v131 offset0:8 offset1:16
	s_wait_dscnt 0x0
	v_fma_f64 v[0:1], v[0:1], v[4:5], v[10:11]
	s_delay_alu instid0(VALU_DEP_1)
	v_fma_f64 v[0:1], v[2:3], v[6:7], v[0:1]
	ds_load_b64 v[2:3], v130 offset:192
	s_wait_dscnt 0x0
	v_fma_f64 v[20:21], v[2:3], v[8:9], v[0:1]
	ds_load_b128 v[8:11], v104 offset:256
	ds_load_b128 v[0:3], v104 offset:272
	ds_load_2addr_b64 v[4:7], v168 offset1:33
	ds_load_b64 v[18:19], v167
	ds_load_b64 v[16:17], v168 offset:528
	s_wait_loadcnt_dscnt 0x0
	s_barrier_signal -1
	s_barrier_wait -1
	global_inv scope:SCOPE_SE
	ds_store_b64 v105, v[20:21]
	s_wait_loadcnt_dscnt 0x0
	s_barrier_signal -1
	s_barrier_wait -1
	global_inv scope:SCOPE_SE
	s_and_saveexec_b32 s18, s16
	s_cbranch_execz .LBB94_62
; %bb.61:                               ;   in Loop: Header=BB94_4 Depth=1
	ds_load_2addr_b64 v[20:23], v102 offset1:1
	ds_load_2addr_b64 v[24:27], v102 offset0:2 offset1:3
	s_wait_dscnt 0x1
	v_add_f64_e32 v[20:21], v[61:62], v[20:21]
	s_delay_alu instid0(VALU_DEP_1) | instskip(SKIP_1) | instid1(VALU_DEP_1)
	v_add_f64_e32 v[20:21], v[20:21], v[22:23]
	s_wait_dscnt 0x0
	v_add_f64_e32 v[20:21], v[20:21], v[24:25]
	s_delay_alu instid0(VALU_DEP_1) | instskip(SKIP_4) | instid1(VALU_DEP_1)
	v_add_f64_e32 v[28:29], v[20:21], v[26:27]
	ds_load_2addr_b64 v[20:23], v102 offset0:4 offset1:5
	ds_load_2addr_b64 v[24:27], v102 offset0:6 offset1:7
	s_wait_dscnt 0x1
	v_add_f64_e32 v[20:21], v[28:29], v[20:21]
	v_add_f64_e32 v[20:21], v[20:21], v[22:23]
	s_wait_dscnt 0x0
	s_delay_alu instid0(VALU_DEP_1) | instskip(NEXT) | instid1(VALU_DEP_1)
	v_add_f64_e32 v[20:21], v[20:21], v[24:25]
	v_add_f64_e32 v[61:62], v[20:21], v[26:27]
.LBB94_62:                              ;   in Loop: Header=BB94_4 Depth=1
	s_wait_alu 0xfffe
	s_or_b32 exec_lo, exec_lo, s18
	v_fma_f64 v[8:9], v[18:19], v[8:9], 0
	s_wait_loadcnt 0x0
	s_barrier_signal -1
	s_barrier_wait -1
	global_inv scope:SCOPE_SE
	v_fma_f64 v[4:5], v[4:5], v[10:11], v[8:9]
	s_delay_alu instid0(VALU_DEP_1) | instskip(NEXT) | instid1(VALU_DEP_1)
	v_fma_f64 v[0:1], v[6:7], v[0:1], v[4:5]
	v_fma_f64 v[0:1], v[16:17], v[2:3], v[0:1]
	ds_store_b64 v105, v[0:1]
	s_wait_loadcnt_dscnt 0x0
	s_barrier_signal -1
	s_barrier_wait -1
	global_inv scope:SCOPE_SE
	s_and_saveexec_b32 s18, s10
	s_cbranch_execz .LBB94_64
; %bb.63:                               ;   in Loop: Header=BB94_4 Depth=1
	ds_load_2addr_b64 v[0:3], v102 offset1:1
	ds_load_2addr_b64 v[4:7], v102 offset0:2 offset1:3
	s_wait_dscnt 0x1
	v_add_f64_e32 v[0:1], v[61:62], v[0:1]
	s_delay_alu instid0(VALU_DEP_1) | instskip(SKIP_1) | instid1(VALU_DEP_1)
	v_add_f64_e32 v[0:1], v[0:1], v[2:3]
	s_wait_dscnt 0x0
	v_add_f64_e32 v[0:1], v[0:1], v[4:5]
	s_delay_alu instid0(VALU_DEP_1) | instskip(SKIP_4) | instid1(VALU_DEP_1)
	v_add_f64_e32 v[8:9], v[0:1], v[6:7]
	ds_load_2addr_b64 v[0:3], v102 offset0:4 offset1:5
	ds_load_2addr_b64 v[4:7], v102 offset0:6 offset1:7
	s_wait_dscnt 0x1
	v_add_f64_e32 v[0:1], v[8:9], v[0:1]
	v_add_f64_e32 v[0:1], v[0:1], v[2:3]
	s_wait_dscnt 0x0
	s_delay_alu instid0(VALU_DEP_1) | instskip(NEXT) | instid1(VALU_DEP_1)
	v_add_f64_e32 v[0:1], v[0:1], v[4:5]
	v_add_f64_e32 v[61:62], v[0:1], v[6:7]
.LBB94_64:                              ;   in Loop: Header=BB94_4 Depth=1
	s_wait_alu 0xfffe
	s_or_b32 exec_lo, exec_lo, s18
	s_mul_u64 s[60:61], s[40:41], s[28:29]
	s_and_not1_b32 vcc_lo, exec_lo, s19
	s_wait_alu 0xfffe
	s_lshl_b64 s[60:61], s[60:61], 3
	s_wait_loadcnt 0x0
	s_wait_alu 0xfffe
	s_add_nc_u64 s[60:61], s[42:43], s[60:61]
	s_barrier_signal -1
	s_barrier_wait -1
	global_inv scope:SCOPE_SE
	s_cbranch_vccnz .LBB94_121
; %bb.65:                               ;   in Loop: Header=BB94_4 Depth=1
	v_add_co_u32 v169, vcc_lo, v12, s58
	s_wait_alu 0xfffd
	v_add_co_ci_u32_e64 v170, null, s59, v13, vcc_lo
	v_add_co_u32 v171, vcc_lo, v14, v132
	s_wait_alu 0xfffd
	v_add_co_ci_u32_e64 v172, null, v15, v133, vcc_lo
	;; [unrolled: 3-line block ×17, first 2 shown]
	s_mov_b32 s69, ttmp9
	s_mov_b32 s62, s68
	s_cmp_eq_u32 s31, s69
	s_cselect_b32 s70, s64, 0
	s_and_saveexec_b32 s18, s0
	s_cbranch_execz .LBB94_69
.LBB94_66:                              ;   in Loop: Header=BB94_4 Depth=1
	s_wait_alu 0xfffe
	v_cmp_gt_i32_e32 vcc_lo, s70, v95
	s_cmp_eq_u32 s70, 0
	v_mov_b32_e32 v0, 0
	v_mov_b32_e32 v1, 0
	s_cselect_b32 s63, -1, 0
	s_wait_alu 0xfffe
	s_or_b32 s63, s63, vcc_lo
	s_wait_alu 0xfffe
	s_and_saveexec_b32 s71, s63
	s_cbranch_execz .LBB94_68
; %bb.67:                               ;   in Loop: Header=BB94_4 Depth=1
	s_ashr_i32 s63, s62, 31
	s_wait_alu 0xfffe
	s_mul_u64 s[72:73], s[20:21], s[62:63]
	s_wait_alu 0xfffe
	s_lshl_b64 s[72:73], s[72:73], 3
	s_wait_alu 0xfffe
	v_add_co_u32 v0, vcc_lo, v169, s72
	s_wait_alu 0xfffd
	v_add_co_ci_u32_e64 v1, null, s73, v170, vcc_lo
	global_load_b64 v[0:1], v[0:1], off
.LBB94_68:                              ;   in Loop: Header=BB94_4 Depth=1
	s_wait_alu 0xfffe
	s_or_b32 exec_lo, exec_lo, s71
	s_wait_loadcnt 0x0
	ds_store_b64 v108, v[0:1]
.LBB94_69:                              ;   Parent Loop BB94_4 Depth=1
                                        ; =>  This Inner Loop Header: Depth=2
	s_wait_alu 0xfffe
	s_or_b32 exec_lo, exec_lo, s18
	s_cmp_eq_u32 s70, 0
	v_add_co_u32 v0, vcc_lo, v171, v98
	s_cselect_b32 s63, -1, 0
	s_cmp_lg_u32 s70, 0
	s_wait_alu 0xfffd
	v_add_co_ci_u32_e64 v1, null, 0, v172, vcc_lo
	s_cselect_b32 s18, -1, 0
	s_mov_b32 s71, -1
	s_wait_alu 0xfffe
	s_and_b32 vcc_lo, exec_lo, s18
	s_wait_loadcnt_dscnt 0x0
	s_barrier_signal -1
	s_barrier_wait -1
	global_inv scope:SCOPE_SE
                                        ; implicit-def: $vgpr69_vgpr70
                                        ; implicit-def: $vgpr67_vgpr68
                                        ; implicit-def: $vgpr65_vgpr66
                                        ; implicit-def: $vgpr63_vgpr64
	s_wait_alu 0xfffe
	s_cbranch_vccz .LBB94_79
; %bb.70:                               ;   in Loop: Header=BB94_69 Depth=2
	v_mov_b32_e32 v65, 0
	v_dual_mov_b32 v66, 0 :: v_dual_mov_b32 v63, 0
	v_mov_b32_e32 v64, 0
	s_mov_b32 s71, exec_lo
	v_cmpx_gt_i32_e64 s70, v107
	s_cbranch_execz .LBB94_72
; %bb.71:                               ;   in Loop: Header=BB94_69 Depth=2
	global_load_b64 v[63:64], v[0:1], off
.LBB94_72:                              ;   in Loop: Header=BB94_69 Depth=2
	s_wait_alu 0xfffe
	s_or_b32 exec_lo, exec_lo, s71
	s_delay_alu instid0(SALU_CYCLE_1)
	s_mov_b32 s71, exec_lo
	v_cmpx_gt_i32_e64 s70, v114
	s_cbranch_execz .LBB94_74
; %bb.73:                               ;   in Loop: Header=BB94_69 Depth=2
	v_add_co_u32 v2, vcc_lo, v177, v98
	s_wait_alu 0xfffd
	v_add_co_ci_u32_e64 v3, null, 0, v178, vcc_lo
	global_load_b64 v[65:66], v[2:3], off
.LBB94_74:                              ;   in Loop: Header=BB94_69 Depth=2
	s_wait_alu 0xfffe
	s_or_b32 exec_lo, exec_lo, s71
	v_mov_b32_e32 v69, 0
	v_dual_mov_b32 v70, 0 :: v_dual_mov_b32 v67, 0
	v_mov_b32_e32 v68, 0
	s_mov_b32 s71, exec_lo
	v_cmpx_gt_i32_e64 s70, v115
	s_cbranch_execz .LBB94_76
; %bb.75:                               ;   in Loop: Header=BB94_69 Depth=2
	v_add_co_u32 v2, vcc_lo, v173, v98
	s_wait_alu 0xfffd
	v_add_co_ci_u32_e64 v3, null, 0, v174, vcc_lo
	global_load_b64 v[67:68], v[2:3], off
.LBB94_76:                              ;   in Loop: Header=BB94_69 Depth=2
	s_wait_alu 0xfffe
	s_or_b32 exec_lo, exec_lo, s71
	s_delay_alu instid0(SALU_CYCLE_1)
	s_mov_b32 s71, exec_lo
	v_cmpx_gt_i32_e64 s70, v116
	s_cbranch_execz .LBB94_78
; %bb.77:                               ;   in Loop: Header=BB94_69 Depth=2
	v_add_co_u32 v2, vcc_lo, v175, v98
	s_wait_alu 0xfffd
	v_add_co_ci_u32_e64 v3, null, 0, v176, vcc_lo
	global_load_b64 v[69:70], v[2:3], off
.LBB94_78:                              ;   in Loop: Header=BB94_69 Depth=2
	s_wait_alu 0xfffe
	s_or_b32 exec_lo, exec_lo, s71
	s_mov_b32 s71, 0
.LBB94_79:                              ;   in Loop: Header=BB94_69 Depth=2
	s_wait_alu 0xfffe
	s_and_b32 vcc_lo, exec_lo, s71
	s_wait_alu 0xfffe
	s_cbranch_vccz .LBB94_81
; %bb.80:                               ;   in Loop: Header=BB94_69 Depth=2
	v_add_co_u32 v2, vcc_lo, v177, v98
	s_wait_alu 0xfffd
	v_add_co_ci_u32_e64 v3, null, 0, v178, vcc_lo
	v_add_co_u32 v4, vcc_lo, v173, v98
	s_wait_alu 0xfffd
	v_add_co_ci_u32_e64 v5, null, 0, v174, vcc_lo
	;; [unrolled: 3-line block ×3, first 2 shown]
	s_wait_loadcnt 0x0
	global_load_b64 v[63:64], v[0:1], off
	global_load_b64 v[65:66], v[2:3], off
	;; [unrolled: 1-line block ×4, first 2 shown]
.LBB94_81:                              ;   in Loop: Header=BB94_69 Depth=2
	ds_load_b64 v[4:5], v99
	ds_load_b128 v[0:3], v109
	v_add_co_u32 v16, vcc_lo, v179, v98
	v_cndmask_b32_e64 v44, 0, 1, s18
	s_wait_alu 0xfffd
	v_add_co_ci_u32_e64 v17, null, 0, v180, vcc_lo
	s_and_not1_b32 vcc_lo, exec_lo, s18
	s_mov_b32 s18, -1
                                        ; implicit-def: $vgpr77_vgpr78
                                        ; implicit-def: $vgpr75_vgpr76
                                        ; implicit-def: $vgpr73_vgpr74
                                        ; implicit-def: $vgpr71_vgpr72
	s_wait_loadcnt_dscnt 0x1
	v_mul_f64_e32 v[8:9], v[63:64], v[4:5]
	v_mul_f64_e32 v[10:11], v[65:66], v[4:5]
	;; [unrolled: 1-line block ×4, first 2 shown]
	ds_load_b128 v[4:7], v109 offset:16
	ds_store_2addr_b64 v110, v[8:9], v[10:11] offset1:67
	ds_store_2addr_b64 v110, v[12:13], v[14:15] offset0:134 offset1:201
	s_wait_dscnt 0x0
	s_barrier_signal -1
	s_barrier_wait -1
	global_inv scope:SCOPE_SE
	ds_load_2addr_b64 v[12:15], v111 offset1:1
	ds_load_2addr_b64 v[8:11], v111 offset0:2 offset1:3
	s_wait_loadcnt_dscnt 0x0
	s_barrier_signal -1
	s_barrier_wait -1
	global_inv scope:SCOPE_SE
	s_wait_alu 0xfffe
	s_cbranch_vccnz .LBB94_91
; %bb.82:                               ;   in Loop: Header=BB94_69 Depth=2
	v_mov_b32_e32 v73, 0
	v_dual_mov_b32 v74, 0 :: v_dual_mov_b32 v71, 0
	v_mov_b32_e32 v72, 0
	s_mov_b32 s18, exec_lo
	v_cmpx_gt_i32_e64 s70, v117
	s_cbranch_execz .LBB94_84
; %bb.83:                               ;   in Loop: Header=BB94_69 Depth=2
	global_load_b64 v[71:72], v[16:17], off
.LBB94_84:                              ;   in Loop: Header=BB94_69 Depth=2
	s_wait_alu 0xfffe
	s_or_b32 exec_lo, exec_lo, s18
	s_delay_alu instid0(SALU_CYCLE_1)
	s_mov_b32 s18, exec_lo
	v_cmpx_gt_i32_e64 s70, v118
	s_cbranch_execz .LBB94_86
; %bb.85:                               ;   in Loop: Header=BB94_69 Depth=2
	v_add_co_u32 v18, vcc_lo, v181, v98
	s_wait_alu 0xfffd
	v_add_co_ci_u32_e64 v19, null, 0, v182, vcc_lo
	global_load_b64 v[73:74], v[18:19], off
.LBB94_86:                              ;   in Loop: Header=BB94_69 Depth=2
	s_wait_alu 0xfffe
	s_or_b32 exec_lo, exec_lo, s18
	v_mov_b32_e32 v77, 0
	v_dual_mov_b32 v78, 0 :: v_dual_mov_b32 v75, 0
	v_mov_b32_e32 v76, 0
	s_mov_b32 s18, exec_lo
	v_cmpx_gt_i32_e64 s70, v119
	s_cbranch_execz .LBB94_88
; %bb.87:                               ;   in Loop: Header=BB94_69 Depth=2
	v_add_co_u32 v18, vcc_lo, v183, v98
	s_wait_alu 0xfffd
	v_add_co_ci_u32_e64 v19, null, 0, v184, vcc_lo
	global_load_b64 v[75:76], v[18:19], off
.LBB94_88:                              ;   in Loop: Header=BB94_69 Depth=2
	s_wait_alu 0xfffe
	s_or_b32 exec_lo, exec_lo, s18
	s_delay_alu instid0(SALU_CYCLE_1)
	s_mov_b32 s18, exec_lo
	v_cmpx_gt_i32_e64 s70, v120
	s_cbranch_execz .LBB94_90
; %bb.89:                               ;   in Loop: Header=BB94_69 Depth=2
	v_add_co_u32 v18, vcc_lo, v185, v98
	s_wait_alu 0xfffd
	v_add_co_ci_u32_e64 v19, null, 0, v186, vcc_lo
	global_load_b64 v[77:78], v[18:19], off
.LBB94_90:                              ;   in Loop: Header=BB94_69 Depth=2
	s_wait_alu 0xfffe
	s_or_b32 exec_lo, exec_lo, s18
	s_mov_b32 s18, 0
.LBB94_91:                              ;   in Loop: Header=BB94_69 Depth=2
	s_wait_alu 0xfffe
	s_and_b32 vcc_lo, exec_lo, s18
	s_wait_alu 0xfffe
	s_cbranch_vccz .LBB94_93
; %bb.92:                               ;   in Loop: Header=BB94_69 Depth=2
	v_add_co_u32 v18, vcc_lo, v181, v98
	s_wait_alu 0xfffd
	v_add_co_ci_u32_e64 v19, null, 0, v182, vcc_lo
	v_add_co_u32 v20, vcc_lo, v183, v98
	s_wait_alu 0xfffd
	v_add_co_ci_u32_e64 v21, null, 0, v184, vcc_lo
	;; [unrolled: 3-line block ×3, first 2 shown]
	s_wait_loadcnt 0x0
	global_load_b64 v[71:72], v[16:17], off
	global_load_b64 v[73:74], v[18:19], off
	;; [unrolled: 1-line block ×4, first 2 shown]
.LBB94_93:                              ;   in Loop: Header=BB94_69 Depth=2
	ds_load_b64 v[20:21], v99
	ds_load_b128 v[16:19], v109 offset:128
	v_cmp_ne_u32_e32 vcc_lo, 1, v44
                                        ; implicit-def: $vgpr85_vgpr86
                                        ; implicit-def: $vgpr83_vgpr84
                                        ; implicit-def: $vgpr81_vgpr82
                                        ; implicit-def: $vgpr79_vgpr80
	s_and_b32 vcc_lo, exec_lo, vcc_lo
	s_wait_loadcnt_dscnt 0x1
	v_mul_f64_e32 v[24:25], v[71:72], v[20:21]
	v_mul_f64_e32 v[26:27], v[73:74], v[20:21]
	;; [unrolled: 1-line block ×4, first 2 shown]
	ds_load_b128 v[20:23], v109 offset:144
	ds_store_2addr_b64 v110, v[24:25], v[26:27] offset1:67
	ds_store_2addr_b64 v110, v[28:29], v[30:31] offset0:134 offset1:201
	s_wait_dscnt 0x0
	s_barrier_signal -1
	s_barrier_wait -1
	global_inv scope:SCOPE_SE
	ds_load_2addr_b64 v[32:35], v111 offset1:1
	ds_load_2addr_b64 v[24:27], v111 offset0:2 offset1:3
	v_add_co_u32 v28, s18, v187, v98
	s_wait_alu 0xf1ff
	v_add_co_ci_u32_e64 v29, null, 0, v188, s18
	s_mov_b32 s18, -1
	s_wait_loadcnt_dscnt 0x0
	s_barrier_signal -1
	s_barrier_wait -1
	global_inv scope:SCOPE_SE
	s_wait_alu 0xfffe
	s_cbranch_vccnz .LBB94_103
; %bb.94:                               ;   in Loop: Header=BB94_69 Depth=2
	v_mov_b32_e32 v81, 0
	v_dual_mov_b32 v82, 0 :: v_dual_mov_b32 v79, 0
	v_mov_b32_e32 v80, 0
	s_mov_b32 s18, exec_lo
	v_cmpx_gt_i32_e64 s70, v121
	s_cbranch_execz .LBB94_96
; %bb.95:                               ;   in Loop: Header=BB94_69 Depth=2
	global_load_b64 v[79:80], v[28:29], off
.LBB94_96:                              ;   in Loop: Header=BB94_69 Depth=2
	s_wait_alu 0xfffe
	s_or_b32 exec_lo, exec_lo, s18
	s_delay_alu instid0(SALU_CYCLE_1)
	s_mov_b32 s18, exec_lo
	v_cmpx_gt_i32_e64 s70, v122
	s_cbranch_execz .LBB94_98
; %bb.97:                               ;   in Loop: Header=BB94_69 Depth=2
	v_add_co_u32 v30, vcc_lo, v189, v98
	s_wait_alu 0xfffd
	v_add_co_ci_u32_e64 v31, null, 0, v190, vcc_lo
	global_load_b64 v[81:82], v[30:31], off
.LBB94_98:                              ;   in Loop: Header=BB94_69 Depth=2
	s_wait_alu 0xfffe
	s_or_b32 exec_lo, exec_lo, s18
	v_mov_b32_e32 v85, 0
	v_dual_mov_b32 v86, 0 :: v_dual_mov_b32 v83, 0
	v_mov_b32_e32 v84, 0
	s_mov_b32 s18, exec_lo
	v_cmpx_gt_i32_e64 s70, v123
	s_cbranch_execz .LBB94_100
; %bb.99:                               ;   in Loop: Header=BB94_69 Depth=2
	v_add_co_u32 v30, vcc_lo, v191, v98
	s_wait_alu 0xfffd
	v_add_co_ci_u32_e64 v31, null, 0, v192, vcc_lo
	global_load_b64 v[83:84], v[30:31], off
.LBB94_100:                             ;   in Loop: Header=BB94_69 Depth=2
	s_wait_alu 0xfffe
	s_or_b32 exec_lo, exec_lo, s18
	s_delay_alu instid0(SALU_CYCLE_1)
	s_mov_b32 s18, exec_lo
	v_cmpx_gt_i32_e64 s70, v124
	s_cbranch_execz .LBB94_102
; %bb.101:                              ;   in Loop: Header=BB94_69 Depth=2
	v_add_co_u32 v30, vcc_lo, v193, v98
	s_wait_alu 0xfffd
	v_add_co_ci_u32_e64 v31, null, 0, v194, vcc_lo
	global_load_b64 v[85:86], v[30:31], off
.LBB94_102:                             ;   in Loop: Header=BB94_69 Depth=2
	s_wait_alu 0xfffe
	s_or_b32 exec_lo, exec_lo, s18
	s_mov_b32 s18, 0
.LBB94_103:                             ;   in Loop: Header=BB94_69 Depth=2
	s_wait_alu 0xfffe
	s_and_b32 vcc_lo, exec_lo, s18
	s_wait_alu 0xfffe
	s_cbranch_vccz .LBB94_105
; %bb.104:                              ;   in Loop: Header=BB94_69 Depth=2
	v_add_co_u32 v30, vcc_lo, v189, v98
	s_wait_alu 0xfffd
	v_add_co_ci_u32_e64 v31, null, 0, v190, vcc_lo
	v_add_co_u32 v36, vcc_lo, v191, v98
	s_wait_alu 0xfffd
	v_add_co_ci_u32_e64 v37, null, 0, v192, vcc_lo
	;; [unrolled: 3-line block ×3, first 2 shown]
	s_wait_loadcnt 0x0
	global_load_b64 v[79:80], v[28:29], off
	global_load_b64 v[81:82], v[30:31], off
	;; [unrolled: 1-line block ×4, first 2 shown]
.LBB94_105:                             ;   in Loop: Header=BB94_69 Depth=2
	ds_load_b64 v[36:37], v99
	ds_load_b128 v[28:31], v109 offset:256
	v_cmp_ne_u32_e32 vcc_lo, 1, v44
	v_add_co_u32 v44, s18, v195, v98
                                        ; implicit-def: $vgpr89_vgpr90
                                        ; implicit-def: $vgpr93_vgpr94
                                        ; implicit-def: $vgpr91_vgpr92
                                        ; implicit-def: $vgpr87_vgpr88
	s_and_b32 vcc_lo, exec_lo, vcc_lo
	s_wait_loadcnt_dscnt 0x1
	v_mul_f64_e32 v[40:41], v[79:80], v[36:37]
	v_mul_f64_e32 v[42:43], v[81:82], v[36:37]
	;; [unrolled: 1-line block ×4, first 2 shown]
	ds_load_b128 v[36:39], v109 offset:272
	ds_store_2addr_b64 v110, v[40:41], v[42:43] offset1:67
	ds_store_2addr_b64 v110, v[45:46], v[47:48] offset0:134 offset1:201
	s_wait_dscnt 0x0
	s_barrier_signal -1
	s_barrier_wait -1
	global_inv scope:SCOPE_SE
	ds_load_2addr_b64 v[48:51], v111 offset1:1
	ds_load_2addr_b64 v[40:43], v111 offset0:2 offset1:3
	s_wait_alu 0xf1ff
	v_add_co_ci_u32_e64 v45, null, 0, v196, s18
	s_mov_b32 s18, -1
	s_wait_loadcnt_dscnt 0x0
	s_barrier_signal -1
	s_barrier_wait -1
	global_inv scope:SCOPE_SE
	s_wait_alu 0xfffe
	s_cbranch_vccnz .LBB94_115
; %bb.106:                              ;   in Loop: Header=BB94_69 Depth=2
	v_mov_b32_e32 v91, 0
	v_dual_mov_b32 v92, 0 :: v_dual_mov_b32 v87, 0
	v_mov_b32_e32 v88, 0
	s_mov_b32 s18, exec_lo
	v_cmpx_gt_i32_e64 s70, v125
	s_cbranch_execz .LBB94_108
; %bb.107:                              ;   in Loop: Header=BB94_69 Depth=2
	global_load_b64 v[87:88], v[44:45], off
.LBB94_108:                             ;   in Loop: Header=BB94_69 Depth=2
	s_wait_alu 0xfffe
	s_or_b32 exec_lo, exec_lo, s18
	s_delay_alu instid0(SALU_CYCLE_1)
	s_mov_b32 s18, exec_lo
	v_cmpx_gt_i32_e64 s70, v126
	s_cbranch_execz .LBB94_110
; %bb.109:                              ;   in Loop: Header=BB94_69 Depth=2
	v_add_co_u32 v46, vcc_lo, v197, v98
	s_wait_alu 0xfffd
	v_add_co_ci_u32_e64 v47, null, 0, v198, vcc_lo
	global_load_b64 v[91:92], v[46:47], off
.LBB94_110:                             ;   in Loop: Header=BB94_69 Depth=2
	s_wait_alu 0xfffe
	s_or_b32 exec_lo, exec_lo, s18
	v_mov_b32_e32 v89, 0
	v_dual_mov_b32 v90, 0 :: v_dual_mov_b32 v93, 0
	v_mov_b32_e32 v94, 0
	s_mov_b32 s18, exec_lo
	v_cmpx_gt_i32_e64 s70, v127
	s_cbranch_execz .LBB94_112
; %bb.111:                              ;   in Loop: Header=BB94_69 Depth=2
	v_add_co_u32 v46, vcc_lo, v199, v98
	s_wait_alu 0xfffd
	v_add_co_ci_u32_e64 v47, null, 0, v200, vcc_lo
	global_load_b64 v[93:94], v[46:47], off
.LBB94_112:                             ;   in Loop: Header=BB94_69 Depth=2
	s_wait_alu 0xfffe
	s_or_b32 exec_lo, exec_lo, s18
	s_delay_alu instid0(SALU_CYCLE_1)
	s_mov_b32 s18, exec_lo
	v_cmpx_gt_i32_e64 s70, v128
	s_cbranch_execz .LBB94_114
; %bb.113:                              ;   in Loop: Header=BB94_69 Depth=2
	v_add_co_u32 v46, vcc_lo, v201, v98
	s_wait_alu 0xfffd
	v_add_co_ci_u32_e64 v47, null, 0, v202, vcc_lo
	global_load_b64 v[89:90], v[46:47], off
.LBB94_114:                             ;   in Loop: Header=BB94_69 Depth=2
	s_wait_alu 0xfffe
	s_or_b32 exec_lo, exec_lo, s18
	s_mov_b32 s18, 0
.LBB94_115:                             ;   in Loop: Header=BB94_69 Depth=2
	s_wait_alu 0xfffe
	s_and_b32 vcc_lo, exec_lo, s18
	s_wait_alu 0xfffe
	s_cbranch_vccz .LBB94_117
; %bb.116:                              ;   in Loop: Header=BB94_69 Depth=2
	v_add_co_u32 v46, vcc_lo, v197, v98
	s_wait_alu 0xfffd
	v_add_co_ci_u32_e64 v47, null, 0, v198, vcc_lo
	v_add_co_u32 v52, vcc_lo, v199, v98
	s_wait_alu 0xfffd
	v_add_co_ci_u32_e64 v53, null, 0, v200, vcc_lo
	;; [unrolled: 3-line block ×3, first 2 shown]
	s_wait_loadcnt 0x0
	global_load_b64 v[87:88], v[44:45], off
	global_load_b64 v[91:92], v[46:47], off
	;; [unrolled: 1-line block ×4, first 2 shown]
.LBB94_117:                             ;   in Loop: Header=BB94_69 Depth=2
	ds_load_b64 v[44:45], v99
	ds_load_b128 v[52:55], v109 offset:384
	v_add_f64_e32 v[32:33], 0, v[32:33]
	v_add_f64_e32 v[12:13], 0, v[12:13]
	v_add_f64_e32 v[48:49], 0, v[48:49]
	v_cmp_gt_i32_e32 vcc_lo, s70, v95
	s_or_b32 s18, s63, vcc_lo
	s_wait_alu 0xfffe
	s_and_b32 s63, s17, s18
	s_wait_loadcnt_dscnt 0x1
	v_mul_f64_e32 v[203:204], v[87:88], v[44:45]
	v_mul_f64_e32 v[205:206], v[91:92], v[44:45]
	;; [unrolled: 1-line block ×4, first 2 shown]
	ds_load_b128 v[44:47], v109 offset:400
	ds_store_2addr_b64 v110, v[203:204], v[205:206] offset1:67
	ds_store_2addr_b64 v110, v[207:208], v[209:210] offset0:134 offset1:201
	s_wait_dscnt 0x0
	s_barrier_signal -1
	s_barrier_wait -1
	global_inv scope:SCOPE_SE
	ds_load_2addr_b64 v[203:206], v111 offset1:1
	ds_load_2addr_b64 v[207:210], v111 offset0:2 offset1:3
	v_add_f64_e32 v[32:33], v[32:33], v[34:35]
	v_add_f64_e32 v[12:13], v[12:13], v[14:15]
	;; [unrolled: 1-line block ×3, first 2 shown]
	s_wait_loadcnt_dscnt 0x0
	s_barrier_signal -1
	s_barrier_wait -1
	global_inv scope:SCOPE_SE
	v_add_f64_e32 v[203:204], 0, v[203:204]
	v_add_f64_e32 v[24:25], v[32:33], v[24:25]
	v_add_f64_e32 v[8:9], v[12:13], v[8:9]
	v_add_f64_e32 v[34:35], v[48:49], v[40:41]
	s_delay_alu instid0(VALU_DEP_4) | instskip(NEXT) | instid1(VALU_DEP_4)
	v_add_f64_e32 v[14:15], v[203:204], v[205:206]
	v_add_f64_e32 v[24:25], v[24:25], v[26:27]
	s_delay_alu instid0(VALU_DEP_4) | instskip(NEXT) | instid1(VALU_DEP_3)
	v_add_f64_e32 v[8:9], v[8:9], v[10:11]
	v_add_f64_e32 v[12:13], v[14:15], v[207:208]
	;; [unrolled: 1-line block ×3, first 2 shown]
	s_delay_alu instid0(VALU_DEP_2)
	v_add_f64_e32 v[10:11], v[12:13], v[209:210]
	ds_store_2addr_b64 v164, v[8:9], v[24:25] offset1:16
	ds_store_2addr_b64 v164, v[14:15], v[10:11] offset0:32 offset1:48
	s_wait_loadcnt_dscnt 0x0
	s_barrier_signal -1
	s_barrier_wait -1
	global_inv scope:SCOPE_SE
	s_wait_alu 0xfffe
	s_and_saveexec_b32 s18, s63
	s_cbranch_execz .LBB94_119
; %bb.118:                              ;   in Loop: Header=BB94_69 Depth=2
	ds_load_2addr_b64 v[8:11], v112 offset1:1
	ds_load_2addr_b64 v[12:15], v112 offset0:2 offset1:3
	s_wait_dscnt 0x1
	v_add_f64_e32 v[8:9], v[8:9], v[10:11]
	s_wait_dscnt 0x0
	s_delay_alu instid0(VALU_DEP_1) | instskip(NEXT) | instid1(VALU_DEP_1)
	v_add_f64_e32 v[8:9], v[8:9], v[12:13]
	v_add_f64_e32 v[24:25], v[8:9], v[14:15]
	ds_load_2addr_b64 v[8:11], v112 offset0:4 offset1:5
	ds_load_2addr_b64 v[12:15], v112 offset0:6 offset1:7
	s_wait_dscnt 0x1
	v_add_f64_e32 v[8:9], v[24:25], v[8:9]
	s_delay_alu instid0(VALU_DEP_1) | instskip(SKIP_1) | instid1(VALU_DEP_1)
	v_add_f64_e32 v[8:9], v[8:9], v[10:11]
	s_wait_dscnt 0x0
	v_add_f64_e32 v[8:9], v[8:9], v[12:13]
	s_delay_alu instid0(VALU_DEP_1) | instskip(SKIP_4) | instid1(VALU_DEP_1)
	v_add_f64_e32 v[24:25], v[8:9], v[14:15]
	ds_load_2addr_b64 v[8:11], v112 offset0:8 offset1:9
	ds_load_2addr_b64 v[12:15], v112 offset0:10 offset1:11
	s_wait_dscnt 0x1
	v_add_f64_e32 v[8:9], v[24:25], v[8:9]
	v_add_f64_e32 v[8:9], v[8:9], v[10:11]
	s_wait_dscnt 0x0
	s_delay_alu instid0(VALU_DEP_1) | instskip(NEXT) | instid1(VALU_DEP_1)
	v_add_f64_e32 v[8:9], v[8:9], v[12:13]
	v_add_f64_e32 v[12:13], v[8:9], v[14:15]
	ds_load_2addr_b64 v[8:11], v112 offset0:12 offset1:13
	ds_load_b64 v[14:15], v112 offset:112
	s_wait_dscnt 0x1
	v_add_f64_e32 v[8:9], v[12:13], v[8:9]
	s_delay_alu instid0(VALU_DEP_1) | instskip(SKIP_4) | instid1(VALU_DEP_1)
	v_add_f64_e32 v[8:9], v[8:9], v[10:11]
	ds_load_b64 v[10:11], v113
	s_wait_dscnt 0x1
	v_add_f64_e32 v[8:9], v[8:9], v[14:15]
	s_wait_dscnt 0x0
	v_add_f64_e32 v[8:9], v[8:9], v[10:11]
	v_add_nc_u32_e32 v10, s62, v95
	s_delay_alu instid0(VALU_DEP_1) | instskip(NEXT) | instid1(VALU_DEP_1)
	v_ashrrev_i32_e32 v11, 31, v10
	v_lshlrev_b64_e32 v[10:11], 3, v[10:11]
	s_delay_alu instid0(VALU_DEP_1) | instskip(SKIP_1) | instid1(VALU_DEP_2)
	v_add_co_u32 v10, vcc_lo, s60, v10
	s_wait_alu 0xfffd
	v_add_co_ci_u32_e64 v11, null, s61, v11, vcc_lo
	global_store_b64 v[10:11], v[8:9], off
.LBB94_119:                             ;   in Loop: Header=BB94_69 Depth=2
	s_wait_alu 0xfffe
	s_or_b32 exec_lo, exec_lo, s18
	v_fma_f64 v[0:1], v[63:64], v[0:1], v[61:62]
	v_add_co_u32 v171, vcc_lo, v171, s44
	s_wait_alu 0xfffd
	v_add_co_ci_u32_e64 v172, null, s45, v172, vcc_lo
	v_add_co_u32 v173, vcc_lo, v173, s44
	s_wait_alu 0xfffd
	v_add_co_ci_u32_e64 v174, null, s45, v174, vcc_lo
	v_add_co_u32 v175, vcc_lo, v175, s44
	s_wait_alu 0xfffd
	v_add_co_ci_u32_e64 v176, null, s45, v176, vcc_lo
	v_add_co_u32 v177, vcc_lo, v177, s44
	s_wait_alu 0xfffd
	v_add_co_ci_u32_e64 v178, null, s45, v178, vcc_lo
	v_add_co_u32 v179, vcc_lo, v179, s44
	s_wait_alu 0xfffd
	v_add_co_ci_u32_e64 v180, null, s45, v180, vcc_lo
	v_add_co_u32 v181, vcc_lo, v181, s44
	s_wait_alu 0xfffd
	v_add_co_ci_u32_e64 v182, null, s45, v182, vcc_lo
	v_add_co_u32 v183, vcc_lo, v183, s44
	s_wait_alu 0xfffd
	v_add_co_ci_u32_e64 v184, null, s45, v184, vcc_lo
	v_add_co_u32 v185, vcc_lo, v185, s44
	s_wait_alu 0xfffd
	v_add_co_ci_u32_e64 v186, null, s45, v186, vcc_lo
	v_add_co_u32 v187, vcc_lo, v187, s44
	s_wait_alu 0xfffd
	v_add_co_ci_u32_e64 v188, null, s45, v188, vcc_lo
	v_add_co_u32 v189, vcc_lo, v189, s44
	v_fma_f64 v[0:1], v[65:66], v[2:3], v[0:1]
	s_wait_alu 0xfffd
	v_add_co_ci_u32_e64 v190, null, s45, v190, vcc_lo
	v_add_co_u32 v191, vcc_lo, v191, s44
	s_wait_alu 0xfffd
	v_add_co_ci_u32_e64 v192, null, s45, v192, vcc_lo
	v_add_co_u32 v193, vcc_lo, v193, s44
	;; [unrolled: 3-line block ×6, first 2 shown]
	s_wait_alu 0xfffd
	v_add_co_ci_u32_e64 v202, null, s45, v202, vcc_lo
	s_add_co_i32 s63, s69, 2
	s_add_co_i32 s18, s69, 1
	;; [unrolled: 1-line block ×3, first 2 shown]
	s_wait_alu 0xfffe
	s_cmp_ge_u32 s63, s30
	s_wait_loadcnt 0x0
	s_wait_storecnt 0x0
	s_barrier_signal -1
	s_barrier_wait -1
	global_inv scope:SCOPE_SE
	v_fma_f64 v[0:1], v[67:68], v[4:5], v[0:1]
	s_delay_alu instid0(VALU_DEP_1) | instskip(NEXT) | instid1(VALU_DEP_1)
	v_fma_f64 v[0:1], v[69:70], v[6:7], v[0:1]
	v_fma_f64 v[0:1], v[71:72], v[16:17], v[0:1]
	s_delay_alu instid0(VALU_DEP_1) | instskip(NEXT) | instid1(VALU_DEP_1)
	v_fma_f64 v[0:1], v[73:74], v[18:19], v[0:1]
	;; [unrolled: 3-line block ×6, first 2 shown]
	v_fma_f64 v[0:1], v[93:94], v[44:45], v[0:1]
	s_delay_alu instid0(VALU_DEP_1)
	v_fma_f64 v[61:62], v[89:90], v[46:47], v[0:1]
	s_cbranch_scc1 .LBB94_121
; %bb.120:                              ;   in Loop: Header=BB94_69 Depth=2
	s_mov_b32 s69, s18
	s_delay_alu instid0(SALU_CYCLE_1)
	s_cmp_eq_u32 s31, s69
	s_cselect_b32 s70, s64, 0
	s_and_saveexec_b32 s18, s0
	s_cbranch_execnz .LBB94_66
	s_branch .LBB94_69
.LBB94_121:                             ;   in Loop: Header=BB94_4 Depth=1
	ds_store_b64 v129, v[61:62]
	s_wait_loadcnt_dscnt 0x0
	s_barrier_signal -1
	s_barrier_wait -1
	global_inv scope:SCOPE_SE
	s_and_saveexec_b32 s18, s67
	s_cbranch_execz .LBB94_2
; %bb.122:                              ;   in Loop: Header=BB94_4 Depth=1
	ds_load_2addr_b64 v[0:3], v98 offset1:67
	s_wait_dscnt 0x0
	v_add_f64_e32 v[4:5], v[0:1], v[2:3]
	ds_load_2addr_b64 v[0:3], v98 offset0:134 offset1:201
	s_wait_dscnt 0x0
	v_add_f64_e32 v[0:1], v[4:5], v[0:1]
	s_delay_alu instid0(VALU_DEP_1)
	v_add_f64_e32 v[0:1], v[0:1], v[2:3]
	s_wait_alu 0xfffe
	v_add_co_u32 v2, vcc_lo, s60, v57
	s_wait_alu 0xfffd
	v_add_co_ci_u32_e64 v3, null, s61, v58, vcc_lo
	global_store_b64 v[2:3], v[0:1], off
	s_branch .LBB94_2
.LBB94_123:                             ;   in Loop: Header=BB94_4 Depth=1
	ds_load_b64 v[2:3], v167
	s_wait_dscnt 0x0
	ds_store_b64 v103, v[2:3]
	s_wait_alu 0xfffe
	s_or_b32 exec_lo, exec_lo, s18
	s_and_saveexec_b32 s18, s7
	s_cbranch_execz .LBB94_24
.LBB94_124:                             ;   in Loop: Header=BB94_4 Depth=1
	ds_load_b64 v[2:3], v168
	s_wait_dscnt 0x0
	ds_store_b64 v103, v[2:3] offset:8
	s_wait_alu 0xfffe
	s_or_b32 exec_lo, exec_lo, s18
	s_and_saveexec_b32 s18, s8
	s_cbranch_execz .LBB94_25
.LBB94_125:                             ;   in Loop: Header=BB94_4 Depth=1
	ds_load_b64 v[2:3], v168 offset:264
	s_wait_dscnt 0x0
	ds_store_b64 v103, v[2:3] offset:16
	s_wait_alu 0xfffe
	s_or_b32 exec_lo, exec_lo, s18
	s_and_saveexec_b32 s18, s9
	s_cbranch_execnz .LBB94_26
	s_branch .LBB94_27
.LBB94_126:                             ;   in Loop: Header=BB94_4 Depth=1
	ds_load_b64 v[2:3], v167
	s_wait_dscnt 0x0
	ds_store_b64 v103, v[2:3]
	s_wait_alu 0xfffe
	s_or_b32 exec_lo, exec_lo, s18
	s_and_saveexec_b32 s18, s7
	s_cbranch_execz .LBB94_43
.LBB94_127:                             ;   in Loop: Header=BB94_4 Depth=1
	ds_load_b64 v[2:3], v168
	s_wait_dscnt 0x0
	ds_store_b64 v103, v[2:3] offset:8
	s_wait_alu 0xfffe
	s_or_b32 exec_lo, exec_lo, s18
	s_and_saveexec_b32 s18, s8
	s_cbranch_execz .LBB94_44
.LBB94_128:                             ;   in Loop: Header=BB94_4 Depth=1
	ds_load_b64 v[2:3], v168 offset:264
	s_wait_dscnt 0x0
	ds_store_b64 v103, v[2:3] offset:16
	s_wait_alu 0xfffe
	s_or_b32 exec_lo, exec_lo, s18
	s_and_saveexec_b32 s18, s9
	s_cbranch_execnz .LBB94_45
	s_branch .LBB94_46
.LBB94_129:
	s_nop 0
	s_sendmsg sendmsg(MSG_DEALLOC_VGPRS)
	s_endpgm
	.section	.rodata,"a",@progbits
	.p2align	6, 0x0
	.amdhsa_kernel _ZL26rocblas_hemvn_kernel_upperILb0ELi64ELi4ELi33ELi32ELi16ElPKdS1_PdEviT6_lT7_lT5_lS4_lS5_lS3_lT8_i
		.amdhsa_group_segment_fixed_size 9600
		.amdhsa_private_segment_fixed_size 0
		.amdhsa_kernarg_size 376
		.amdhsa_user_sgpr_count 2
		.amdhsa_user_sgpr_dispatch_ptr 0
		.amdhsa_user_sgpr_queue_ptr 0
		.amdhsa_user_sgpr_kernarg_segment_ptr 1
		.amdhsa_user_sgpr_dispatch_id 0
		.amdhsa_user_sgpr_private_segment_size 0
		.amdhsa_wavefront_size32 1
		.amdhsa_uses_dynamic_stack 0
		.amdhsa_enable_private_segment 0
		.amdhsa_system_sgpr_workgroup_id_x 1
		.amdhsa_system_sgpr_workgroup_id_y 0
		.amdhsa_system_sgpr_workgroup_id_z 1
		.amdhsa_system_sgpr_workgroup_info 0
		.amdhsa_system_vgpr_workitem_id 1
		.amdhsa_next_free_vgpr 211
		.amdhsa_next_free_sgpr 74
		.amdhsa_reserve_vcc 1
		.amdhsa_float_round_mode_32 0
		.amdhsa_float_round_mode_16_64 0
		.amdhsa_float_denorm_mode_32 3
		.amdhsa_float_denorm_mode_16_64 3
		.amdhsa_fp16_overflow 0
		.amdhsa_workgroup_processor_mode 1
		.amdhsa_memory_ordered 1
		.amdhsa_forward_progress 1
		.amdhsa_inst_pref_size 75
		.amdhsa_round_robin_scheduling 0
		.amdhsa_exception_fp_ieee_invalid_op 0
		.amdhsa_exception_fp_denorm_src 0
		.amdhsa_exception_fp_ieee_div_zero 0
		.amdhsa_exception_fp_ieee_overflow 0
		.amdhsa_exception_fp_ieee_underflow 0
		.amdhsa_exception_fp_ieee_inexact 0
		.amdhsa_exception_int_div_zero 0
	.end_amdhsa_kernel
	.section	.text._ZL26rocblas_hemvn_kernel_upperILb0ELi64ELi4ELi33ELi32ELi16ElPKdS1_PdEviT6_lT7_lT5_lS4_lS5_lS3_lT8_i,"axG",@progbits,_ZL26rocblas_hemvn_kernel_upperILb0ELi64ELi4ELi33ELi32ELi16ElPKdS1_PdEviT6_lT7_lT5_lS4_lS5_lS3_lT8_i,comdat
.Lfunc_end94:
	.size	_ZL26rocblas_hemvn_kernel_upperILb0ELi64ELi4ELi33ELi32ELi16ElPKdS1_PdEviT6_lT7_lT5_lS4_lS5_lS3_lT8_i, .Lfunc_end94-_ZL26rocblas_hemvn_kernel_upperILb0ELi64ELi4ELi33ELi32ELi16ElPKdS1_PdEviT6_lT7_lT5_lS4_lS5_lS3_lT8_i
                                        ; -- End function
	.set _ZL26rocblas_hemvn_kernel_upperILb0ELi64ELi4ELi33ELi32ELi16ElPKdS1_PdEviT6_lT7_lT5_lS4_lS5_lS3_lT8_i.num_vgpr, 211
	.set _ZL26rocblas_hemvn_kernel_upperILb0ELi64ELi4ELi33ELi32ELi16ElPKdS1_PdEviT6_lT7_lT5_lS4_lS5_lS3_lT8_i.num_agpr, 0
	.set _ZL26rocblas_hemvn_kernel_upperILb0ELi64ELi4ELi33ELi32ELi16ElPKdS1_PdEviT6_lT7_lT5_lS4_lS5_lS3_lT8_i.numbered_sgpr, 74
	.set _ZL26rocblas_hemvn_kernel_upperILb0ELi64ELi4ELi33ELi32ELi16ElPKdS1_PdEviT6_lT7_lT5_lS4_lS5_lS3_lT8_i.num_named_barrier, 0
	.set _ZL26rocblas_hemvn_kernel_upperILb0ELi64ELi4ELi33ELi32ELi16ElPKdS1_PdEviT6_lT7_lT5_lS4_lS5_lS3_lT8_i.private_seg_size, 0
	.set _ZL26rocblas_hemvn_kernel_upperILb0ELi64ELi4ELi33ELi32ELi16ElPKdS1_PdEviT6_lT7_lT5_lS4_lS5_lS3_lT8_i.uses_vcc, 1
	.set _ZL26rocblas_hemvn_kernel_upperILb0ELi64ELi4ELi33ELi32ELi16ElPKdS1_PdEviT6_lT7_lT5_lS4_lS5_lS3_lT8_i.uses_flat_scratch, 0
	.set _ZL26rocblas_hemvn_kernel_upperILb0ELi64ELi4ELi33ELi32ELi16ElPKdS1_PdEviT6_lT7_lT5_lS4_lS5_lS3_lT8_i.has_dyn_sized_stack, 0
	.set _ZL26rocblas_hemvn_kernel_upperILb0ELi64ELi4ELi33ELi32ELi16ElPKdS1_PdEviT6_lT7_lT5_lS4_lS5_lS3_lT8_i.has_recursion, 0
	.set _ZL26rocblas_hemvn_kernel_upperILb0ELi64ELi4ELi33ELi32ELi16ElPKdS1_PdEviT6_lT7_lT5_lS4_lS5_lS3_lT8_i.has_indirect_call, 0
	.section	.AMDGPU.csdata,"",@progbits
; Kernel info:
; codeLenInByte = 9512
; TotalNumSgprs: 76
; NumVgprs: 211
; ScratchSize: 0
; MemoryBound: 0
; FloatMode: 240
; IeeeMode: 1
; LDSByteSize: 9600 bytes/workgroup (compile time only)
; SGPRBlocks: 0
; VGPRBlocks: 26
; NumSGPRsForWavesPerEU: 76
; NumVGPRsForWavesPerEU: 211
; Occupancy: 7
; WaveLimiterHint : 0
; COMPUTE_PGM_RSRC2:SCRATCH_EN: 0
; COMPUTE_PGM_RSRC2:USER_SGPR: 2
; COMPUTE_PGM_RSRC2:TRAP_HANDLER: 0
; COMPUTE_PGM_RSRC2:TGID_X_EN: 1
; COMPUTE_PGM_RSRC2:TGID_Y_EN: 0
; COMPUTE_PGM_RSRC2:TGID_Z_EN: 1
; COMPUTE_PGM_RSRC2:TIDIG_COMP_CNT: 1
	.section	.text._ZL36rocblas_hemvn_kernel_upper_block_sumILi64ElPKdPddEviT1_lS3_lT2_lT0_lPT3_i,"axG",@progbits,_ZL36rocblas_hemvn_kernel_upper_block_sumILi64ElPKdPddEviT1_lS3_lT2_lT0_lPT3_i,comdat
	.globl	_ZL36rocblas_hemvn_kernel_upper_block_sumILi64ElPKdPddEviT1_lS3_lT2_lT0_lPT3_i ; -- Begin function _ZL36rocblas_hemvn_kernel_upper_block_sumILi64ElPKdPddEviT1_lS3_lT2_lT0_lPT3_i
	.p2align	8
	.type	_ZL36rocblas_hemvn_kernel_upper_block_sumILi64ElPKdPddEviT1_lS3_lT2_lT0_lPT3_i,@function
_ZL36rocblas_hemvn_kernel_upper_block_sumILi64ElPKdPddEviT1_lS3_lT2_lT0_lPT3_i: ; @_ZL36rocblas_hemvn_kernel_upper_block_sumILi64ElPKdPddEviT1_lS3_lT2_lT0_lPT3_i
; %bb.0:
	s_load_b32 s26, s[0:1], 0x50
	s_lshr_b32 s2, ttmp7, 16
	s_wait_kmcnt 0x0
	s_cmp_ge_u32 s2, s26
	s_cbranch_scc1 .LBB95_24
; %bb.1:
	s_clause 0x1
	s_load_b256 s[4:11], s[0:1], 0x30
	s_load_b32 s20, s[0:1], 0x0
	v_lshl_or_b32 v0, ttmp9, 6, v0
	s_clause 0x1
	s_load_b64 s[22:23], s[0:1], 0x28
	s_load_b256 s[12:19], s[0:1], 0x8
	s_mov_b32 s3, 0
	v_ashrrev_i32_e32 v1, 31, v0
	s_delay_alu instid0(VALU_DEP_1)
	v_lshlrev_b64_e32 v[4:5], 3, v[0:1]
	s_wait_kmcnt 0x0
	v_mul_lo_u32 v6, s6, v1
	v_mul_lo_u32 v7, s7, v0
	v_mad_co_u64_u32 v[2:3], null, s6, v0, 0
	s_add_nc_u64 s[6:7], s[0:1], 0x58
	v_cmp_gt_i32_e64 s0, s20, v0
	v_add_co_u32 v0, vcc_lo, s10, v4
	s_lshl_b64 s[4:5], s[4:5], 3
	s_ashr_i32 s21, s20, 31
	v_add3_u32 v3, v3, v6, v7
	v_add_co_ci_u32_e64 v1, null, s11, v5, vcc_lo
	s_cmp_gt_i32 ttmp9, -1
	s_add_nc_u64 s[4:5], s[22:23], s[4:5]
	v_lshlrev_b64_e32 v[2:3], 3, v[2:3]
	s_cselect_b32 s1, -1, 0
	s_add_co_i32 s27, ttmp9, 1
	s_wait_alu 0xfffe
	s_lshl_b64 s[10:11], s[20:21], 3
	s_branch .LBB95_4
.LBB95_2:                               ;   in Loop: Header=BB95_4 Depth=1
	s_wait_alu 0xfffe
	s_or_b32 exec_lo, exec_lo, s22
.LBB95_3:                               ;   in Loop: Header=BB95_4 Depth=1
	s_add_co_i32 s2, s2, 0x10000
	s_wait_alu 0xfffe
	s_cmp_lt_u32 s2, s26
	s_cbranch_scc0 .LBB95_24
.LBB95_4:                               ; =>This Loop Header: Depth=1
                                        ;     Child Loop BB95_15 Depth 2
	s_mul_u64 s[20:21], s[14:15], s[2:3]
	s_mul_u64 s[22:23], s[18:19], s[2:3]
	s_wait_alu 0xfffe
	s_lshl_b64 s[20:21], s[20:21], 3
	s_lshl_b64 s[22:23], s[22:23], 3
	s_wait_alu 0xfffe
	s_add_nc_u64 s[20:21], s[12:13], s[20:21]
	s_add_nc_u64 s[24:25], s[16:17], s[22:23]
	s_load_b64 s[22:23], s[20:21], 0x0
	s_load_b64 s[24:25], s[24:25], 0x0
	s_wait_kmcnt 0x0
	v_cmp_eq_f64_e64 s20, s[22:23], 0
	v_cmp_eq_f64_e64 s21, s[24:25], 1.0
	s_and_b32 s20, s20, s21
	s_wait_alu 0xfffe
	s_and_b32 vcc_lo, exec_lo, s20
	s_wait_alu 0xfffe
	s_cbranch_vccnz .LBB95_3
; %bb.5:                                ;   in Loop: Header=BB95_4 Depth=1
	v_cmp_neq_f64_e64 s28, s[22:23], 0
	s_mul_u64 s[20:21], s[8:9], s[2:3]
	s_wait_alu 0xfffe
	s_lshl_b64 s[20:21], s[20:21], 3
	s_wait_alu 0xfffe
	s_add_nc_u64 s[20:21], s[4:5], s[20:21]
	s_and_b32 vcc_lo, exec_lo, s28
	s_wait_alu 0xfffe
	s_cbranch_vccnz .LBB95_10
; %bb.6:                                ;   in Loop: Header=BB95_4 Depth=1
	s_mov_b32 s29, 0
	s_mov_b32 s28, 0
                                        ; implicit-def: $vgpr4_vgpr5
	s_and_saveexec_b32 s30, s0
	s_cbranch_execz .LBB95_11
; %bb.7:                                ;   in Loop: Header=BB95_4 Depth=1
	v_cmp_eq_f64_e64 s28, s[24:25], 0
	v_mov_b32_e32 v4, 0
	v_mov_b32_e32 v5, 0
	s_and_b32 vcc_lo, exec_lo, s28
	s_wait_alu 0xfffe
	s_cbranch_vccnz .LBB95_9
; %bb.8:                                ;   in Loop: Header=BB95_4 Depth=1
	v_add_co_u32 v4, vcc_lo, s20, v2
	s_wait_alu 0xfffd
	v_add_co_ci_u32_e64 v5, null, s21, v3, vcc_lo
	global_load_b64 v[4:5], v[4:5], off
	s_wait_loadcnt 0x0
	v_mul_f64_e32 v[4:5], s[24:25], v[4:5]
.LBB95_9:                               ;   in Loop: Header=BB95_4 Depth=1
	s_mov_b32 s28, exec_lo
	s_or_b32 exec_lo, exec_lo, s30
	s_delay_alu instid0(SALU_CYCLE_1)
	s_and_b32 vcc_lo, exec_lo, s29
	s_wait_alu 0xfffe
	s_cbranch_vccnz .LBB95_12
	s_branch .LBB95_21
.LBB95_10:                              ;   in Loop: Header=BB95_4 Depth=1
	s_mov_b32 s28, 0
                                        ; implicit-def: $vgpr4_vgpr5
	s_cbranch_execnz .LBB95_12
	s_branch .LBB95_21
.LBB95_11:                              ;   in Loop: Header=BB95_4 Depth=1
	s_wait_alu 0xfffe
	s_or_b32 exec_lo, exec_lo, s30
	s_delay_alu instid0(SALU_CYCLE_1)
	s_and_b32 vcc_lo, exec_lo, s29
	s_wait_alu 0xfffe
	s_cbranch_vccz .LBB95_21
.LBB95_12:                              ;   in Loop: Header=BB95_4 Depth=1
                                        ; implicit-def: $vgpr4_vgpr5
	s_and_saveexec_b32 s29, s0
	s_cbranch_execz .LBB95_20
; %bb.13:                               ;   in Loop: Header=BB95_4 Depth=1
	v_mov_b32_e32 v6, 0
	v_mov_b32_e32 v7, 0
	s_and_not1_b32 vcc_lo, exec_lo, s1
	s_wait_alu 0xfffe
	s_cbranch_vccnz .LBB95_16
; %bb.14:                               ;   in Loop: Header=BB95_4 Depth=1
	s_load_b32 s30, s[6:7], 0x0
	s_mov_b32 s31, s3
	s_wait_kmcnt 0x0
	s_wait_alu 0xfffe
	s_mul_u64 s[30:31], s[10:11], s[30:31]
	s_wait_alu 0xfffe
	v_mad_co_u64_u32 v[4:5], null, s30, s2, v[0:1]
	s_mov_b32 s30, s27
	v_mad_co_u64_u32 v[5:6], null, s31, s2, v[5:6]
	v_mov_b32_e32 v6, 0
	v_mov_b32_e32 v7, 0
.LBB95_15:                              ;   Parent Loop BB95_4 Depth=1
                                        ; =>  This Inner Loop Header: Depth=2
	global_load_b64 v[8:9], v[4:5], off
	v_add_co_u32 v4, vcc_lo, v4, s10
	s_wait_alu 0xfffd
	v_add_co_ci_u32_e64 v5, null, s11, v5, vcc_lo
	s_wait_alu 0xfffe
	s_add_co_i32 s30, s30, -1
	s_wait_alu 0xfffe
	s_cmp_eq_u32 s30, 0
	s_wait_loadcnt 0x0
	v_add_f64_e32 v[6:7], v[6:7], v[8:9]
	s_cbranch_scc0 .LBB95_15
.LBB95_16:                              ;   in Loop: Header=BB95_4 Depth=1
	v_cmp_eq_f64_e64 s30, s[24:25], 0
	s_and_b32 vcc_lo, exec_lo, s30
	s_wait_alu 0xfffe
	s_cbranch_vccz .LBB95_23
; %bb.17:                               ;   in Loop: Header=BB95_4 Depth=1
	v_mul_f64_e32 v[4:5], s[22:23], v[6:7]
	s_cbranch_execnz .LBB95_19
.LBB95_18:                              ;   in Loop: Header=BB95_4 Depth=1
	v_add_co_u32 v4, vcc_lo, s20, v2
	s_wait_alu 0xfffd
	v_add_co_ci_u32_e64 v5, null, s21, v3, vcc_lo
	global_load_b64 v[4:5], v[4:5], off
	s_wait_loadcnt 0x0
	v_mul_f64_e32 v[4:5], s[24:25], v[4:5]
	s_delay_alu instid0(VALU_DEP_1)
	v_fma_f64 v[4:5], s[22:23], v[6:7], v[4:5]
.LBB95_19:                              ;   in Loop: Header=BB95_4 Depth=1
	s_or_b32 s28, s28, exec_lo
.LBB95_20:                              ;   in Loop: Header=BB95_4 Depth=1
	s_or_b32 exec_lo, exec_lo, s29
.LBB95_21:                              ;   in Loop: Header=BB95_4 Depth=1
	s_and_saveexec_b32 s22, s28
	s_cbranch_execz .LBB95_2
; %bb.22:                               ;   in Loop: Header=BB95_4 Depth=1
	v_add_co_u32 v6, vcc_lo, s20, v2
	s_wait_alu 0xfffd
	v_add_co_ci_u32_e64 v7, null, s21, v3, vcc_lo
	global_store_b64 v[6:7], v[4:5], off
	s_branch .LBB95_2
.LBB95_23:                              ;   in Loop: Header=BB95_4 Depth=1
                                        ; implicit-def: $vgpr4_vgpr5
	s_branch .LBB95_18
.LBB95_24:
	s_endpgm
	.section	.rodata,"a",@progbits
	.p2align	6, 0x0
	.amdhsa_kernel _ZL36rocblas_hemvn_kernel_upper_block_sumILi64ElPKdPddEviT1_lS3_lT2_lT0_lPT3_i
		.amdhsa_group_segment_fixed_size 0
		.amdhsa_private_segment_fixed_size 0
		.amdhsa_kernarg_size 344
		.amdhsa_user_sgpr_count 2
		.amdhsa_user_sgpr_dispatch_ptr 0
		.amdhsa_user_sgpr_queue_ptr 0
		.amdhsa_user_sgpr_kernarg_segment_ptr 1
		.amdhsa_user_sgpr_dispatch_id 0
		.amdhsa_user_sgpr_private_segment_size 0
		.amdhsa_wavefront_size32 1
		.amdhsa_uses_dynamic_stack 0
		.amdhsa_enable_private_segment 0
		.amdhsa_system_sgpr_workgroup_id_x 1
		.amdhsa_system_sgpr_workgroup_id_y 0
		.amdhsa_system_sgpr_workgroup_id_z 1
		.amdhsa_system_sgpr_workgroup_info 0
		.amdhsa_system_vgpr_workitem_id 0
		.amdhsa_next_free_vgpr 10
		.amdhsa_next_free_sgpr 32
		.amdhsa_reserve_vcc 1
		.amdhsa_float_round_mode_32 0
		.amdhsa_float_round_mode_16_64 0
		.amdhsa_float_denorm_mode_32 3
		.amdhsa_float_denorm_mode_16_64 3
		.amdhsa_fp16_overflow 0
		.amdhsa_workgroup_processor_mode 1
		.amdhsa_memory_ordered 1
		.amdhsa_forward_progress 1
		.amdhsa_inst_pref_size 7
		.amdhsa_round_robin_scheduling 0
		.amdhsa_exception_fp_ieee_invalid_op 0
		.amdhsa_exception_fp_denorm_src 0
		.amdhsa_exception_fp_ieee_div_zero 0
		.amdhsa_exception_fp_ieee_overflow 0
		.amdhsa_exception_fp_ieee_underflow 0
		.amdhsa_exception_fp_ieee_inexact 0
		.amdhsa_exception_int_div_zero 0
	.end_amdhsa_kernel
	.section	.text._ZL36rocblas_hemvn_kernel_upper_block_sumILi64ElPKdPddEviT1_lS3_lT2_lT0_lPT3_i,"axG",@progbits,_ZL36rocblas_hemvn_kernel_upper_block_sumILi64ElPKdPddEviT1_lS3_lT2_lT0_lPT3_i,comdat
.Lfunc_end95:
	.size	_ZL36rocblas_hemvn_kernel_upper_block_sumILi64ElPKdPddEviT1_lS3_lT2_lT0_lPT3_i, .Lfunc_end95-_ZL36rocblas_hemvn_kernel_upper_block_sumILi64ElPKdPddEviT1_lS3_lT2_lT0_lPT3_i
                                        ; -- End function
	.set _ZL36rocblas_hemvn_kernel_upper_block_sumILi64ElPKdPddEviT1_lS3_lT2_lT0_lPT3_i.num_vgpr, 10
	.set _ZL36rocblas_hemvn_kernel_upper_block_sumILi64ElPKdPddEviT1_lS3_lT2_lT0_lPT3_i.num_agpr, 0
	.set _ZL36rocblas_hemvn_kernel_upper_block_sumILi64ElPKdPddEviT1_lS3_lT2_lT0_lPT3_i.numbered_sgpr, 32
	.set _ZL36rocblas_hemvn_kernel_upper_block_sumILi64ElPKdPddEviT1_lS3_lT2_lT0_lPT3_i.num_named_barrier, 0
	.set _ZL36rocblas_hemvn_kernel_upper_block_sumILi64ElPKdPddEviT1_lS3_lT2_lT0_lPT3_i.private_seg_size, 0
	.set _ZL36rocblas_hemvn_kernel_upper_block_sumILi64ElPKdPddEviT1_lS3_lT2_lT0_lPT3_i.uses_vcc, 1
	.set _ZL36rocblas_hemvn_kernel_upper_block_sumILi64ElPKdPddEviT1_lS3_lT2_lT0_lPT3_i.uses_flat_scratch, 0
	.set _ZL36rocblas_hemvn_kernel_upper_block_sumILi64ElPKdPddEviT1_lS3_lT2_lT0_lPT3_i.has_dyn_sized_stack, 0
	.set _ZL36rocblas_hemvn_kernel_upper_block_sumILi64ElPKdPddEviT1_lS3_lT2_lT0_lPT3_i.has_recursion, 0
	.set _ZL36rocblas_hemvn_kernel_upper_block_sumILi64ElPKdPddEviT1_lS3_lT2_lT0_lPT3_i.has_indirect_call, 0
	.section	.AMDGPU.csdata,"",@progbits
; Kernel info:
; codeLenInByte = 784
; TotalNumSgprs: 34
; NumVgprs: 10
; ScratchSize: 0
; MemoryBound: 0
; FloatMode: 240
; IeeeMode: 1
; LDSByteSize: 0 bytes/workgroup (compile time only)
; SGPRBlocks: 0
; VGPRBlocks: 1
; NumSGPRsForWavesPerEU: 34
; NumVGPRsForWavesPerEU: 10
; Occupancy: 16
; WaveLimiterHint : 0
; COMPUTE_PGM_RSRC2:SCRATCH_EN: 0
; COMPUTE_PGM_RSRC2:USER_SGPR: 2
; COMPUTE_PGM_RSRC2:TRAP_HANDLER: 0
; COMPUTE_PGM_RSRC2:TGID_X_EN: 1
; COMPUTE_PGM_RSRC2:TGID_Y_EN: 0
; COMPUTE_PGM_RSRC2:TGID_Z_EN: 1
; COMPUTE_PGM_RSRC2:TIDIG_COMP_CNT: 0
	.section	.text._ZL26rocblas_hemvn_kernel_upperILb0ELi64ELi4ELi33ELi32ELi16EiPKdS1_PdEviT6_lT7_lT5_lS4_lS5_lS3_lT8_i,"axG",@progbits,_ZL26rocblas_hemvn_kernel_upperILb0ELi64ELi4ELi33ELi32ELi16EiPKdS1_PdEviT6_lT7_lT5_lS4_lS5_lS3_lT8_i,comdat
	.globl	_ZL26rocblas_hemvn_kernel_upperILb0ELi64ELi4ELi33ELi32ELi16EiPKdS1_PdEviT6_lT7_lT5_lS4_lS5_lS3_lT8_i ; -- Begin function _ZL26rocblas_hemvn_kernel_upperILb0ELi64ELi4ELi33ELi32ELi16EiPKdS1_PdEviT6_lT7_lT5_lS4_lS5_lS3_lT8_i
	.p2align	8
	.type	_ZL26rocblas_hemvn_kernel_upperILb0ELi64ELi4ELi33ELi32ELi16EiPKdS1_PdEviT6_lT7_lT5_lS4_lS5_lS3_lT8_i,@function
_ZL26rocblas_hemvn_kernel_upperILb0ELi64ELi4ELi33ELi32ELi16EiPKdS1_PdEviT6_lT7_lT5_lS4_lS5_lS3_lT8_i: ; @_ZL26rocblas_hemvn_kernel_upperILb0ELi64ELi4ELi33ELi32ELi16EiPKdS1_PdEviT6_lT7_lT5_lS4_lS5_lS3_lT8_i
; %bb.0:
	s_clause 0x1
	s_load_b64 s[2:3], s[0:1], 0x84
	s_load_b32 s19, s[0:1], 0x70
	s_lshr_b32 s34, ttmp7, 16
	s_wait_kmcnt 0x0
	s_lshr_b32 s4, s2, 16
	s_and_b32 s2, s2, 0xffff
	s_and_b32 s3, s3, 0xffff
	s_mul_i32 s2, s4, s2
	s_delay_alu instid0(SALU_CYCLE_1) | instskip(NEXT) | instid1(SALU_CYCLE_1)
	s_mul_i32 s2, s2, s3
	s_cmp_lg_u32 s2, 0x100
	s_cselect_b32 s2, -1, 0
	s_cmp_ge_u32 s34, s19
	s_cselect_b32 s3, -1, 0
	s_delay_alu instid0(SALU_CYCLE_1) | instskip(NEXT) | instid1(SALU_CYCLE_1)
	s_or_b32 s2, s2, s3
	s_and_b32 vcc_lo, exec_lo, s2
	s_cbranch_vccnz .LBB96_129
; %bb.1:
	s_clause 0x2
	s_load_b32 s2, s[0:1], 0x0
	s_load_b96 s[16:18], s[0:1], 0x40
	s_load_b32 s72, s[0:1], 0x28
	v_and_b32_e32 v48, 0x3ff, v0
	s_lshl_b32 s48, ttmp9, 6
	s_load_b128 s[28:31], s[0:1], 0x30
	s_add_nc_u64 s[6:7], s[0:1], 0x78
	s_delay_alu instid0(VALU_DEP_1)
	v_dual_mov_b32 v100, 0 :: v_dual_add_nc_u32 v1, s48, v48
	s_load_b256 s[20:27], s[0:1], 0x8
	s_load_b32 s44, s[6:7], 0x0
	v_bfe_u32 v2, v0, 10, 10
	s_load_b256 s[36:43], s[0:1], 0x50
	v_and_b32_e32 v3, 31, v0
	s_mov_b32 s35, 0
	s_mov_b32 s4, ttmp9
	v_lshl_add_u32 v10, v2, 6, v48
	s_mov_b32 s45, s35
	v_lshlrev_b32_e32 v105, 2, v2
	v_lshlrev_b32_e32 v14, 3, v3
	;; [unrolled: 1-line block ×3, first 2 shown]
	v_lshrrev_b32_e32 v8, 5, v10
	s_wait_kmcnt 0x0
	v_mul_lo_u32 v4, s18, v1
	s_lshl_b64 s[0:1], s[16:17], 3
	s_ashr_i32 s3, s2, 31
	s_ashr_i32 s73, s72, 31
	s_add_nc_u64 s[0:1], s[30:31], s[0:1]
	s_lshr_b32 s5, s3, 26
	v_add_nc_u32_e32 v9, 8, v8
	s_add_co_i32 s5, s2, s5
	v_ashrrev_i32_e32 v5, 31, v4
	s_and_not1_b32 s5, s5, 63
	s_add_co_i32 s8, s44, -1
	s_lshl_b64 s[6:7], s[26:27], 3
	s_sub_co_i32 s33, s2, s5
	v_lshlrev_b64_e32 v[4:5], 3, v[4:5]
	s_cmp_eq_u32 ttmp9, s8
	s_add_nc_u64 s[6:7], s[24:25], s[6:7]
	s_cselect_b32 s26, s33, 0
	s_mul_u64 s[24:25], s[44:45], s[2:3]
	s_cmp_lg_u32 s26, 0
	v_add_co_u32 v94, vcc_lo, s0, v4
	s_delay_alu instid0(VALU_DEP_1)
	v_add_co_ci_u32_e64 v95, null, s1, v5, vcc_lo
	v_mad_co_u64_u32 v[4:5], null, s72, v8, v[3:4]
	s_cselect_b32 s92, -1, 0
	s_cmp_eq_u32 s26, 0
	v_cmp_gt_i32_e32 vcc_lo, s26, v48
	s_cselect_b32 s1, -1, 0
	s_ashr_i32 s5, ttmp9, 31
	s_ashr_i32 s49, s48, 31
	v_ashrrev_i32_e32 v5, 31, v4
	s_mul_u64 s[4:5], s[2:3], s[4:5]
	s_wait_alu 0xfffe
	s_lshl_b64 s[2:3], s[48:49], 3
	s_lshl_b64 s[4:5], s[4:5], 3
	s_add_nc_u64 s[2:3], s[6:7], s[2:3]
	v_lshlrev_b64_e32 v[4:5], 3, v[4:5]
	s_add_nc_u64 s[30:31], s[42:43], s[4:5]
	s_mul_i32 s4, s72, s48
	s_or_b32 s93, s1, vcc_lo
	s_ashr_i32 s5, s4, 31
	v_lshlrev_b32_e32 v13, 2, v8
	v_add_co_u32 v6, vcc_lo, s2, v4
	s_wait_alu 0xfffd
	v_add_co_ci_u32_e64 v7, null, s3, v5, vcc_lo
	s_lshl_b64 s[2:3], s[4:5], 3
	s_sub_co_i32 s15, s26, 32
	s_wait_alu 0xfffe
	v_add_co_u32 v98, vcc_lo, v6, s2
	v_sub_co_u32 v6, s2, 0, v3
	s_wait_alu 0xfffd
	v_add_co_ci_u32_e64 v99, null, s3, v7, vcc_lo
	s_wait_alu 0xf1ff
	v_sub_co_ci_u32_e64 v7, null, 0, 0, s2
	v_cmp_gt_i32_e64 s2, s26, v8
	v_mul_u32_u24_e32 v15, 0x108, v8
	v_add_nc_u32_e32 v11, 16, v8
	v_cmp_gt_i32_e64 s3, s26, v9
	v_add_nc_u32_e32 v12, 24, v8
	v_mul_u32_u24_e32 v17, 0x420, v8
	v_lshlrev_b32_e32 v21, 3, v8
	v_cmp_gt_i32_e64 s12, s15, v8
	v_cmp_gt_i32_e64 s13, s15, v9
	v_cmp_eq_u32_e64 s16, 1, v8
	v_mul_i32_i24_e32 v106, 0xffffffe8, v8
	v_mad_co_u64_u32 v[8:9], null, s72, v105, v[48:49]
	v_cmp_gt_u32_e64 s6, v13, v3
	v_or_b32_e32 v18, 1, v13
	v_cmp_ge_u32_e64 s7, v13, v3
	v_or_b32_e32 v19, 2, v13
	v_or_b32_e32 v13, 3, v13
	v_cmp_gt_i32_e64 s4, s26, v11
	v_lshl_or_b32 v101, v3, 8, v14
	v_and_b32_e32 v16, 0x7fe0, v10
	v_cmp_gt_i32_e64 s5, s26, v12
	v_cmp_gt_u32_e64 s9, v13, v3
	v_or_b32_e32 v13, 32, v3
	v_cmp_gt_i32_e64 s14, s15, v11
	v_cmp_gt_i32_e64 s15, s15, v12
	v_lshrrev_b32_e32 v11, 4, v10
	v_and_b32_e32 v12, 15, v0
	v_and_b32_e32 v0, 48, v0
	v_ashrrev_i32_e32 v9, 31, v8
	v_add_nc_u32_e32 v102, v101, v16
	v_add_nc_u32_e32 v103, 0x2380, v16
	v_cmp_gt_i32_e64 s11, s26, v13
	v_lshlrev_b32_e32 v13, 5, v11
	v_lshlrev_b32_e32 v0, 3, v0
	v_or_b32_e32 v16, 0x78, v96
	v_cmp_gt_u32_e64 s8, v19, v3
	v_cmp_gt_u32_e64 s10, 32, v10
	v_mul_i32_i24_e32 v19, 0xffffffe8, v11
	v_cmp_gt_u32_e64 s17, 64, v10
	v_lshlrev_b64_e32 v[10:11], 3, v[8:9]
	s_lshl_b32 s42, s72, 3
	s_lshl_b32 s74, s72, 4
	s_mul_i32 s46, s72, 24
	s_lshl_b32 s58, s72, 5
	s_mul_i32 s48, s18, s48
	v_sub_co_u32 v117, vcc_lo, 0, v4
	s_add_co_i32 s52, ttmp9, 1
	s_ashr_i32 s27, s26, 31
	s_ashr_i32 s43, s42, 31
	;; [unrolled: 1-line block ×5, first 2 shown]
	s_wait_alu 0xfffe
	s_ashr_i32 s49, s48, 31
	v_mad_u32_u24 v109, 0x218, v12, v13
	v_mad_u32_u24 v110, 0x218, v12, v0
	;; [unrolled: 1-line block ×3, first 2 shown]
	s_wait_alu 0xfffd
	v_sub_co_ci_u32_e64 v118, null, 0, v5, vcc_lo
	v_add_co_u32 v12, vcc_lo, s58, v8
	s_cmp_lt_u32 s52, s44
	s_wait_alu 0xfffd
	v_add_co_ci_u32_e64 v13, null, s59, v9, vcc_lo
	s_cselect_b32 s45, -1, 0
	s_lshl_b64 s[54:55], s[58:59], 3
	v_sub_co_u32 v119, vcc_lo, v10, v4
	s_add_nc_u64 s[58:59], s[58:59], s[74:75]
	s_wait_alu 0xfffd
	v_sub_co_ci_u32_e64 v120, null, v11, v5, vcc_lo
	s_wait_alu 0xfffe
	v_add_co_u32 v8, vcc_lo, s58, v8
	v_lshlrev_b64_e32 v[4:5], 3, v[12:13]
	s_wait_alu 0xfffd
	v_add_co_ci_u32_e64 v9, null, s59, v9, vcc_lo
	s_add_nc_u64 s[88:89], s[72:73], s[74:75]
	s_mul_u64 s[66:67], s[72:73], 24
	s_lshl_b64 s[84:85], s[74:75], 4
	v_lshlrev_b64_e32 v[8:9], 3, v[8:9]
	v_mad_co_u64_u32 v[51:52], null, s88, 24, v[4:5]
	v_add_co_u32 v121, vcc_lo, s66, v4
	s_wait_alu 0xfffd
	v_add_co_ci_u32_e64 v122, null, s67, v5, vcc_lo
	s_delay_alu instid0(VALU_DEP_4)
	v_add_co_u32 v123, vcc_lo, s66, v8
	s_lshl_b64 s[70:71], s[72:73], 4
	s_wait_alu 0xfffd
	v_add_co_ci_u32_e64 v124, null, s67, v9, vcc_lo
	s_add_nc_u64 s[66:67], s[66:67], s[84:85]
	s_mul_u64 s[76:77], s[74:75], 24
	v_mad_co_i64_i32 v[49:50], null, s74, 24, v[4:5]
	v_mov_b32_e32 v0, v52
	s_wait_alu 0xfffe
	v_add_co_u32 v125, vcc_lo, s66, v4
	s_add_nc_u64 s[76:77], s[76:77], s[70:71]
	s_lshl_b32 s60, s72, 1
	s_wait_alu 0xfffd
	v_add_co_ci_u32_e64 v126, null, s67, v5, vcc_lo
	v_add_co_u32 v127, vcc_lo, s76, v4
	s_mul_i32 s62, s72, 3
	s_ashr_i32 s61, s60, 31
	s_lshl_b64 s[78:79], s[72:73], 3
	s_wait_alu 0xfffd
	v_add_co_ci_u32_e64 v128, null, s77, v5, vcc_lo
	v_mad_co_u64_u32 v[4:5], null, s89, 24, v[0:1]
	v_cmp_eq_u32_e64 s0, 0, v2
	v_lshl_add_u32 v107, v2, 5, 0x2180
	v_mad_u32_u24 v108, 0x860, v2, v96
	s_ashr_i32 s63, s62, 31
	v_mad_u32_u24 v113, 0x218, v2, v96
	v_ashrrev_i32_e32 v2, 31, v1
	s_lshl_b64 s[80:81], s[60:61], 3
	v_add_co_u32 v129, vcc_lo, v49, s78
	v_mul_u32_u24_e32 v20, 33, v3
	v_mul_u32_u24_e32 v18, 0x108, v18
	s_lshl_b64 s[82:83], s[62:63], 3
	s_wait_alu 0xfffd
	v_add_co_ci_u32_e64 v130, null, s79, v50, vcc_lo
	v_add_co_u32 v131, vcc_lo, v49, s80
	s_wait_alu 0xfffd
	v_add_co_ci_u32_e64 v132, null, s81, v50, vcc_lo
	v_add_co_u32 v133, vcc_lo, v49, s82
	s_lshl_b64 s[64:65], s[74:75], 3
	v_lshlrev_b64_e32 v[52:53], 3, v[6:7]
	v_lshlrev_b64_e32 v[54:55], 3, v[1:2]
	v_add_nc_u32_e32 v97, 0x2380, v96
	v_cmp_gt_i32_e64 s1, s26, v3
	v_lshl_add_u32 v104, v20, 3, v21
	v_add_nc_u32_e32 v112, 51, v105
	v_add_nc_u32_e32 v114, v101, v21
	;; [unrolled: 1-line block ×4, first 2 shown]
	s_wait_alu 0xfffd
	v_add_co_ci_u32_e64 v134, null, s83, v50, vcc_lo
	v_dual_mov_b32 v135, v4 :: v_dual_add_nc_u32 v136, v14, v15
	v_add_nc_u32_e32 v137, v14, v17
	v_add_nc_u32_e32 v138, v14, v18
	;; [unrolled: 1-line block ×3, first 2 shown]
	v_lshlrev_b32_e32 v140, 3, v3
	s_sub_nc_u64 s[86:87], 0, s[48:49]
	s_lshl_b32 s95, s18, 6
	s_mul_i32 s18, s18, s52
	s_lshl_b64 s[52:53], s[74:75], 5
	s_add_nc_u64 s[56:57], s[70:71], s[54:55]
	s_add_nc_u64 s[58:59], s[78:79], s[54:55]
	s_add_nc_u64 s[66:67], s[54:55], s[64:65]
	s_add_nc_u64 s[74:75], s[84:85], s[54:55]
	s_add_co_i32 s94, s44, -2
	s_and_b32 s96, s0, s93
	s_sub_nc_u64 s[48:49], 0, s[26:27]
	s_lshl_b64 s[50:51], s[72:73], 6
	s_wait_alu 0xfffe
	s_lshl_b32 s97, s18, 6
	s_add_nc_u64 s[60:61], s[54:55], s[80:81]
	s_add_nc_u64 s[62:63], s[54:55], s[82:83]
	;; [unrolled: 1-line block ×10, first 2 shown]
	s_lshl_b64 s[86:87], s[86:87], 3
	s_branch .LBB96_4
.LBB96_2:                               ;   in Loop: Header=BB96_4 Depth=1
	s_wait_alu 0xfffe
	s_or_b32 exec_lo, exec_lo, s18
.LBB96_3:                               ;   in Loop: Header=BB96_4 Depth=1
	s_add_co_i32 s34, s34, 0x10000
	s_delay_alu instid0(SALU_CYCLE_1)
	s_cmp_lt_u32 s34, s19
	s_cbranch_scc0 .LBB96_129
.LBB96_4:                               ; =>This Loop Header: Depth=1
                                        ;     Child Loop BB96_69 Depth 2
	s_mul_u64 s[88:89], s[22:23], s[34:35]
	s_mul_u64 s[90:91], s[40:41], s[34:35]
	s_wait_alu 0xfffe
	s_lshl_b64 s[88:89], s[88:89], 3
	s_lshl_b64 s[90:91], s[90:91], 3
	s_wait_alu 0xfffe
	s_add_nc_u64 s[88:89], s[20:21], s[88:89]
	s_add_nc_u64 s[90:91], s[38:39], s[90:91]
	s_clause 0x1
	global_load_b64 v[0:1], v100, s[88:89]
	global_load_b64 v[2:3], v100, s[90:91]
	s_wait_loadcnt 0x1
	v_cmp_eq_f64_e64 s18, 0, v[0:1]
	s_wait_loadcnt 0x0
	v_cmp_eq_f64_e32 vcc_lo, 1.0, v[2:3]
	s_and_b32 s88, s18, vcc_lo
	s_wait_alu 0xfffe
	s_and_b32 vcc_lo, exec_lo, s88
	s_wait_alu 0xfffe
	s_cbranch_vccnz .LBB96_3
; %bb.5:                                ;   in Loop: Header=BB96_4 Depth=1
	s_and_b32 vcc_lo, exec_lo, s18
	s_wait_alu 0xfffe
	s_cbranch_vccnz .LBB96_3
; %bb.6:                                ;   in Loop: Header=BB96_4 Depth=1
	s_mul_u64 s[88:89], s[36:37], s[34:35]
	s_wait_alu 0xfffe
	s_lshl_b64 s[88:89], s[88:89], 3
	s_wait_alu 0xfffe
	v_add_co_u32 v12, vcc_lo, v94, s88
	s_wait_alu 0xfffd
	v_add_co_ci_u32_e64 v13, null, s89, v95, vcc_lo
	s_and_saveexec_b32 s18, s0
	s_cbranch_execz .LBB96_10
; %bb.7:                                ;   in Loop: Header=BB96_4 Depth=1
	v_mov_b32_e32 v0, 0
	v_mov_b32_e32 v1, 0
	s_and_saveexec_b32 s88, s93
	s_cbranch_execz .LBB96_9
; %bb.8:                                ;   in Loop: Header=BB96_4 Depth=1
	global_load_b64 v[0:1], v[12:13], off
.LBB96_9:                               ;   in Loop: Header=BB96_4 Depth=1
	s_wait_alu 0xfffe
	s_or_b32 exec_lo, exec_lo, s88
	s_wait_loadcnt 0x0
	ds_store_b64 v97, v[0:1]
.LBB96_10:                              ;   in Loop: Header=BB96_4 Depth=1
	s_wait_alu 0xfffe
	s_or_b32 exec_lo, exec_lo, s18
	s_mul_u64 s[88:89], s[28:29], s[34:35]
	s_mov_b32 s18, -1
	s_wait_alu 0xfffe
	s_lshl_b64 s[88:89], s[88:89], 3
                                        ; implicit-def: $vgpr0_vgpr1
	s_wait_alu 0xfffe
	v_add_co_u32 v2, vcc_lo, v98, s88
	s_wait_alu 0xfffd
	v_add_co_ci_u32_e64 v3, null, s89, v99, vcc_lo
	s_and_b32 vcc_lo, exec_lo, s92
	s_wait_alu 0xfffe
	s_cbranch_vccz .LBB96_20
; %bb.11:                               ;   in Loop: Header=BB96_4 Depth=1
	v_add_co_u32 v0, vcc_lo, v2, v52
	s_wait_alu 0xfffd
	v_add_co_ci_u32_e64 v1, null, v3, v53, vcc_lo
	s_lshl_b64 s[88:89], s[26:27], 3
	v_mov_b32_e32 v6, 0
	s_wait_alu 0xfffe
	v_add_co_u32 v0, vcc_lo, v0, s88
	s_wait_alu 0xfffd
	v_add_co_ci_u32_e64 v1, null, s89, v1, vcc_lo
	v_dual_mov_b32 v7, 0 :: v_dual_mov_b32 v4, 0
	s_delay_alu instid0(VALU_DEP_3) | instskip(SKIP_1) | instid1(VALU_DEP_3)
	v_add_co_u32 v0, vcc_lo, v0, -8
	s_wait_alu 0xfffd
	v_add_co_ci_u32_e64 v1, null, -1, v1, vcc_lo
	v_mov_b32_e32 v5, 0
	s_delay_alu instid0(VALU_DEP_3) | instskip(NEXT) | instid1(VALU_DEP_3)
	v_cndmask_b32_e64 v0, v0, v2, s1
	v_cndmask_b32_e64 v1, v1, v3, s1
	s_and_saveexec_b32 s18, s2
	s_cbranch_execz .LBB96_13
; %bb.12:                               ;   in Loop: Header=BB96_4 Depth=1
	global_load_b64 v[4:5], v[0:1], off
.LBB96_13:                              ;   in Loop: Header=BB96_4 Depth=1
	s_wait_alu 0xfffe
	s_or_b32 exec_lo, exec_lo, s18
	s_wait_loadcnt 0x0
	ds_store_b64 v136, v[4:5]
	s_and_saveexec_b32 s18, s3
	s_cbranch_execz .LBB96_15
; %bb.14:                               ;   in Loop: Header=BB96_4 Depth=1
	s_lshl_b64 s[88:89], s[42:43], 3
	s_wait_alu 0xfffe
	v_add_co_u32 v4, vcc_lo, v0, s88
	s_wait_alu 0xfffd
	v_add_co_ci_u32_e64 v5, null, s89, v1, vcc_lo
	global_load_b64 v[6:7], v[4:5], off
.LBB96_15:                              ;   in Loop: Header=BB96_4 Depth=1
	s_wait_alu 0xfffe
	s_or_b32 exec_lo, exec_lo, s18
	v_mov_b32_e32 v4, 0
	v_dual_mov_b32 v5, 0 :: v_dual_mov_b32 v8, 0
	v_mov_b32_e32 v9, 0
	s_wait_loadcnt 0x0
	ds_store_b64 v136, v[6:7] offset:2112
	s_and_saveexec_b32 s18, s4
	s_cbranch_execz .LBB96_17
; %bb.16:                               ;   in Loop: Header=BB96_4 Depth=1
	v_add_co_u32 v6, vcc_lo, v0, s64
	s_wait_alu 0xfffd
	v_add_co_ci_u32_e64 v7, null, s65, v1, vcc_lo
	global_load_b64 v[8:9], v[6:7], off
.LBB96_17:                              ;   in Loop: Header=BB96_4 Depth=1
	s_wait_alu 0xfffe
	s_or_b32 exec_lo, exec_lo, s18
	s_wait_loadcnt 0x0
	ds_store_b64 v136, v[8:9] offset:4224
	s_and_saveexec_b32 s18, s5
	s_cbranch_execz .LBB96_19
; %bb.18:                               ;   in Loop: Header=BB96_4 Depth=1
	s_lshl_b64 s[88:89], s[46:47], 3
	s_wait_alu 0xfffe
	v_add_co_u32 v4, vcc_lo, v0, s88
	s_wait_alu 0xfffd
	v_add_co_ci_u32_e64 v5, null, s89, v1, vcc_lo
	global_load_b64 v[4:5], v[4:5], off
.LBB96_19:                              ;   in Loop: Header=BB96_4 Depth=1
	s_wait_alu 0xfffe
	s_or_b32 exec_lo, exec_lo, s18
	v_add_co_u32 v0, vcc_lo, v0, v140
	s_wait_alu 0xfffd
	v_add_co_ci_u32_e64 v1, null, 0, v1, vcc_lo
	s_lshl_b64 s[88:89], s[48:49], 3
	s_mov_b32 s18, 0
	s_wait_alu 0xfffe
	v_add_co_u32 v0, vcc_lo, v0, s88
	s_wait_alu 0xfffd
	v_add_co_ci_u32_e64 v1, null, s89, v1, vcc_lo
	s_wait_loadcnt 0x0
	ds_store_b64 v136, v[4:5] offset:6336
	v_add_co_u32 v0, vcc_lo, v0, 8
	s_wait_alu 0xfffd
	v_add_co_ci_u32_e64 v1, null, 0, v1, vcc_lo
	s_delay_alu instid0(VALU_DEP_2) | instskip(NEXT) | instid1(VALU_DEP_2)
	v_cndmask_b32_e64 v0, v0, v2, s1
	v_cndmask_b32_e64 v1, v1, v3, s1
.LBB96_20:                              ;   in Loop: Header=BB96_4 Depth=1
	s_and_b32 vcc_lo, exec_lo, s18
	s_wait_alu 0xfffe
	s_cbranch_vccz .LBB96_22
; %bb.21:                               ;   in Loop: Header=BB96_4 Depth=1
	s_lshl_b64 s[88:89], s[42:43], 3
	s_wait_alu 0xfffe
	v_add_co_u32 v0, vcc_lo, v2, s88
	s_wait_alu 0xfffd
	v_add_co_ci_u32_e64 v1, null, s89, v3, vcc_lo
	s_delay_alu instid0(VALU_DEP_2) | instskip(SKIP_1) | instid1(VALU_DEP_2)
	v_add_co_u32 v4, vcc_lo, v0, s50
	s_wait_alu 0xfffd
	v_add_co_ci_u32_e64 v5, null, s51, v1, vcc_lo
	s_delay_alu instid0(VALU_DEP_2) | instskip(SKIP_1) | instid1(VALU_DEP_2)
	v_add_co_u32 v6, vcc_lo, v4, s50
	s_wait_alu 0xfffd
	v_add_co_ci_u32_e64 v7, null, s51, v5, vcc_lo
	s_clause 0x3
	global_load_b64 v[8:9], v[2:3], off
	global_load_b64 v[10:11], v[0:1], off
	;; [unrolled: 1-line block ×4, first 2 shown]
	v_dual_mov_b32 v0, v2 :: v_dual_mov_b32 v1, v3
	s_wait_loadcnt 0x3
	ds_store_b64 v136, v[8:9]
	s_wait_loadcnt 0x2
	ds_store_b64 v136, v[10:11] offset:2112
	s_wait_loadcnt 0x1
	ds_store_b64 v136, v[4:5] offset:4224
	;; [unrolled: 2-line block ×3, first 2 shown]
.LBB96_22:                              ;   in Loop: Header=BB96_4 Depth=1
	s_wait_dscnt 0x0
	s_barrier_signal -1
	s_barrier_wait -1
	global_inv scope:SCOPE_SE
	s_and_saveexec_b32 s18, s6
	s_cbranch_execnz .LBB96_123
; %bb.23:                               ;   in Loop: Header=BB96_4 Depth=1
	s_wait_alu 0xfffe
	s_or_b32 exec_lo, exec_lo, s18
	s_and_saveexec_b32 s18, s7
	s_cbranch_execnz .LBB96_124
.LBB96_24:                              ;   in Loop: Header=BB96_4 Depth=1
	s_wait_alu 0xfffe
	s_or_b32 exec_lo, exec_lo, s18
	s_and_saveexec_b32 s18, s8
	s_cbranch_execnz .LBB96_125
.LBB96_25:                              ;   in Loop: Header=BB96_4 Depth=1
	s_wait_alu 0xfffe
	s_or_b32 exec_lo, exec_lo, s18
	s_and_saveexec_b32 s18, s9
	s_cbranch_execz .LBB96_27
.LBB96_26:                              ;   in Loop: Header=BB96_4 Depth=1
	ds_load_b64 v[2:3], v138 offset:528
	s_wait_dscnt 0x0
	ds_store_b64 v102, v[2:3] offset:24
.LBB96_27:                              ;   in Loop: Header=BB96_4 Depth=1
	s_wait_alu 0xfffe
	s_or_b32 exec_lo, exec_lo, s18
	s_wait_loadcnt_dscnt 0x0
	s_barrier_signal -1
	s_barrier_wait -1
	global_inv scope:SCOPE_SE
	ds_load_b64 v[10:11], v137
	ds_load_b128 v[2:5], v103
	ds_load_b128 v[6:9], v103 offset:16
	ds_load_b64 v[18:19], v138 offset:528
	ds_load_2addr_b64 v[14:17], v138 offset1:33
	v_mov_b32_e32 v56, 0
	v_mov_b32_e32 v57, 0
	s_wait_loadcnt_dscnt 0x0
	s_barrier_signal -1
	s_barrier_wait -1
	global_inv scope:SCOPE_SE
	v_fma_f64 v[2:3], v[10:11], v[2:3], 0
	s_delay_alu instid0(VALU_DEP_1) | instskip(NEXT) | instid1(VALU_DEP_1)
	v_fma_f64 v[2:3], v[14:15], v[4:5], v[2:3]
	v_fma_f64 v[2:3], v[16:17], v[6:7], v[2:3]
	s_delay_alu instid0(VALU_DEP_1)
	v_fma_f64 v[2:3], v[18:19], v[8:9], v[2:3]
	ds_store_b64 v104, v[2:3]
	s_wait_loadcnt_dscnt 0x0
	s_barrier_signal -1
	s_barrier_wait -1
	global_inv scope:SCOPE_SE
	s_and_saveexec_b32 s18, s10
	s_cbranch_execz .LBB96_29
; %bb.28:                               ;   in Loop: Header=BB96_4 Depth=1
	ds_load_2addr_b64 v[2:5], v101 offset1:1
	ds_load_2addr_b64 v[6:9], v101 offset0:2 offset1:3
	s_wait_dscnt 0x1
	v_add_f64_e32 v[2:3], v[2:3], v[4:5]
	s_wait_dscnt 0x0
	s_delay_alu instid0(VALU_DEP_1) | instskip(NEXT) | instid1(VALU_DEP_1)
	v_add_f64_e32 v[2:3], v[2:3], v[6:7]
	v_add_f64_e32 v[10:11], v[2:3], v[8:9]
	ds_load_2addr_b64 v[2:5], v101 offset0:4 offset1:5
	ds_load_2addr_b64 v[6:9], v101 offset0:6 offset1:7
	s_wait_dscnt 0x1
	v_add_f64_e32 v[2:3], v[10:11], v[2:3]
	s_delay_alu instid0(VALU_DEP_1) | instskip(SKIP_1) | instid1(VALU_DEP_1)
	v_add_f64_e32 v[2:3], v[2:3], v[4:5]
	s_wait_dscnt 0x0
	v_add_f64_e32 v[2:3], v[2:3], v[6:7]
	s_delay_alu instid0(VALU_DEP_1)
	v_add_f64_e32 v[56:57], v[2:3], v[8:9]
.LBB96_29:                              ;   in Loop: Header=BB96_4 Depth=1
	s_wait_alu 0xfffe
	s_or_b32 exec_lo, exec_lo, s18
	v_add_co_u32 v4, vcc_lo, v0, s54
	s_wait_alu 0xfffd
	v_add_co_ci_u32_e64 v5, null, s55, v1, vcc_lo
	s_mov_b32 s18, -1
	v_add_co_u32 v2, vcc_lo, 0x100, v4
	s_wait_alu 0xfffd
	v_add_co_ci_u32_e64 v3, null, 0, v5, vcc_lo
	s_and_b32 vcc_lo, exec_lo, s92
	s_wait_loadcnt 0x0
	s_barrier_signal -1
	s_barrier_wait -1
	global_inv scope:SCOPE_SE
                                        ; implicit-def: $vgpr0_vgpr1
	s_wait_alu 0xfffe
	s_cbranch_vccz .LBB96_39
; %bb.30:                               ;   in Loop: Header=BB96_4 Depth=1
	v_add_co_u32 v0, vcc_lo, v4, v52
	s_wait_alu 0xfffd
	v_add_co_ci_u32_e64 v1, null, v5, v53, vcc_lo
	s_lshl_b64 s[88:89], s[26:27], 3
	v_mov_b32_e32 v8, 0
	s_wait_alu 0xfffe
	v_add_co_u32 v0, vcc_lo, v0, s88
	s_wait_alu 0xfffd
	v_add_co_ci_u32_e64 v1, null, s89, v1, vcc_lo
	v_dual_mov_b32 v9, 0 :: v_dual_mov_b32 v6, 0
	s_delay_alu instid0(VALU_DEP_3) | instskip(SKIP_1) | instid1(VALU_DEP_3)
	v_add_co_u32 v0, vcc_lo, v0, -8
	s_wait_alu 0xfffd
	v_add_co_ci_u32_e64 v1, null, -1, v1, vcc_lo
	v_mov_b32_e32 v7, 0
	s_delay_alu instid0(VALU_DEP_3) | instskip(NEXT) | instid1(VALU_DEP_3)
	v_cndmask_b32_e64 v0, v0, v2, s11
	v_cndmask_b32_e64 v1, v1, v3, s11
	s_and_saveexec_b32 s18, s12
	s_cbranch_execz .LBB96_32
; %bb.31:                               ;   in Loop: Header=BB96_4 Depth=1
	global_load_b64 v[6:7], v[0:1], off
.LBB96_32:                              ;   in Loop: Header=BB96_4 Depth=1
	s_wait_alu 0xfffe
	s_or_b32 exec_lo, exec_lo, s18
	s_wait_loadcnt 0x0
	ds_store_b64 v136, v[6:7]
	s_and_saveexec_b32 s18, s13
	s_cbranch_execz .LBB96_34
; %bb.33:                               ;   in Loop: Header=BB96_4 Depth=1
	s_lshl_b64 s[88:89], s[42:43], 3
	s_wait_alu 0xfffe
	v_add_co_u32 v6, vcc_lo, v0, s88
	s_wait_alu 0xfffd
	v_add_co_ci_u32_e64 v7, null, s89, v1, vcc_lo
	global_load_b64 v[8:9], v[6:7], off
.LBB96_34:                              ;   in Loop: Header=BB96_4 Depth=1
	s_wait_alu 0xfffe
	s_or_b32 exec_lo, exec_lo, s18
	v_mov_b32_e32 v6, 0
	v_dual_mov_b32 v7, 0 :: v_dual_mov_b32 v10, 0
	v_mov_b32_e32 v11, 0
	s_wait_loadcnt 0x0
	ds_store_b64 v136, v[8:9] offset:2112
	s_and_saveexec_b32 s18, s14
	s_cbranch_execz .LBB96_36
; %bb.35:                               ;   in Loop: Header=BB96_4 Depth=1
	v_add_co_u32 v8, vcc_lo, v0, s64
	s_wait_alu 0xfffd
	v_add_co_ci_u32_e64 v9, null, s65, v1, vcc_lo
	global_load_b64 v[10:11], v[8:9], off
.LBB96_36:                              ;   in Loop: Header=BB96_4 Depth=1
	s_wait_alu 0xfffe
	s_or_b32 exec_lo, exec_lo, s18
	s_wait_loadcnt 0x0
	ds_store_b64 v136, v[10:11] offset:4224
	s_and_saveexec_b32 s18, s15
	s_cbranch_execz .LBB96_38
; %bb.37:                               ;   in Loop: Header=BB96_4 Depth=1
	s_lshl_b64 s[88:89], s[46:47], 3
	s_wait_alu 0xfffe
	v_add_co_u32 v6, vcc_lo, v0, s88
	s_wait_alu 0xfffd
	v_add_co_ci_u32_e64 v7, null, s89, v1, vcc_lo
	global_load_b64 v[6:7], v[6:7], off
.LBB96_38:                              ;   in Loop: Header=BB96_4 Depth=1
	s_wait_alu 0xfffe
	s_or_b32 exec_lo, exec_lo, s18
	v_add_co_u32 v0, vcc_lo, v0, v140
	s_wait_alu 0xfffd
	v_add_co_ci_u32_e64 v1, null, 0, v1, vcc_lo
	s_lshl_b64 s[88:89], s[48:49], 3
	s_mov_b32 s18, 0
	s_wait_alu 0xfffe
	v_add_co_u32 v0, vcc_lo, v0, s88
	s_wait_alu 0xfffd
	v_add_co_ci_u32_e64 v1, null, s89, v1, vcc_lo
	s_wait_loadcnt 0x0
	ds_store_b64 v136, v[6:7] offset:6336
	v_add_co_u32 v0, vcc_lo, 0x108, v0
	s_wait_alu 0xfffd
	v_add_co_ci_u32_e64 v1, null, 0, v1, vcc_lo
	s_delay_alu instid0(VALU_DEP_2) | instskip(NEXT) | instid1(VALU_DEP_2)
	v_cndmask_b32_e64 v0, v0, v2, s11
	v_cndmask_b32_e64 v1, v1, v3, s11
.LBB96_39:                              ;   in Loop: Header=BB96_4 Depth=1
	s_and_b32 vcc_lo, exec_lo, s18
	s_wait_alu 0xfffe
	s_cbranch_vccz .LBB96_41
; %bb.40:                               ;   in Loop: Header=BB96_4 Depth=1
	s_lshl_b64 s[88:89], s[42:43], 3
	s_wait_alu 0xfffe
	v_add_co_u32 v0, vcc_lo, v4, s88
	s_wait_alu 0xfffd
	v_add_co_ci_u32_e64 v1, null, s89, v5, vcc_lo
	s_delay_alu instid0(VALU_DEP_2) | instskip(SKIP_1) | instid1(VALU_DEP_2)
	v_add_co_u32 v6, vcc_lo, v0, s50
	s_wait_alu 0xfffd
	v_add_co_ci_u32_e64 v7, null, s51, v1, vcc_lo
	s_delay_alu instid0(VALU_DEP_2) | instskip(SKIP_1) | instid1(VALU_DEP_2)
	v_add_co_u32 v8, vcc_lo, v6, s50
	s_wait_alu 0xfffd
	v_add_co_ci_u32_e64 v9, null, s51, v7, vcc_lo
	s_clause 0x3
	global_load_b64 v[4:5], v[4:5], off offset:256
	global_load_b64 v[10:11], v[0:1], off offset:256
	;; [unrolled: 1-line block ×4, first 2 shown]
	v_dual_mov_b32 v0, v2 :: v_dual_mov_b32 v1, v3
	s_wait_loadcnt 0x3
	ds_store_b64 v136, v[4:5]
	s_wait_loadcnt 0x2
	ds_store_b64 v136, v[10:11] offset:2112
	s_wait_loadcnt 0x1
	ds_store_b64 v136, v[6:7] offset:4224
	;; [unrolled: 2-line block ×3, first 2 shown]
.LBB96_41:                              ;   in Loop: Header=BB96_4 Depth=1
	s_wait_loadcnt_dscnt 0x0
	s_barrier_signal -1
	s_barrier_wait -1
	global_inv scope:SCOPE_SE
	s_and_saveexec_b32 s18, s6
	s_cbranch_execnz .LBB96_126
; %bb.42:                               ;   in Loop: Header=BB96_4 Depth=1
	s_wait_alu 0xfffe
	s_or_b32 exec_lo, exec_lo, s18
	s_and_saveexec_b32 s18, s7
	s_cbranch_execnz .LBB96_127
.LBB96_43:                              ;   in Loop: Header=BB96_4 Depth=1
	s_wait_alu 0xfffe
	s_or_b32 exec_lo, exec_lo, s18
	s_and_saveexec_b32 s18, s8
	s_cbranch_execnz .LBB96_128
.LBB96_44:                              ;   in Loop: Header=BB96_4 Depth=1
	s_wait_alu 0xfffe
	s_or_b32 exec_lo, exec_lo, s18
	s_and_saveexec_b32 s18, s9
	s_cbranch_execz .LBB96_46
.LBB96_45:                              ;   in Loop: Header=BB96_4 Depth=1
	ds_load_b64 v[2:3], v138 offset:528
	s_wait_dscnt 0x0
	ds_store_b64 v102, v[2:3] offset:24
.LBB96_46:                              ;   in Loop: Header=BB96_4 Depth=1
	s_wait_alu 0xfffe
	s_or_b32 exec_lo, exec_lo, s18
	s_wait_loadcnt_dscnt 0x0
	s_barrier_signal -1
	s_barrier_wait -1
	global_inv scope:SCOPE_SE
	ds_load_b64 v[10:11], v137
	ds_load_b128 v[2:5], v103 offset:256
	ds_load_b128 v[6:9], v103 offset:272
	ds_load_b64 v[18:19], v138 offset:528
	ds_load_2addr_b64 v[14:17], v138 offset1:33
	s_wait_loadcnt_dscnt 0x0
	s_barrier_signal -1
	s_barrier_wait -1
	global_inv scope:SCOPE_SE
	v_fma_f64 v[2:3], v[10:11], v[2:3], 0
	s_delay_alu instid0(VALU_DEP_1) | instskip(NEXT) | instid1(VALU_DEP_1)
	v_fma_f64 v[2:3], v[14:15], v[4:5], v[2:3]
	v_fma_f64 v[2:3], v[16:17], v[6:7], v[2:3]
	s_delay_alu instid0(VALU_DEP_1)
	v_fma_f64 v[2:3], v[18:19], v[8:9], v[2:3]
	ds_store_b64 v104, v[2:3]
	s_wait_loadcnt_dscnt 0x0
	s_barrier_signal -1
	s_barrier_wait -1
	global_inv scope:SCOPE_SE
	s_and_saveexec_b32 s18, s16
	s_cbranch_execz .LBB96_48
; %bb.47:                               ;   in Loop: Header=BB96_4 Depth=1
	ds_load_2addr_b64 v[2:5], v101 offset1:1
	ds_load_2addr_b64 v[6:9], v101 offset0:2 offset1:3
	s_wait_dscnt 0x1
	v_add_f64_e32 v[2:3], v[2:3], v[4:5]
	s_wait_dscnt 0x0
	s_delay_alu instid0(VALU_DEP_1) | instskip(NEXT) | instid1(VALU_DEP_1)
	v_add_f64_e32 v[2:3], v[2:3], v[6:7]
	v_add_f64_e32 v[10:11], v[2:3], v[8:9]
	ds_load_2addr_b64 v[2:5], v101 offset0:4 offset1:5
	ds_load_2addr_b64 v[6:9], v101 offset0:6 offset1:7
	s_wait_dscnt 0x1
	v_add_f64_e32 v[2:3], v[10:11], v[2:3]
	s_delay_alu instid0(VALU_DEP_1) | instskip(SKIP_1) | instid1(VALU_DEP_1)
	v_add_f64_e32 v[2:3], v[2:3], v[4:5]
	s_wait_dscnt 0x0
	v_add_f64_e32 v[2:3], v[2:3], v[6:7]
	s_delay_alu instid0(VALU_DEP_1)
	v_add_f64_e32 v[56:57], v[2:3], v[8:9]
.LBB96_48:                              ;   in Loop: Header=BB96_4 Depth=1
	s_wait_alu 0xfffe
	s_or_b32 exec_lo, exec_lo, s18
	v_add_co_u32 v2, vcc_lo, 0xffffff00, v0
	s_wait_alu 0xfffd
	v_add_co_ci_u32_e64 v3, null, -1, v1, vcc_lo
	s_and_b32 vcc_lo, exec_lo, s92
	s_mov_b32 s18, -1
	s_wait_loadcnt 0x0
	s_barrier_signal -1
	s_barrier_wait -1
	global_inv scope:SCOPE_SE
                                        ; implicit-def: $vgpr14_vgpr15
	s_wait_alu 0xfffe
	s_cbranch_vccz .LBB96_58
; %bb.49:                               ;   in Loop: Header=BB96_4 Depth=1
	v_add_co_u32 v4, vcc_lo, v0, v52
	s_wait_alu 0xfffd
	v_add_co_ci_u32_e64 v5, null, v1, v53, vcc_lo
	s_lshl_b64 s[88:89], s[26:27], 3
	v_mov_b32_e32 v8, 0
	s_wait_alu 0xfffe
	v_add_co_u32 v4, vcc_lo, v4, s88
	s_wait_alu 0xfffd
	v_add_co_ci_u32_e64 v5, null, s89, v5, vcc_lo
	v_dual_mov_b32 v9, 0 :: v_dual_mov_b32 v6, 0
	s_delay_alu instid0(VALU_DEP_3) | instskip(SKIP_1) | instid1(VALU_DEP_3)
	v_add_co_u32 v4, vcc_lo, 0xfffffef8, v4
	s_wait_alu 0xfffd
	v_add_co_ci_u32_e64 v5, null, -1, v5, vcc_lo
	v_mov_b32_e32 v7, 0
	s_delay_alu instid0(VALU_DEP_3) | instskip(NEXT) | instid1(VALU_DEP_3)
	v_cndmask_b32_e64 v4, v4, v2, s1
	v_cndmask_b32_e64 v5, v5, v3, s1
	s_and_saveexec_b32 s18, s12
	s_cbranch_execz .LBB96_51
; %bb.50:                               ;   in Loop: Header=BB96_4 Depth=1
	global_load_b64 v[6:7], v[4:5], off
.LBB96_51:                              ;   in Loop: Header=BB96_4 Depth=1
	s_wait_alu 0xfffe
	s_or_b32 exec_lo, exec_lo, s18
	s_wait_loadcnt 0x0
	ds_store_b64 v136, v[6:7]
	s_and_saveexec_b32 s18, s13
	s_cbranch_execz .LBB96_53
; %bb.52:                               ;   in Loop: Header=BB96_4 Depth=1
	s_lshl_b64 s[88:89], s[42:43], 3
	s_wait_alu 0xfffe
	v_add_co_u32 v6, vcc_lo, v4, s88
	s_wait_alu 0xfffd
	v_add_co_ci_u32_e64 v7, null, s89, v5, vcc_lo
	global_load_b64 v[8:9], v[6:7], off
.LBB96_53:                              ;   in Loop: Header=BB96_4 Depth=1
	s_wait_alu 0xfffe
	s_or_b32 exec_lo, exec_lo, s18
	v_mov_b32_e32 v6, 0
	v_dual_mov_b32 v7, 0 :: v_dual_mov_b32 v10, 0
	v_mov_b32_e32 v11, 0
	s_wait_loadcnt 0x0
	ds_store_b64 v136, v[8:9] offset:2112
	s_and_saveexec_b32 s18, s14
	s_cbranch_execz .LBB96_55
; %bb.54:                               ;   in Loop: Header=BB96_4 Depth=1
	v_add_co_u32 v8, vcc_lo, v4, s64
	s_wait_alu 0xfffd
	v_add_co_ci_u32_e64 v9, null, s65, v5, vcc_lo
	global_load_b64 v[10:11], v[8:9], off
.LBB96_55:                              ;   in Loop: Header=BB96_4 Depth=1
	s_wait_alu 0xfffe
	s_or_b32 exec_lo, exec_lo, s18
	s_wait_loadcnt 0x0
	ds_store_b64 v136, v[10:11] offset:4224
	s_and_saveexec_b32 s18, s15
	s_cbranch_execz .LBB96_57
; %bb.56:                               ;   in Loop: Header=BB96_4 Depth=1
	s_lshl_b64 s[88:89], s[46:47], 3
	s_wait_alu 0xfffe
	v_add_co_u32 v6, vcc_lo, v4, s88
	s_wait_alu 0xfffd
	v_add_co_ci_u32_e64 v7, null, s89, v5, vcc_lo
	global_load_b64 v[6:7], v[6:7], off
.LBB96_57:                              ;   in Loop: Header=BB96_4 Depth=1
	s_wait_alu 0xfffe
	s_or_b32 exec_lo, exec_lo, s18
	v_add_co_u32 v4, vcc_lo, v4, v140
	s_wait_alu 0xfffd
	v_add_co_ci_u32_e64 v5, null, 0, v5, vcc_lo
	s_lshl_b64 s[88:89], s[48:49], 3
	s_mov_b32 s18, 0
	s_wait_alu 0xfffe
	v_add_co_u32 v4, vcc_lo, v4, s88
	s_wait_alu 0xfffd
	v_add_co_ci_u32_e64 v5, null, s89, v5, vcc_lo
	s_wait_loadcnt 0x0
	ds_store_b64 v136, v[6:7] offset:6336
	v_add_co_u32 v4, vcc_lo, v4, 8
	s_wait_alu 0xfffd
	v_add_co_ci_u32_e64 v5, null, 0, v5, vcc_lo
	s_delay_alu instid0(VALU_DEP_2) | instskip(NEXT) | instid1(VALU_DEP_2)
	v_cndmask_b32_e64 v14, v4, v2, s1
	v_cndmask_b32_e64 v15, v5, v3, s1
.LBB96_58:                              ;   in Loop: Header=BB96_4 Depth=1
	s_and_b32 vcc_lo, exec_lo, s18
	s_wait_alu 0xfffe
	s_cbranch_vccz .LBB96_60
; %bb.59:                               ;   in Loop: Header=BB96_4 Depth=1
	s_lshl_b64 s[88:89], s[42:43], 3
	v_dual_mov_b32 v15, v3 :: v_dual_mov_b32 v14, v2
	s_wait_alu 0xfffe
	v_add_co_u32 v4, vcc_lo, v0, s88
	s_wait_alu 0xfffd
	v_add_co_ci_u32_e64 v5, null, s89, v1, vcc_lo
	s_delay_alu instid0(VALU_DEP_2) | instskip(SKIP_1) | instid1(VALU_DEP_2)
	v_add_co_u32 v6, vcc_lo, v4, s50
	s_wait_alu 0xfffd
	v_add_co_ci_u32_e64 v7, null, s51, v5, vcc_lo
	s_delay_alu instid0(VALU_DEP_2) | instskip(SKIP_1) | instid1(VALU_DEP_2)
	v_add_co_u32 v8, vcc_lo, v6, s50
	s_wait_alu 0xfffd
	v_add_co_ci_u32_e64 v9, null, s51, v7, vcc_lo
	s_clause 0x3
	global_load_b64 v[0:1], v[0:1], off offset:-256
	global_load_b64 v[4:5], v[4:5], off offset:-256
	;; [unrolled: 1-line block ×4, first 2 shown]
	s_wait_loadcnt 0x3
	ds_store_b64 v136, v[0:1]
	s_wait_loadcnt 0x2
	ds_store_b64 v136, v[4:5] offset:2112
	s_wait_loadcnt 0x1
	ds_store_b64 v136, v[6:7] offset:4224
	;; [unrolled: 2-line block ×3, first 2 shown]
.LBB96_60:                              ;   in Loop: Header=BB96_4 Depth=1
	v_add_nc_u32_e32 v0, v102, v106
	v_add_nc_u32_e32 v2, v103, v106
	s_wait_loadcnt_dscnt 0x0
	s_barrier_signal -1
	s_barrier_wait -1
	global_inv scope:SCOPE_SE
	ds_load_b64 v[0:1], v0
	ds_load_b64 v[2:3], v2
	s_wait_dscnt 0x0
	v_fma_f64 v[8:9], v[0:1], v[2:3], 0
	ds_load_2addr_b64 v[0:3], v114 offset0:8 offset1:16
	ds_load_2addr_b64 v[4:7], v115 offset0:8 offset1:16
	s_wait_dscnt 0x0
	v_fma_f64 v[0:1], v[0:1], v[4:5], v[8:9]
	s_delay_alu instid0(VALU_DEP_1)
	v_fma_f64 v[0:1], v[2:3], v[6:7], v[0:1]
	ds_load_b64 v[2:3], v114 offset:192
	ds_load_b64 v[4:5], v115 offset:192
	ds_load_b64 v[18:19], v137
	ds_load_b64 v[16:17], v138 offset:528
	s_wait_dscnt 0x2
	v_fma_f64 v[20:21], v[2:3], v[4:5], v[0:1]
	ds_load_b128 v[8:11], v103 offset:256
	ds_load_b128 v[0:3], v103 offset:272
	ds_load_2addr_b64 v[4:7], v138 offset1:33
	s_wait_loadcnt_dscnt 0x0
	s_barrier_signal -1
	s_barrier_wait -1
	global_inv scope:SCOPE_SE
	ds_store_b64 v104, v[20:21]
	s_wait_loadcnt_dscnt 0x0
	s_barrier_signal -1
	s_barrier_wait -1
	global_inv scope:SCOPE_SE
	s_and_saveexec_b32 s18, s16
	s_cbranch_execz .LBB96_62
; %bb.61:                               ;   in Loop: Header=BB96_4 Depth=1
	ds_load_2addr_b64 v[20:23], v101 offset1:1
	ds_load_2addr_b64 v[24:27], v101 offset0:2 offset1:3
	s_wait_dscnt 0x1
	v_add_f64_e32 v[20:21], v[56:57], v[20:21]
	s_delay_alu instid0(VALU_DEP_1) | instskip(SKIP_1) | instid1(VALU_DEP_1)
	v_add_f64_e32 v[20:21], v[20:21], v[22:23]
	s_wait_dscnt 0x0
	v_add_f64_e32 v[20:21], v[20:21], v[24:25]
	s_delay_alu instid0(VALU_DEP_1) | instskip(SKIP_4) | instid1(VALU_DEP_1)
	v_add_f64_e32 v[28:29], v[20:21], v[26:27]
	ds_load_2addr_b64 v[20:23], v101 offset0:4 offset1:5
	ds_load_2addr_b64 v[24:27], v101 offset0:6 offset1:7
	s_wait_dscnt 0x1
	v_add_f64_e32 v[20:21], v[28:29], v[20:21]
	v_add_f64_e32 v[20:21], v[20:21], v[22:23]
	s_wait_dscnt 0x0
	s_delay_alu instid0(VALU_DEP_1) | instskip(NEXT) | instid1(VALU_DEP_1)
	v_add_f64_e32 v[20:21], v[20:21], v[24:25]
	v_add_f64_e32 v[56:57], v[20:21], v[26:27]
.LBB96_62:                              ;   in Loop: Header=BB96_4 Depth=1
	s_wait_alu 0xfffe
	s_or_b32 exec_lo, exec_lo, s18
	v_fma_f64 v[8:9], v[18:19], v[8:9], 0
	s_wait_loadcnt 0x0
	s_barrier_signal -1
	s_barrier_wait -1
	global_inv scope:SCOPE_SE
	v_fma_f64 v[4:5], v[4:5], v[10:11], v[8:9]
	s_delay_alu instid0(VALU_DEP_1) | instskip(NEXT) | instid1(VALU_DEP_1)
	v_fma_f64 v[0:1], v[6:7], v[0:1], v[4:5]
	v_fma_f64 v[0:1], v[16:17], v[2:3], v[0:1]
	ds_store_b64 v104, v[0:1]
	s_wait_loadcnt_dscnt 0x0
	s_barrier_signal -1
	s_barrier_wait -1
	global_inv scope:SCOPE_SE
	s_and_saveexec_b32 s18, s10
	s_cbranch_execz .LBB96_64
; %bb.63:                               ;   in Loop: Header=BB96_4 Depth=1
	ds_load_2addr_b64 v[0:3], v101 offset1:1
	ds_load_2addr_b64 v[4:7], v101 offset0:2 offset1:3
	s_wait_dscnt 0x1
	v_add_f64_e32 v[0:1], v[56:57], v[0:1]
	s_delay_alu instid0(VALU_DEP_1) | instskip(SKIP_1) | instid1(VALU_DEP_1)
	v_add_f64_e32 v[0:1], v[0:1], v[2:3]
	s_wait_dscnt 0x0
	v_add_f64_e32 v[0:1], v[0:1], v[4:5]
	s_delay_alu instid0(VALU_DEP_1) | instskip(SKIP_4) | instid1(VALU_DEP_1)
	v_add_f64_e32 v[8:9], v[0:1], v[6:7]
	ds_load_2addr_b64 v[0:3], v101 offset0:4 offset1:5
	ds_load_2addr_b64 v[4:7], v101 offset0:6 offset1:7
	s_wait_dscnt 0x1
	v_add_f64_e32 v[0:1], v[8:9], v[0:1]
	v_add_f64_e32 v[0:1], v[0:1], v[2:3]
	s_wait_dscnt 0x0
	s_delay_alu instid0(VALU_DEP_1) | instskip(NEXT) | instid1(VALU_DEP_1)
	v_add_f64_e32 v[0:1], v[0:1], v[4:5]
	v_add_f64_e32 v[56:57], v[0:1], v[6:7]
.LBB96_64:                              ;   in Loop: Header=BB96_4 Depth=1
	s_wait_alu 0xfffe
	s_or_b32 exec_lo, exec_lo, s18
	s_mul_u64 s[88:89], s[24:25], s[34:35]
	s_and_not1_b32 vcc_lo, exec_lo, s45
	s_wait_alu 0xfffe
	s_lshl_b64 s[88:89], s[88:89], 3
	s_wait_loadcnt 0x0
	s_wait_alu 0xfffe
	s_add_nc_u64 s[88:89], s[30:31], s[88:89]
	s_barrier_signal -1
	s_barrier_wait -1
	global_inv scope:SCOPE_SE
	s_cbranch_vccnz .LBB96_121
; %bb.65:                               ;   in Loop: Header=BB96_4 Depth=1
	v_add_co_u32 v141, vcc_lo, v12, s86
	s_wait_alu 0xfffd
	v_add_co_ci_u32_e64 v142, null, s87, v13, vcc_lo
	v_add_co_u32 v143, vcc_lo, v14, s54
	s_wait_alu 0xfffd
	v_add_co_ci_u32_e64 v144, null, s55, v15, vcc_lo
	v_add_co_u32 v145, vcc_lo, v14, s56
	s_wait_alu 0xfffd
	v_add_co_ci_u32_e64 v146, null, s57, v15, vcc_lo
	v_add_co_u32 v147, vcc_lo, v14, v121
	s_wait_alu 0xfffd
	v_add_co_ci_u32_e64 v148, null, v15, v122, vcc_lo
	v_add_co_u32 v149, vcc_lo, v14, s58
	s_wait_alu 0xfffd
	v_add_co_ci_u32_e64 v150, null, s59, v15, vcc_lo
	v_add_co_u32 v151, vcc_lo, v14, s60
	s_wait_alu 0xfffd
	v_add_co_ci_u32_e64 v152, null, s61, v15, vcc_lo
	v_add_co_u32 v153, vcc_lo, v14, s62
	s_wait_alu 0xfffd
	v_add_co_ci_u32_e64 v154, null, s63, v15, vcc_lo
	v_add_co_u32 v155, vcc_lo, v14, s66
	s_wait_alu 0xfffd
	v_add_co_ci_u32_e64 v156, null, s67, v15, vcc_lo
	v_add_co_u32 v157, vcc_lo, v14, s68
	s_wait_alu 0xfffd
	v_add_co_ci_u32_e64 v158, null, s69, v15, vcc_lo
	v_add_co_u32 v159, vcc_lo, v14, s70
	s_wait_alu 0xfffd
	v_add_co_ci_u32_e64 v160, null, s71, v15, vcc_lo
	v_add_co_u32 v161, vcc_lo, v14, s72
	s_wait_alu 0xfffd
	v_add_co_ci_u32_e64 v162, null, s73, v15, vcc_lo
	v_add_co_u32 v163, vcc_lo, v14, s76
	s_wait_alu 0xfffd
	v_add_co_ci_u32_e64 v164, null, s77, v15, vcc_lo
	v_add_co_u32 v165, vcc_lo, v14, v123
	s_wait_alu 0xfffd
	v_add_co_ci_u32_e64 v166, null, v15, v124, vcc_lo
	v_add_co_u32 v167, vcc_lo, v14, s74
	s_wait_alu 0xfffd
	v_add_co_ci_u32_e64 v168, null, s75, v15, vcc_lo
	v_add_co_u32 v169, vcc_lo, v14, s78
	s_wait_alu 0xfffd
	v_add_co_ci_u32_e64 v170, null, s79, v15, vcc_lo
	v_add_co_u32 v171, vcc_lo, v14, s80
	s_wait_alu 0xfffd
	v_add_co_ci_u32_e64 v172, null, s81, v15, vcc_lo
	v_add_co_u32 v173, vcc_lo, v14, s82
	s_wait_alu 0xfffd
	v_add_co_ci_u32_e64 v174, null, s83, v15, vcc_lo
	v_add_co_u32 v175, vcc_lo, v14, s84
	s_wait_alu 0xfffd
	v_add_co_ci_u32_e64 v176, null, s85, v15, vcc_lo
	v_add_co_u32 v177, vcc_lo, v14, v125
	s_wait_alu 0xfffd
	v_add_co_ci_u32_e64 v178, null, v15, v126, vcc_lo
	v_add_co_u32 v179, vcc_lo, v14, v49
	s_wait_alu 0xfffd
	v_add_co_ci_u32_e64 v180, null, v15, v50, vcc_lo
	v_add_co_u32 v181, vcc_lo, v14, v129
	s_wait_alu 0xfffd
	v_add_co_ci_u32_e64 v182, null, v15, v130, vcc_lo
	v_add_co_u32 v183, vcc_lo, v14, v131
	s_wait_alu 0xfffd
	v_add_co_ci_u32_e64 v184, null, v15, v132, vcc_lo
	v_add_co_u32 v185, vcc_lo, v14, v133
	s_wait_alu 0xfffd
	v_add_co_ci_u32_e64 v186, null, v15, v134, vcc_lo
	v_add_co_u32 v187, vcc_lo, v14, v127
	s_wait_alu 0xfffd
	v_add_co_ci_u32_e64 v188, null, v15, v128, vcc_lo
	v_add_co_u32 v189, vcc_lo, v14, v51
	s_wait_alu 0xfffd
	v_add_co_ci_u32_e64 v190, null, v15, v135, vcc_lo
	v_mov_b32_e32 v58, v116
	s_mov_b32 s98, ttmp9
	s_mov_b32 s90, s97
	s_wait_alu 0xfffe
	s_cmp_eq_u32 s94, s98
	s_cselect_b32 s99, s33, 0
	s_and_saveexec_b32 s18, s0
	s_cbranch_execz .LBB96_69
.LBB96_66:                              ;   in Loop: Header=BB96_4 Depth=1
	s_wait_alu 0xfffe
	v_cmp_gt_i32_e32 vcc_lo, s99, v48
	s_cmp_eq_u32 s99, 0
	v_mov_b32_e32 v0, 0
	v_mov_b32_e32 v1, 0
	s_cselect_b32 s91, -1, 0
	s_delay_alu instid0(SALU_CYCLE_1) | instskip(NEXT) | instid1(SALU_CYCLE_1)
	s_or_b32 s91, s91, vcc_lo
	s_and_saveexec_b32 s100, s91
	s_cbranch_execz .LBB96_68
; %bb.67:                               ;   in Loop: Header=BB96_4 Depth=1
	s_ashr_i32 s91, s90, 31
	s_delay_alu instid0(SALU_CYCLE_1)
	s_lshl_b64 s[102:103], s[90:91], 3
	s_wait_alu 0xfffe
	v_add_co_u32 v0, vcc_lo, v141, s102
	s_wait_alu 0xfffd
	v_add_co_ci_u32_e64 v1, null, s103, v142, vcc_lo
	global_load_b64 v[0:1], v[0:1], off
.LBB96_68:                              ;   in Loop: Header=BB96_4 Depth=1
	s_or_b32 exec_lo, exec_lo, s100
	v_add_nc_u32_e32 v2, 0x2180, v96
	s_wait_loadcnt 0x0
	ds_store_b64 v2, v[0:1]
.LBB96_69:                              ;   Parent Loop BB96_4 Depth=1
                                        ; =>  This Inner Loop Header: Depth=2
	s_wait_alu 0xfffe
	s_or_b32 exec_lo, exec_lo, s18
	s_cmp_eq_u32 s99, 0
	v_add_co_u32 v0, vcc_lo, v143, v119
	s_cselect_b32 s91, -1, 0
	s_cmp_lg_u32 s99, 0
	s_wait_alu 0xfffd
	v_add_co_ci_u32_e64 v1, null, v144, v120, vcc_lo
	s_cselect_b32 s18, -1, 0
	s_mov_b32 s100, -1
	s_wait_alu 0xfffe
	s_and_b32 vcc_lo, exec_lo, s18
	s_wait_loadcnt_dscnt 0x0
	s_barrier_signal -1
	s_barrier_wait -1
	global_inv scope:SCOPE_SE
                                        ; implicit-def: $vgpr66_vgpr67
                                        ; implicit-def: $vgpr64_vgpr65
                                        ; implicit-def: $vgpr62_vgpr63
                                        ; implicit-def: $vgpr60_vgpr61
	s_wait_alu 0xfffe
	s_cbranch_vccz .LBB96_79
; %bb.70:                               ;   in Loop: Header=BB96_69 Depth=2
	v_mov_b32_e32 v62, 0
	v_dual_mov_b32 v63, 0 :: v_dual_mov_b32 v60, 0
	v_mov_b32_e32 v61, 0
	s_mov_b32 s100, exec_lo
	v_cmpx_gt_i32_e64 s99, v105
	s_cbranch_execz .LBB96_72
; %bb.71:                               ;   in Loop: Header=BB96_69 Depth=2
	global_load_b64 v[60:61], v[0:1], off
.LBB96_72:                              ;   in Loop: Header=BB96_69 Depth=2
	s_or_b32 exec_lo, exec_lo, s100
	v_or_b32_e32 v2, 1, v105
	s_mov_b32 s100, exec_lo
	s_delay_alu instid0(VALU_DEP_1)
	v_cmpx_gt_i32_e64 s99, v2
	s_cbranch_execz .LBB96_74
; %bb.73:                               ;   in Loop: Header=BB96_69 Depth=2
	v_add_co_u32 v2, vcc_lo, v149, v119
	s_wait_alu 0xfffd
	v_add_co_ci_u32_e64 v3, null, v150, v120, vcc_lo
	global_load_b64 v[62:63], v[2:3], off
.LBB96_74:                              ;   in Loop: Header=BB96_69 Depth=2
	s_or_b32 exec_lo, exec_lo, s100
	v_mov_b32_e32 v66, 0
	v_dual_mov_b32 v67, 0 :: v_dual_mov_b32 v64, 0
	v_or_b32_e32 v2, 2, v105
	v_mov_b32_e32 v65, 0
	s_mov_b32 s100, exec_lo
	s_delay_alu instid0(VALU_DEP_2)
	v_cmpx_gt_i32_e64 s99, v2
	s_cbranch_execz .LBB96_76
; %bb.75:                               ;   in Loop: Header=BB96_69 Depth=2
	v_add_co_u32 v2, vcc_lo, v151, v119
	s_wait_alu 0xfffd
	v_add_co_ci_u32_e64 v3, null, v152, v120, vcc_lo
	global_load_b64 v[64:65], v[2:3], off
.LBB96_76:                              ;   in Loop: Header=BB96_69 Depth=2
	s_or_b32 exec_lo, exec_lo, s100
	v_or_b32_e32 v2, 3, v105
	s_mov_b32 s100, exec_lo
	s_delay_alu instid0(VALU_DEP_1)
	v_cmpx_gt_i32_e64 s99, v2
	s_cbranch_execz .LBB96_78
; %bb.77:                               ;   in Loop: Header=BB96_69 Depth=2
	v_add_co_u32 v2, vcc_lo, v153, v119
	s_wait_alu 0xfffd
	v_add_co_ci_u32_e64 v3, null, v154, v120, vcc_lo
	global_load_b64 v[66:67], v[2:3], off
.LBB96_78:                              ;   in Loop: Header=BB96_69 Depth=2
	s_or_b32 exec_lo, exec_lo, s100
	s_mov_b32 s100, 0
.LBB96_79:                              ;   in Loop: Header=BB96_69 Depth=2
	s_delay_alu instid0(SALU_CYCLE_1)
	s_and_b32 vcc_lo, exec_lo, s100
	s_wait_alu 0xfffe
	s_cbranch_vccz .LBB96_81
; %bb.80:                               ;   in Loop: Header=BB96_69 Depth=2
	v_add_co_u32 v2, vcc_lo, v149, v119
	s_wait_alu 0xfffd
	v_add_co_ci_u32_e64 v3, null, v150, v120, vcc_lo
	v_add_co_u32 v4, vcc_lo, v145, v119
	s_wait_alu 0xfffd
	v_add_co_ci_u32_e64 v5, null, v146, v120, vcc_lo
	;; [unrolled: 3-line block ×3, first 2 shown]
	s_wait_loadcnt 0x0
	global_load_b64 v[60:61], v[0:1], off
	global_load_b64 v[62:63], v[2:3], off
	;; [unrolled: 1-line block ×4, first 2 shown]
.LBB96_81:                              ;   in Loop: Header=BB96_69 Depth=2
	ds_load_b64 v[4:5], v97
	ds_load_b128 v[0:3], v107
	v_cndmask_b32_e64 v59, 0, 1, s18
                                        ; implicit-def: $vgpr74_vgpr75
                                        ; implicit-def: $vgpr72_vgpr73
                                        ; implicit-def: $vgpr70_vgpr71
                                        ; implicit-def: $vgpr68_vgpr69
	s_wait_loadcnt_dscnt 0x1
	v_mul_f64_e32 v[8:9], v[60:61], v[4:5]
	v_mul_f64_e32 v[10:11], v[62:63], v[4:5]
	;; [unrolled: 1-line block ×4, first 2 shown]
	ds_load_b128 v[4:7], v107 offset:16
	ds_store_2addr_b64 v108, v[8:9], v[10:11] offset1:67
	ds_store_2addr_b64 v108, v[12:13], v[14:15] offset0:134 offset1:201
	s_wait_dscnt 0x0
	s_barrier_signal -1
	s_barrier_wait -1
	global_inv scope:SCOPE_SE
	ds_load_2addr_b64 v[20:23], v109 offset1:1
	ds_load_2addr_b64 v[16:19], v109 offset0:2 offset1:3
	v_add_co_u32 v8, vcc_lo, v155, v119
	s_wait_alu 0xfffd
	v_add_co_ci_u32_e64 v9, null, v156, v120, vcc_lo
	s_and_not1_b32 vcc_lo, exec_lo, s18
	s_mov_b32 s18, -1
	s_wait_loadcnt_dscnt 0x0
	s_barrier_signal -1
	s_barrier_wait -1
	global_inv scope:SCOPE_SE
	s_wait_alu 0xfffe
	s_cbranch_vccnz .LBB96_91
; %bb.82:                               ;   in Loop: Header=BB96_69 Depth=2
	v_mov_b32_e32 v70, 0
	v_mov_b32_e32 v68, 0
	v_dual_mov_b32 v71, 0 :: v_dual_add_nc_u32 v10, 16, v105
	v_mov_b32_e32 v69, 0
	s_mov_b32 s18, exec_lo
	s_delay_alu instid0(VALU_DEP_2)
	v_cmpx_gt_i32_e64 s99, v10
	s_cbranch_execz .LBB96_84
; %bb.83:                               ;   in Loop: Header=BB96_69 Depth=2
	global_load_b64 v[68:69], v[8:9], off
.LBB96_84:                              ;   in Loop: Header=BB96_69 Depth=2
	s_wait_alu 0xfffe
	s_or_b32 exec_lo, exec_lo, s18
	v_add_nc_u32_e32 v10, 17, v105
	s_mov_b32 s18, exec_lo
	s_delay_alu instid0(VALU_DEP_1)
	v_cmpx_gt_i32_e64 s99, v10
	s_cbranch_execz .LBB96_86
; %bb.85:                               ;   in Loop: Header=BB96_69 Depth=2
	v_add_co_u32 v10, vcc_lo, v157, v119
	s_wait_alu 0xfffd
	v_add_co_ci_u32_e64 v11, null, v158, v120, vcc_lo
	global_load_b64 v[70:71], v[10:11], off
.LBB96_86:                              ;   in Loop: Header=BB96_69 Depth=2
	s_wait_alu 0xfffe
	s_or_b32 exec_lo, exec_lo, s18
	v_mov_b32_e32 v74, 0
	v_mov_b32_e32 v72, 0
	v_dual_mov_b32 v75, 0 :: v_dual_add_nc_u32 v10, 18, v105
	v_mov_b32_e32 v73, 0
	s_mov_b32 s18, exec_lo
	s_delay_alu instid0(VALU_DEP_2)
	v_cmpx_gt_i32_e64 s99, v10
	s_cbranch_execz .LBB96_88
; %bb.87:                               ;   in Loop: Header=BB96_69 Depth=2
	v_add_co_u32 v10, vcc_lo, v159, v119
	s_wait_alu 0xfffd
	v_add_co_ci_u32_e64 v11, null, v160, v120, vcc_lo
	global_load_b64 v[72:73], v[10:11], off
.LBB96_88:                              ;   in Loop: Header=BB96_69 Depth=2
	s_wait_alu 0xfffe
	s_or_b32 exec_lo, exec_lo, s18
	v_add_nc_u32_e32 v10, 19, v105
	s_mov_b32 s18, exec_lo
	s_delay_alu instid0(VALU_DEP_1)
	v_cmpx_gt_i32_e64 s99, v10
	s_cbranch_execz .LBB96_90
; %bb.89:                               ;   in Loop: Header=BB96_69 Depth=2
	v_add_co_u32 v10, vcc_lo, v161, v119
	s_wait_alu 0xfffd
	v_add_co_ci_u32_e64 v11, null, v162, v120, vcc_lo
	global_load_b64 v[74:75], v[10:11], off
.LBB96_90:                              ;   in Loop: Header=BB96_69 Depth=2
	s_wait_alu 0xfffe
	s_or_b32 exec_lo, exec_lo, s18
	s_mov_b32 s18, 0
.LBB96_91:                              ;   in Loop: Header=BB96_69 Depth=2
	s_wait_alu 0xfffe
	s_and_b32 vcc_lo, exec_lo, s18
	s_wait_alu 0xfffe
	s_cbranch_vccz .LBB96_93
; %bb.92:                               ;   in Loop: Header=BB96_69 Depth=2
	v_add_co_u32 v10, vcc_lo, v157, v119
	s_wait_alu 0xfffd
	v_add_co_ci_u32_e64 v11, null, v158, v120, vcc_lo
	v_add_co_u32 v12, vcc_lo, v163, v119
	s_wait_alu 0xfffd
	v_add_co_ci_u32_e64 v13, null, v164, v120, vcc_lo
	;; [unrolled: 3-line block ×3, first 2 shown]
	s_wait_loadcnt 0x0
	global_load_b64 v[68:69], v[8:9], off
	global_load_b64 v[70:71], v[10:11], off
	;; [unrolled: 1-line block ×4, first 2 shown]
.LBB96_93:                              ;   in Loop: Header=BB96_69 Depth=2
	ds_load_b64 v[12:13], v97
	ds_load_b128 v[8:11], v107 offset:128
	v_cmp_ne_u32_e32 vcc_lo, 1, v59
                                        ; implicit-def: $vgpr82_vgpr83
                                        ; implicit-def: $vgpr80_vgpr81
                                        ; implicit-def: $vgpr78_vgpr79
                                        ; implicit-def: $vgpr76_vgpr77
	s_and_b32 vcc_lo, exec_lo, vcc_lo
	s_wait_loadcnt_dscnt 0x1
	v_mul_f64_e32 v[24:25], v[68:69], v[12:13]
	v_mul_f64_e32 v[26:27], v[70:71], v[12:13]
	;; [unrolled: 1-line block ×4, first 2 shown]
	ds_load_b128 v[12:15], v107 offset:144
	ds_store_2addr_b64 v108, v[24:25], v[26:27] offset1:67
	ds_store_2addr_b64 v108, v[28:29], v[30:31] offset0:134 offset1:201
	s_wait_dscnt 0x0
	s_barrier_signal -1
	s_barrier_wait -1
	global_inv scope:SCOPE_SE
	ds_load_2addr_b64 v[36:39], v109 offset1:1
	ds_load_2addr_b64 v[32:35], v109 offset0:2 offset1:3
	v_add_co_u32 v24, s18, v167, v119
	s_wait_alu 0xf1ff
	v_add_co_ci_u32_e64 v25, null, v168, v120, s18
	s_mov_b32 s18, -1
	s_wait_loadcnt_dscnt 0x0
	s_barrier_signal -1
	s_barrier_wait -1
	global_inv scope:SCOPE_SE
	s_wait_alu 0xfffe
	s_cbranch_vccnz .LBB96_103
; %bb.94:                               ;   in Loop: Header=BB96_69 Depth=2
	v_mov_b32_e32 v78, 0
	v_mov_b32_e32 v76, 0
	v_dual_mov_b32 v79, 0 :: v_dual_add_nc_u32 v26, 32, v105
	v_mov_b32_e32 v77, 0
	s_mov_b32 s18, exec_lo
	s_delay_alu instid0(VALU_DEP_2)
	v_cmpx_gt_i32_e64 s99, v26
	s_cbranch_execz .LBB96_96
; %bb.95:                               ;   in Loop: Header=BB96_69 Depth=2
	global_load_b64 v[76:77], v[24:25], off
.LBB96_96:                              ;   in Loop: Header=BB96_69 Depth=2
	s_wait_alu 0xfffe
	s_or_b32 exec_lo, exec_lo, s18
	v_add_nc_u32_e32 v26, 33, v105
	s_mov_b32 s18, exec_lo
	s_delay_alu instid0(VALU_DEP_1)
	v_cmpx_gt_i32_e64 s99, v26
	s_cbranch_execz .LBB96_98
; %bb.97:                               ;   in Loop: Header=BB96_69 Depth=2
	v_add_co_u32 v26, vcc_lo, v169, v119
	s_wait_alu 0xfffd
	v_add_co_ci_u32_e64 v27, null, v170, v120, vcc_lo
	global_load_b64 v[78:79], v[26:27], off
.LBB96_98:                              ;   in Loop: Header=BB96_69 Depth=2
	s_wait_alu 0xfffe
	s_or_b32 exec_lo, exec_lo, s18
	v_mov_b32_e32 v82, 0
	v_mov_b32_e32 v80, 0
	v_dual_mov_b32 v83, 0 :: v_dual_add_nc_u32 v26, 34, v105
	v_mov_b32_e32 v81, 0
	s_mov_b32 s18, exec_lo
	s_delay_alu instid0(VALU_DEP_2)
	v_cmpx_gt_i32_e64 s99, v26
	s_cbranch_execz .LBB96_100
; %bb.99:                               ;   in Loop: Header=BB96_69 Depth=2
	v_add_co_u32 v26, vcc_lo, v171, v119
	s_wait_alu 0xfffd
	v_add_co_ci_u32_e64 v27, null, v172, v120, vcc_lo
	global_load_b64 v[80:81], v[26:27], off
.LBB96_100:                             ;   in Loop: Header=BB96_69 Depth=2
	s_wait_alu 0xfffe
	s_or_b32 exec_lo, exec_lo, s18
	v_add_nc_u32_e32 v26, 35, v105
	s_mov_b32 s18, exec_lo
	s_delay_alu instid0(VALU_DEP_1)
	v_cmpx_gt_i32_e64 s99, v26
	s_cbranch_execz .LBB96_102
; %bb.101:                              ;   in Loop: Header=BB96_69 Depth=2
	v_add_co_u32 v26, vcc_lo, v173, v119
	s_wait_alu 0xfffd
	v_add_co_ci_u32_e64 v27, null, v174, v120, vcc_lo
	global_load_b64 v[82:83], v[26:27], off
.LBB96_102:                             ;   in Loop: Header=BB96_69 Depth=2
	s_wait_alu 0xfffe
	s_or_b32 exec_lo, exec_lo, s18
	s_mov_b32 s18, 0
.LBB96_103:                             ;   in Loop: Header=BB96_69 Depth=2
	s_wait_alu 0xfffe
	s_and_b32 vcc_lo, exec_lo, s18
	s_wait_alu 0xfffe
	s_cbranch_vccz .LBB96_105
; %bb.104:                              ;   in Loop: Header=BB96_69 Depth=2
	v_add_co_u32 v26, vcc_lo, v169, v119
	s_wait_alu 0xfffd
	v_add_co_ci_u32_e64 v27, null, v170, v120, vcc_lo
	v_add_co_u32 v28, vcc_lo, v175, v119
	s_wait_alu 0xfffd
	v_add_co_ci_u32_e64 v29, null, v176, v120, vcc_lo
	;; [unrolled: 3-line block ×3, first 2 shown]
	s_wait_loadcnt 0x0
	global_load_b64 v[76:77], v[24:25], off
	global_load_b64 v[78:79], v[26:27], off
	;; [unrolled: 1-line block ×4, first 2 shown]
.LBB96_105:                             ;   in Loop: Header=BB96_69 Depth=2
	ds_load_b64 v[28:29], v97
	ds_load_b128 v[24:27], v107 offset:256
	v_cmp_ne_u32_e32 vcc_lo, 1, v59
	v_add_co_u32 v92, s18, v179, v117
	s_wait_alu 0xf1ff
	v_add_co_ci_u32_e64 v93, null, v180, v118, s18
	s_and_b32 vcc_lo, exec_lo, vcc_lo
	s_mov_b32 s18, -1
                                        ; implicit-def: $vgpr84_vgpr85
                                        ; implicit-def: $vgpr90_vgpr91
                                        ; implicit-def: $vgpr88_vgpr89
                                        ; implicit-def: $vgpr86_vgpr87
	s_wait_loadcnt_dscnt 0x1
	v_mul_f64_e32 v[40:41], v[76:77], v[28:29]
	v_mul_f64_e32 v[42:43], v[78:79], v[28:29]
	;; [unrolled: 1-line block ×4, first 2 shown]
	ds_load_b128 v[28:31], v107 offset:272
	ds_store_2addr_b64 v108, v[40:41], v[42:43] offset1:67
	ds_store_2addr_b64 v108, v[44:45], v[46:47] offset0:134 offset1:201
	s_wait_dscnt 0x0
	s_barrier_signal -1
	s_barrier_wait -1
	global_inv scope:SCOPE_SE
	ds_load_2addr_b64 v[44:47], v109 offset1:1
	ds_load_2addr_b64 v[40:43], v109 offset0:2 offset1:3
	s_wait_loadcnt_dscnt 0x0
	s_barrier_signal -1
	s_barrier_wait -1
	global_inv scope:SCOPE_SE
	s_wait_alu 0xfffe
	s_cbranch_vccnz .LBB96_115
; %bb.106:                              ;   in Loop: Header=BB96_69 Depth=2
	v_dual_mov_b32 v88, 0 :: v_dual_add_nc_u32 v59, 48, v105
	v_dual_mov_b32 v89, 0 :: v_dual_mov_b32 v86, 0
	v_mov_b32_e32 v87, 0
	s_mov_b32 s18, exec_lo
	s_delay_alu instid0(VALU_DEP_3)
	v_cmpx_gt_i32_e64 s99, v59
	s_cbranch_execz .LBB96_108
; %bb.107:                              ;   in Loop: Header=BB96_69 Depth=2
	global_load_b64 v[86:87], v[92:93], off
.LBB96_108:                             ;   in Loop: Header=BB96_69 Depth=2
	s_wait_alu 0xfffe
	s_or_b32 exec_lo, exec_lo, s18
	v_add_nc_u32_e32 v59, 49, v105
	s_mov_b32 s18, exec_lo
	s_delay_alu instid0(VALU_DEP_1)
	v_cmpx_gt_i32_e64 s99, v59
	s_cbranch_execz .LBB96_110
; %bb.109:                              ;   in Loop: Header=BB96_69 Depth=2
	v_add_co_u32 v84, vcc_lo, v181, v117
	s_wait_alu 0xfffd
	v_add_co_ci_u32_e64 v85, null, v182, v118, vcc_lo
	global_load_b64 v[88:89], v[84:85], off
.LBB96_110:                             ;   in Loop: Header=BB96_69 Depth=2
	s_wait_alu 0xfffe
	s_or_b32 exec_lo, exec_lo, s18
	v_dual_mov_b32 v84, 0 :: v_dual_add_nc_u32 v59, 50, v105
	v_dual_mov_b32 v85, 0 :: v_dual_mov_b32 v90, 0
	v_mov_b32_e32 v91, 0
	s_mov_b32 s18, exec_lo
	s_delay_alu instid0(VALU_DEP_3)
	v_cmpx_gt_i32_e64 s99, v59
	s_cbranch_execz .LBB96_112
; %bb.111:                              ;   in Loop: Header=BB96_69 Depth=2
	v_add_co_u32 v90, vcc_lo, v183, v117
	s_wait_alu 0xfffd
	v_add_co_ci_u32_e64 v91, null, v184, v118, vcc_lo
	global_load_b64 v[90:91], v[90:91], off
.LBB96_112:                             ;   in Loop: Header=BB96_69 Depth=2
	s_wait_alu 0xfffe
	s_or_b32 exec_lo, exec_lo, s18
	s_delay_alu instid0(SALU_CYCLE_1)
	s_mov_b32 s18, exec_lo
	v_cmpx_gt_i32_e64 s99, v112
	s_cbranch_execz .LBB96_114
; %bb.113:                              ;   in Loop: Header=BB96_69 Depth=2
	v_add_co_u32 v84, vcc_lo, v185, v117
	s_wait_alu 0xfffd
	v_add_co_ci_u32_e64 v85, null, v186, v118, vcc_lo
	global_load_b64 v[84:85], v[84:85], off
.LBB96_114:                             ;   in Loop: Header=BB96_69 Depth=2
	s_wait_alu 0xfffe
	s_or_b32 exec_lo, exec_lo, s18
	s_mov_b32 s18, 0
.LBB96_115:                             ;   in Loop: Header=BB96_69 Depth=2
	s_wait_alu 0xfffe
	s_and_b32 vcc_lo, exec_lo, s18
	s_wait_alu 0xfffe
	s_cbranch_vccz .LBB96_117
; %bb.116:                              ;   in Loop: Header=BB96_69 Depth=2
	s_wait_loadcnt 0x0
	v_add_co_u32 v84, vcc_lo, v181, v117
	s_wait_alu 0xfffd
	v_add_co_ci_u32_e64 v85, null, v182, v118, vcc_lo
	v_add_co_u32 v90, vcc_lo, v187, v117
	s_wait_alu 0xfffd
	v_add_co_ci_u32_e64 v91, null, v188, v118, vcc_lo
	;; [unrolled: 3-line block ×3, first 2 shown]
	global_load_b64 v[86:87], v[92:93], off
	global_load_b64 v[88:89], v[84:85], off
	;; [unrolled: 1-line block ×4, first 2 shown]
.LBB96_117:                             ;   in Loop: Header=BB96_69 Depth=2
	v_add_f64_e32 v[36:37], 0, v[36:37]
	v_add_f64_e32 v[20:21], 0, v[20:21]
	v_add_f64_e32 v[44:45], 0, v[44:45]
	v_cmp_gt_i32_e32 vcc_lo, s99, v48
	s_or_b32 s18, s91, vcc_lo
	s_wait_alu 0xfffe
	s_and_b32 s91, s17, s18
	s_delay_alu instid0(VALU_DEP_4) | instskip(NEXT) | instid1(VALU_DEP_4)
	v_add_f64_e32 v[36:37], v[36:37], v[38:39]
	v_add_f64_e32 v[20:21], v[20:21], v[22:23]
	s_delay_alu instid0(VALU_DEP_4) | instskip(NEXT) | instid1(VALU_DEP_3)
	v_add_f64_e32 v[44:45], v[44:45], v[46:47]
	v_add_f64_e32 v[32:33], v[36:37], v[32:33]
	s_delay_alu instid0(VALU_DEP_3) | instskip(NEXT) | instid1(VALU_DEP_3)
	v_add_f64_e32 v[16:17], v[20:21], v[16:17]
	v_add_f64_e32 v[40:41], v[44:45], v[40:41]
	s_delay_alu instid0(VALU_DEP_3) | instskip(NEXT) | instid1(VALU_DEP_3)
	v_add_f64_e32 v[36:37], v[32:33], v[34:35]
	v_add_f64_e32 v[38:39], v[16:17], v[18:19]
	ds_load_b64 v[32:33], v97
	ds_load_b128 v[20:23], v107 offset:384
	ds_load_b128 v[16:19], v107 offset:400
	v_add_f64_e32 v[40:41], v[40:41], v[42:43]
	s_wait_loadcnt_dscnt 0x2
	v_mul_f64_e32 v[34:35], v[86:87], v[32:33]
	v_mul_f64_e32 v[42:43], v[88:89], v[32:33]
	ds_store_2addr_b64 v108, v[34:35], v[42:43] offset1:67
	v_mul_f64_e32 v[34:35], v[90:91], v[32:33]
	v_mul_f64_e32 v[32:33], v[84:85], v[32:33]
	ds_store_2addr_b64 v108, v[34:35], v[32:33] offset0:134 offset1:201
	s_wait_dscnt 0x0
	s_barrier_signal -1
	s_barrier_wait -1
	global_inv scope:SCOPE_SE
	ds_load_2addr_b64 v[32:35], v109 offset1:1
	s_wait_dscnt 0x0
	v_add_f64_e32 v[32:33], 0, v[32:33]
	s_delay_alu instid0(VALU_DEP_1)
	v_add_f64_e32 v[42:43], v[32:33], v[34:35]
	ds_load_2addr_b64 v[32:35], v109 offset0:2 offset1:3
	s_wait_loadcnt_dscnt 0x0
	s_barrier_signal -1
	s_barrier_wait -1
	global_inv scope:SCOPE_SE
	v_add_f64_e32 v[32:33], v[42:43], v[32:33]
	s_delay_alu instid0(VALU_DEP_1)
	v_add_f64_e32 v[32:33], v[32:33], v[34:35]
	ds_store_2addr_b64 v139, v[38:39], v[36:37] offset1:16
	ds_store_2addr_b64 v139, v[40:41], v[32:33] offset0:32 offset1:48
	s_wait_loadcnt_dscnt 0x0
	s_barrier_signal -1
	s_barrier_wait -1
	global_inv scope:SCOPE_SE
	s_and_saveexec_b32 s18, s91
	s_cbranch_execz .LBB96_119
; %bb.118:                              ;   in Loop: Header=BB96_69 Depth=2
	ds_load_2addr_b64 v[32:35], v110 offset1:1
	ds_load_2addr_b64 v[36:39], v110 offset0:2 offset1:3
	v_ashrrev_i32_e32 v59, 31, v58
	s_wait_dscnt 0x1
	v_add_f64_e32 v[32:33], v[32:33], v[34:35]
	s_wait_dscnt 0x0
	s_delay_alu instid0(VALU_DEP_1) | instskip(NEXT) | instid1(VALU_DEP_1)
	v_add_f64_e32 v[32:33], v[32:33], v[36:37]
	v_add_f64_e32 v[40:41], v[32:33], v[38:39]
	ds_load_2addr_b64 v[32:35], v110 offset0:4 offset1:5
	ds_load_2addr_b64 v[36:39], v110 offset0:6 offset1:7
	s_wait_dscnt 0x1
	v_add_f64_e32 v[32:33], v[40:41], v[32:33]
	s_delay_alu instid0(VALU_DEP_1) | instskip(SKIP_1) | instid1(VALU_DEP_1)
	v_add_f64_e32 v[32:33], v[32:33], v[34:35]
	s_wait_dscnt 0x0
	v_add_f64_e32 v[32:33], v[32:33], v[36:37]
	s_delay_alu instid0(VALU_DEP_1) | instskip(SKIP_4) | instid1(VALU_DEP_1)
	v_add_f64_e32 v[40:41], v[32:33], v[38:39]
	ds_load_2addr_b64 v[32:35], v110 offset0:8 offset1:9
	ds_load_2addr_b64 v[36:39], v110 offset0:10 offset1:11
	s_wait_dscnt 0x1
	v_add_f64_e32 v[32:33], v[40:41], v[32:33]
	v_add_f64_e32 v[32:33], v[32:33], v[34:35]
	s_wait_dscnt 0x0
	s_delay_alu instid0(VALU_DEP_1) | instskip(NEXT) | instid1(VALU_DEP_1)
	v_add_f64_e32 v[32:33], v[32:33], v[36:37]
	v_add_f64_e32 v[36:37], v[32:33], v[38:39]
	ds_load_2addr_b64 v[32:35], v110 offset0:12 offset1:13
	ds_load_b64 v[38:39], v110 offset:112
	s_wait_dscnt 0x1
	v_add_f64_e32 v[32:33], v[36:37], v[32:33]
	s_delay_alu instid0(VALU_DEP_1) | instskip(SKIP_4) | instid1(VALU_DEP_1)
	v_add_f64_e32 v[32:33], v[32:33], v[34:35]
	ds_load_b64 v[34:35], v111
	s_wait_dscnt 0x1
	v_add_f64_e32 v[32:33], v[32:33], v[38:39]
	s_wait_dscnt 0x0
	v_add_f64_e32 v[32:33], v[32:33], v[34:35]
	v_lshlrev_b64_e32 v[34:35], 3, v[58:59]
	s_delay_alu instid0(VALU_DEP_1) | instskip(SKIP_1) | instid1(VALU_DEP_2)
	v_add_co_u32 v34, vcc_lo, s88, v34
	s_wait_alu 0xfffd
	v_add_co_ci_u32_e64 v35, null, s89, v35, vcc_lo
	global_store_b64 v[34:35], v[32:33], off
.LBB96_119:                             ;   in Loop: Header=BB96_69 Depth=2
	s_wait_alu 0xfffe
	s_or_b32 exec_lo, exec_lo, s18
	v_fma_f64 v[0:1], v[60:61], v[0:1], v[56:57]
	v_add_co_u32 v143, vcc_lo, v143, s52
	s_wait_alu 0xfffd
	v_add_co_ci_u32_e64 v144, null, s53, v144, vcc_lo
	v_add_co_u32 v145, vcc_lo, v145, s52
	s_wait_alu 0xfffd
	v_add_co_ci_u32_e64 v146, null, s53, v146, vcc_lo
	;; [unrolled: 3-line block ×9, first 2 shown]
	v_add_co_u32 v161, vcc_lo, v161, s52
	v_fma_f64 v[0:1], v[62:63], v[2:3], v[0:1]
	s_wait_alu 0xfffd
	v_add_co_ci_u32_e64 v162, null, s53, v162, vcc_lo
	v_add_co_u32 v163, vcc_lo, v163, s52
	s_wait_alu 0xfffd
	v_add_co_ci_u32_e64 v164, null, s53, v164, vcc_lo
	v_add_co_u32 v165, vcc_lo, v165, s52
	;; [unrolled: 3-line block ×9, first 2 shown]
	s_wait_alu 0xfffd
	v_add_co_ci_u32_e64 v180, null, s53, v180, vcc_lo
	v_fma_f64 v[0:1], v[64:65], v[4:5], v[0:1]
	v_add_co_u32 v181, vcc_lo, v181, s52
	s_wait_alu 0xfffd
	v_add_co_ci_u32_e64 v182, null, s53, v182, vcc_lo
	v_add_co_u32 v183, vcc_lo, v183, s52
	s_wait_alu 0xfffd
	v_add_co_ci_u32_e64 v184, null, s53, v184, vcc_lo
	;; [unrolled: 3-line block ×4, first 2 shown]
	v_add_co_u32 v189, vcc_lo, v189, s52
	v_add_nc_u32_e32 v58, 64, v58
	s_wait_alu 0xfffd
	v_add_co_ci_u32_e64 v190, null, s53, v190, vcc_lo
	s_add_co_i32 s91, s98, 2
	s_add_co_i32 s18, s98, 1
	;; [unrolled: 1-line block ×3, first 2 shown]
	s_cmp_ge_u32 s91, s44
	s_wait_loadcnt 0x0
	s_wait_storecnt 0x0
	s_barrier_signal -1
	s_barrier_wait -1
	global_inv scope:SCOPE_SE
	v_fma_f64 v[0:1], v[66:67], v[6:7], v[0:1]
	s_delay_alu instid0(VALU_DEP_1) | instskip(NEXT) | instid1(VALU_DEP_1)
	v_fma_f64 v[0:1], v[68:69], v[8:9], v[0:1]
	v_fma_f64 v[0:1], v[70:71], v[10:11], v[0:1]
	s_delay_alu instid0(VALU_DEP_1) | instskip(NEXT) | instid1(VALU_DEP_1)
	v_fma_f64 v[0:1], v[72:73], v[12:13], v[0:1]
	;; [unrolled: 3-line block ×6, first 2 shown]
	v_fma_f64 v[56:57], v[84:85], v[18:19], v[0:1]
	s_cbranch_scc1 .LBB96_121
; %bb.120:                              ;   in Loop: Header=BB96_69 Depth=2
	s_wait_alu 0xfffe
	s_mov_b32 s98, s18
	s_wait_alu 0xfffe
	s_cmp_eq_u32 s94, s98
	s_cselect_b32 s99, s33, 0
	s_and_saveexec_b32 s18, s0
	s_cbranch_execnz .LBB96_66
	s_branch .LBB96_69
.LBB96_121:                             ;   in Loop: Header=BB96_4 Depth=1
	ds_store_b64 v113, v[56:57]
	s_wait_loadcnt_dscnt 0x0
	s_barrier_signal -1
	s_barrier_wait -1
	global_inv scope:SCOPE_SE
	s_and_saveexec_b32 s18, s96
	s_cbranch_execz .LBB96_2
; %bb.122:                              ;   in Loop: Header=BB96_4 Depth=1
	ds_load_2addr_b64 v[0:3], v96 offset1:67
	s_wait_dscnt 0x0
	v_add_f64_e32 v[4:5], v[0:1], v[2:3]
	ds_load_2addr_b64 v[0:3], v96 offset0:134 offset1:201
	s_wait_dscnt 0x0
	v_add_f64_e32 v[0:1], v[4:5], v[0:1]
	s_delay_alu instid0(VALU_DEP_1)
	v_add_f64_e32 v[0:1], v[0:1], v[2:3]
	s_wait_alu 0xfffe
	v_add_co_u32 v2, vcc_lo, s88, v54
	s_wait_alu 0xfffd
	v_add_co_ci_u32_e64 v3, null, s89, v55, vcc_lo
	global_store_b64 v[2:3], v[0:1], off
	s_branch .LBB96_2
.LBB96_123:                             ;   in Loop: Header=BB96_4 Depth=1
	ds_load_b64 v[2:3], v137
	s_wait_dscnt 0x0
	ds_store_b64 v102, v[2:3]
	s_wait_alu 0xfffe
	s_or_b32 exec_lo, exec_lo, s18
	s_and_saveexec_b32 s18, s7
	s_cbranch_execz .LBB96_24
.LBB96_124:                             ;   in Loop: Header=BB96_4 Depth=1
	ds_load_b64 v[2:3], v138
	s_wait_dscnt 0x0
	ds_store_b64 v102, v[2:3] offset:8
	s_wait_alu 0xfffe
	s_or_b32 exec_lo, exec_lo, s18
	s_and_saveexec_b32 s18, s8
	s_cbranch_execz .LBB96_25
.LBB96_125:                             ;   in Loop: Header=BB96_4 Depth=1
	ds_load_b64 v[2:3], v138 offset:264
	s_wait_dscnt 0x0
	ds_store_b64 v102, v[2:3] offset:16
	s_wait_alu 0xfffe
	s_or_b32 exec_lo, exec_lo, s18
	s_and_saveexec_b32 s18, s9
	s_cbranch_execnz .LBB96_26
	s_branch .LBB96_27
.LBB96_126:                             ;   in Loop: Header=BB96_4 Depth=1
	ds_load_b64 v[2:3], v137
	s_wait_dscnt 0x0
	ds_store_b64 v102, v[2:3]
	s_wait_alu 0xfffe
	s_or_b32 exec_lo, exec_lo, s18
	s_and_saveexec_b32 s18, s7
	s_cbranch_execz .LBB96_43
.LBB96_127:                             ;   in Loop: Header=BB96_4 Depth=1
	ds_load_b64 v[2:3], v138
	s_wait_dscnt 0x0
	ds_store_b64 v102, v[2:3] offset:8
	s_wait_alu 0xfffe
	s_or_b32 exec_lo, exec_lo, s18
	s_and_saveexec_b32 s18, s8
	s_cbranch_execz .LBB96_44
.LBB96_128:                             ;   in Loop: Header=BB96_4 Depth=1
	ds_load_b64 v[2:3], v138 offset:264
	s_wait_dscnt 0x0
	ds_store_b64 v102, v[2:3] offset:16
	s_wait_alu 0xfffe
	s_or_b32 exec_lo, exec_lo, s18
	s_and_saveexec_b32 s18, s9
	s_cbranch_execnz .LBB96_45
	s_branch .LBB96_46
.LBB96_129:
	s_nop 0
	s_sendmsg sendmsg(MSG_DEALLOC_VGPRS)
	s_endpgm
	.section	.rodata,"a",@progbits
	.p2align	6, 0x0
	.amdhsa_kernel _ZL26rocblas_hemvn_kernel_upperILb0ELi64ELi4ELi33ELi32ELi16EiPKdS1_PdEviT6_lT7_lT5_lS4_lS5_lS3_lT8_i
		.amdhsa_group_segment_fixed_size 9600
		.amdhsa_private_segment_fixed_size 0
		.amdhsa_kernarg_size 376
		.amdhsa_user_sgpr_count 2
		.amdhsa_user_sgpr_dispatch_ptr 0
		.amdhsa_user_sgpr_queue_ptr 0
		.amdhsa_user_sgpr_kernarg_segment_ptr 1
		.amdhsa_user_sgpr_dispatch_id 0
		.amdhsa_user_sgpr_private_segment_size 0
		.amdhsa_wavefront_size32 1
		.amdhsa_uses_dynamic_stack 0
		.amdhsa_enable_private_segment 0
		.amdhsa_system_sgpr_workgroup_id_x 1
		.amdhsa_system_sgpr_workgroup_id_y 0
		.amdhsa_system_sgpr_workgroup_id_z 1
		.amdhsa_system_sgpr_workgroup_info 0
		.amdhsa_system_vgpr_workitem_id 1
		.amdhsa_next_free_vgpr 193
		.amdhsa_next_free_sgpr 104
		.amdhsa_reserve_vcc 1
		.amdhsa_float_round_mode_32 0
		.amdhsa_float_round_mode_16_64 0
		.amdhsa_float_denorm_mode_32 3
		.amdhsa_float_denorm_mode_16_64 3
		.amdhsa_fp16_overflow 0
		.amdhsa_workgroup_processor_mode 1
		.amdhsa_memory_ordered 1
		.amdhsa_forward_progress 1
		.amdhsa_inst_pref_size 75
		.amdhsa_round_robin_scheduling 0
		.amdhsa_exception_fp_ieee_invalid_op 0
		.amdhsa_exception_fp_denorm_src 0
		.amdhsa_exception_fp_ieee_div_zero 0
		.amdhsa_exception_fp_ieee_overflow 0
		.amdhsa_exception_fp_ieee_underflow 0
		.amdhsa_exception_fp_ieee_inexact 0
		.amdhsa_exception_int_div_zero 0
	.end_amdhsa_kernel
	.section	.text._ZL26rocblas_hemvn_kernel_upperILb0ELi64ELi4ELi33ELi32ELi16EiPKdS1_PdEviT6_lT7_lT5_lS4_lS5_lS3_lT8_i,"axG",@progbits,_ZL26rocblas_hemvn_kernel_upperILb0ELi64ELi4ELi33ELi32ELi16EiPKdS1_PdEviT6_lT7_lT5_lS4_lS5_lS3_lT8_i,comdat
.Lfunc_end96:
	.size	_ZL26rocblas_hemvn_kernel_upperILb0ELi64ELi4ELi33ELi32ELi16EiPKdS1_PdEviT6_lT7_lT5_lS4_lS5_lS3_lT8_i, .Lfunc_end96-_ZL26rocblas_hemvn_kernel_upperILb0ELi64ELi4ELi33ELi32ELi16EiPKdS1_PdEviT6_lT7_lT5_lS4_lS5_lS3_lT8_i
                                        ; -- End function
	.set _ZL26rocblas_hemvn_kernel_upperILb0ELi64ELi4ELi33ELi32ELi16EiPKdS1_PdEviT6_lT7_lT5_lS4_lS5_lS3_lT8_i.num_vgpr, 193
	.set _ZL26rocblas_hemvn_kernel_upperILb0ELi64ELi4ELi33ELi32ELi16EiPKdS1_PdEviT6_lT7_lT5_lS4_lS5_lS3_lT8_i.num_agpr, 0
	.set _ZL26rocblas_hemvn_kernel_upperILb0ELi64ELi4ELi33ELi32ELi16EiPKdS1_PdEviT6_lT7_lT5_lS4_lS5_lS3_lT8_i.numbered_sgpr, 104
	.set _ZL26rocblas_hemvn_kernel_upperILb0ELi64ELi4ELi33ELi32ELi16EiPKdS1_PdEviT6_lT7_lT5_lS4_lS5_lS3_lT8_i.num_named_barrier, 0
	.set _ZL26rocblas_hemvn_kernel_upperILb0ELi64ELi4ELi33ELi32ELi16EiPKdS1_PdEviT6_lT7_lT5_lS4_lS5_lS3_lT8_i.private_seg_size, 0
	.set _ZL26rocblas_hemvn_kernel_upperILb0ELi64ELi4ELi33ELi32ELi16EiPKdS1_PdEviT6_lT7_lT5_lS4_lS5_lS3_lT8_i.uses_vcc, 1
	.set _ZL26rocblas_hemvn_kernel_upperILb0ELi64ELi4ELi33ELi32ELi16EiPKdS1_PdEviT6_lT7_lT5_lS4_lS5_lS3_lT8_i.uses_flat_scratch, 0
	.set _ZL26rocblas_hemvn_kernel_upperILb0ELi64ELi4ELi33ELi32ELi16EiPKdS1_PdEviT6_lT7_lT5_lS4_lS5_lS3_lT8_i.has_dyn_sized_stack, 0
	.set _ZL26rocblas_hemvn_kernel_upperILb0ELi64ELi4ELi33ELi32ELi16EiPKdS1_PdEviT6_lT7_lT5_lS4_lS5_lS3_lT8_i.has_recursion, 0
	.set _ZL26rocblas_hemvn_kernel_upperILb0ELi64ELi4ELi33ELi32ELi16EiPKdS1_PdEviT6_lT7_lT5_lS4_lS5_lS3_lT8_i.has_indirect_call, 0
	.section	.AMDGPU.csdata,"",@progbits
; Kernel info:
; codeLenInByte = 9544
; TotalNumSgprs: 106
; NumVgprs: 193
; ScratchSize: 0
; MemoryBound: 0
; FloatMode: 240
; IeeeMode: 1
; LDSByteSize: 9600 bytes/workgroup (compile time only)
; SGPRBlocks: 0
; VGPRBlocks: 24
; NumSGPRsForWavesPerEU: 106
; NumVGPRsForWavesPerEU: 193
; Occupancy: 7
; WaveLimiterHint : 0
; COMPUTE_PGM_RSRC2:SCRATCH_EN: 0
; COMPUTE_PGM_RSRC2:USER_SGPR: 2
; COMPUTE_PGM_RSRC2:TRAP_HANDLER: 0
; COMPUTE_PGM_RSRC2:TGID_X_EN: 1
; COMPUTE_PGM_RSRC2:TGID_Y_EN: 0
; COMPUTE_PGM_RSRC2:TGID_Z_EN: 1
; COMPUTE_PGM_RSRC2:TIDIG_COMP_CNT: 1
	.section	.text._ZL36rocblas_hemvn_kernel_upper_block_sumILi64EiPKdPddEviT1_lS3_lT2_lT0_lPT3_i,"axG",@progbits,_ZL36rocblas_hemvn_kernel_upper_block_sumILi64EiPKdPddEviT1_lS3_lT2_lT0_lPT3_i,comdat
	.globl	_ZL36rocblas_hemvn_kernel_upper_block_sumILi64EiPKdPddEviT1_lS3_lT2_lT0_lPT3_i ; -- Begin function _ZL36rocblas_hemvn_kernel_upper_block_sumILi64EiPKdPddEviT1_lS3_lT2_lT0_lPT3_i
	.p2align	8
	.type	_ZL36rocblas_hemvn_kernel_upper_block_sumILi64EiPKdPddEviT1_lS3_lT2_lT0_lPT3_i,@function
_ZL36rocblas_hemvn_kernel_upper_block_sumILi64EiPKdPddEviT1_lS3_lT2_lT0_lPT3_i: ; @_ZL36rocblas_hemvn_kernel_upper_block_sumILi64EiPKdPddEviT1_lS3_lT2_lT0_lPT3_i
; %bb.0:
	s_load_b32 s26, s[0:1], 0x50
	s_lshr_b32 s2, ttmp7, 16
	s_wait_kmcnt 0x0
	s_cmp_ge_u32 s2, s26
	s_cbranch_scc1 .LBB97_24
; %bb.1:
	s_clause 0x3
	s_load_b32 s3, s[0:1], 0x38
	s_load_b128 s[20:23], s[0:1], 0x28
	s_load_b32 s18, s[0:1], 0x0
	s_load_b128 s[12:15], s[0:1], 0x40
	v_lshl_or_b32 v0, ttmp9, 6, v0
	s_load_b256 s[4:11], s[0:1], 0x8
	s_add_nc_u64 s[16:17], s[0:1], 0x58
	s_delay_alu instid0(VALU_DEP_1) | instskip(NEXT) | instid1(VALU_DEP_1)
	v_ashrrev_i32_e32 v1, 31, v0
	v_lshlrev_b64_e32 v[4:5], 3, v[0:1]
	s_wait_kmcnt 0x0
	v_mul_lo_u32 v2, s3, v0
	s_lshl_b64 s[22:23], s[22:23], 3
	v_cmp_gt_i32_e64 s0, s18, v0
	s_delay_alu instid0(VALU_DEP_3)
	v_add_co_u32 v0, vcc_lo, s14, v4
	s_ashr_i32 s19, s18, 31
	v_add_co_ci_u32_e64 v1, null, s15, v5, vcc_lo
	v_ashrrev_i32_e32 v3, 31, v2
	s_cmp_gt_i32 ttmp9, -1
	s_add_nc_u64 s[14:15], s[20:21], s[22:23]
	s_cselect_b32 s1, -1, 0
	s_add_co_i32 s27, ttmp9, 1
	v_lshlrev_b64_e32 v[2:3], 3, v[2:3]
	s_wait_alu 0xfffe
	s_lshl_b64 s[18:19], s[18:19], 3
	s_mov_b32 s3, 0
	s_branch .LBB97_4
.LBB97_2:                               ;   in Loop: Header=BB97_4 Depth=1
	s_wait_alu 0xfffe
	s_or_b32 exec_lo, exec_lo, s22
.LBB97_3:                               ;   in Loop: Header=BB97_4 Depth=1
	s_add_co_i32 s2, s2, 0x10000
	s_wait_alu 0xfffe
	s_cmp_lt_u32 s2, s26
	s_cbranch_scc0 .LBB97_24
.LBB97_4:                               ; =>This Loop Header: Depth=1
                                        ;     Child Loop BB97_15 Depth 2
	s_wait_alu 0xfffe
	s_mul_u64 s[20:21], s[6:7], s[2:3]
	s_mul_u64 s[22:23], s[10:11], s[2:3]
	s_wait_alu 0xfffe
	s_lshl_b64 s[20:21], s[20:21], 3
	s_lshl_b64 s[22:23], s[22:23], 3
	s_wait_alu 0xfffe
	s_add_nc_u64 s[20:21], s[4:5], s[20:21]
	s_add_nc_u64 s[24:25], s[8:9], s[22:23]
	s_load_b64 s[22:23], s[20:21], 0x0
	s_load_b64 s[24:25], s[24:25], 0x0
	s_wait_kmcnt 0x0
	v_cmp_eq_f64_e64 s20, s[22:23], 0
	v_cmp_eq_f64_e64 s21, s[24:25], 1.0
	s_and_b32 s20, s20, s21
	s_wait_alu 0xfffe
	s_and_b32 vcc_lo, exec_lo, s20
	s_wait_alu 0xfffe
	s_cbranch_vccnz .LBB97_3
; %bb.5:                                ;   in Loop: Header=BB97_4 Depth=1
	v_cmp_neq_f64_e64 s28, s[22:23], 0
	s_mul_u64 s[20:21], s[12:13], s[2:3]
	s_wait_alu 0xfffe
	s_lshl_b64 s[20:21], s[20:21], 3
	s_wait_alu 0xfffe
	s_add_nc_u64 s[20:21], s[14:15], s[20:21]
	s_and_b32 vcc_lo, exec_lo, s28
	s_wait_alu 0xfffe
	s_cbranch_vccnz .LBB97_10
; %bb.6:                                ;   in Loop: Header=BB97_4 Depth=1
	s_mov_b32 s29, 0
	s_mov_b32 s28, 0
                                        ; implicit-def: $vgpr4_vgpr5
	s_and_saveexec_b32 s30, s0
	s_cbranch_execz .LBB97_11
; %bb.7:                                ;   in Loop: Header=BB97_4 Depth=1
	v_cmp_eq_f64_e64 s28, s[24:25], 0
	v_mov_b32_e32 v4, 0
	v_mov_b32_e32 v5, 0
	s_and_b32 vcc_lo, exec_lo, s28
	s_wait_alu 0xfffe
	s_cbranch_vccnz .LBB97_9
; %bb.8:                                ;   in Loop: Header=BB97_4 Depth=1
	v_add_co_u32 v4, vcc_lo, s20, v2
	s_wait_alu 0xfffd
	v_add_co_ci_u32_e64 v5, null, s21, v3, vcc_lo
	global_load_b64 v[4:5], v[4:5], off
	s_wait_loadcnt 0x0
	v_mul_f64_e32 v[4:5], s[24:25], v[4:5]
.LBB97_9:                               ;   in Loop: Header=BB97_4 Depth=1
	s_mov_b32 s28, exec_lo
	s_or_b32 exec_lo, exec_lo, s30
	s_delay_alu instid0(SALU_CYCLE_1)
	s_and_b32 vcc_lo, exec_lo, s29
	s_wait_alu 0xfffe
	s_cbranch_vccnz .LBB97_12
	s_branch .LBB97_21
.LBB97_10:                              ;   in Loop: Header=BB97_4 Depth=1
	s_mov_b32 s28, 0
                                        ; implicit-def: $vgpr4_vgpr5
	s_cbranch_execnz .LBB97_12
	s_branch .LBB97_21
.LBB97_11:                              ;   in Loop: Header=BB97_4 Depth=1
	s_wait_alu 0xfffe
	s_or_b32 exec_lo, exec_lo, s30
	s_delay_alu instid0(SALU_CYCLE_1)
	s_and_b32 vcc_lo, exec_lo, s29
	s_wait_alu 0xfffe
	s_cbranch_vccz .LBB97_21
.LBB97_12:                              ;   in Loop: Header=BB97_4 Depth=1
                                        ; implicit-def: $vgpr4_vgpr5
	s_and_saveexec_b32 s29, s0
	s_cbranch_execz .LBB97_20
; %bb.13:                               ;   in Loop: Header=BB97_4 Depth=1
	v_mov_b32_e32 v6, 0
	v_mov_b32_e32 v7, 0
	s_and_not1_b32 vcc_lo, exec_lo, s1
	s_wait_alu 0xfffe
	s_cbranch_vccnz .LBB97_16
; %bb.14:                               ;   in Loop: Header=BB97_4 Depth=1
	s_load_b32 s30, s[16:17], 0x0
	s_mov_b32 s31, s3
	s_wait_kmcnt 0x0
	s_wait_alu 0xfffe
	s_mul_u64 s[30:31], s[18:19], s[30:31]
	s_wait_alu 0xfffe
	v_mad_co_u64_u32 v[4:5], null, s30, s2, v[0:1]
	s_mov_b32 s30, s27
	v_mad_co_u64_u32 v[5:6], null, s31, s2, v[5:6]
	v_mov_b32_e32 v6, 0
	v_mov_b32_e32 v7, 0
.LBB97_15:                              ;   Parent Loop BB97_4 Depth=1
                                        ; =>  This Inner Loop Header: Depth=2
	global_load_b64 v[8:9], v[4:5], off
	v_add_co_u32 v4, vcc_lo, v4, s18
	s_wait_alu 0xfffd
	v_add_co_ci_u32_e64 v5, null, s19, v5, vcc_lo
	s_wait_alu 0xfffe
	s_add_co_i32 s30, s30, -1
	s_wait_alu 0xfffe
	s_cmp_eq_u32 s30, 0
	s_wait_loadcnt 0x0
	v_add_f64_e32 v[6:7], v[6:7], v[8:9]
	s_cbranch_scc0 .LBB97_15
.LBB97_16:                              ;   in Loop: Header=BB97_4 Depth=1
	v_cmp_eq_f64_e64 s30, s[24:25], 0
	s_and_b32 vcc_lo, exec_lo, s30
	s_wait_alu 0xfffe
	s_cbranch_vccz .LBB97_23
; %bb.17:                               ;   in Loop: Header=BB97_4 Depth=1
	v_mul_f64_e32 v[4:5], s[22:23], v[6:7]
	s_cbranch_execnz .LBB97_19
.LBB97_18:                              ;   in Loop: Header=BB97_4 Depth=1
	v_add_co_u32 v4, vcc_lo, s20, v2
	s_wait_alu 0xfffd
	v_add_co_ci_u32_e64 v5, null, s21, v3, vcc_lo
	global_load_b64 v[4:5], v[4:5], off
	s_wait_loadcnt 0x0
	v_mul_f64_e32 v[4:5], s[24:25], v[4:5]
	s_delay_alu instid0(VALU_DEP_1)
	v_fma_f64 v[4:5], s[22:23], v[6:7], v[4:5]
.LBB97_19:                              ;   in Loop: Header=BB97_4 Depth=1
	s_or_b32 s28, s28, exec_lo
.LBB97_20:                              ;   in Loop: Header=BB97_4 Depth=1
	s_or_b32 exec_lo, exec_lo, s29
.LBB97_21:                              ;   in Loop: Header=BB97_4 Depth=1
	s_and_saveexec_b32 s22, s28
	s_cbranch_execz .LBB97_2
; %bb.22:                               ;   in Loop: Header=BB97_4 Depth=1
	v_add_co_u32 v6, vcc_lo, s20, v2
	s_wait_alu 0xfffd
	v_add_co_ci_u32_e64 v7, null, s21, v3, vcc_lo
	global_store_b64 v[6:7], v[4:5], off
	s_branch .LBB97_2
.LBB97_23:                              ;   in Loop: Header=BB97_4 Depth=1
                                        ; implicit-def: $vgpr4_vgpr5
	s_branch .LBB97_18
.LBB97_24:
	s_endpgm
	.section	.rodata,"a",@progbits
	.p2align	6, 0x0
	.amdhsa_kernel _ZL36rocblas_hemvn_kernel_upper_block_sumILi64EiPKdPddEviT1_lS3_lT2_lT0_lPT3_i
		.amdhsa_group_segment_fixed_size 0
		.amdhsa_private_segment_fixed_size 0
		.amdhsa_kernarg_size 344
		.amdhsa_user_sgpr_count 2
		.amdhsa_user_sgpr_dispatch_ptr 0
		.amdhsa_user_sgpr_queue_ptr 0
		.amdhsa_user_sgpr_kernarg_segment_ptr 1
		.amdhsa_user_sgpr_dispatch_id 0
		.amdhsa_user_sgpr_private_segment_size 0
		.amdhsa_wavefront_size32 1
		.amdhsa_uses_dynamic_stack 0
		.amdhsa_enable_private_segment 0
		.amdhsa_system_sgpr_workgroup_id_x 1
		.amdhsa_system_sgpr_workgroup_id_y 0
		.amdhsa_system_sgpr_workgroup_id_z 1
		.amdhsa_system_sgpr_workgroup_info 0
		.amdhsa_system_vgpr_workitem_id 0
		.amdhsa_next_free_vgpr 10
		.amdhsa_next_free_sgpr 32
		.amdhsa_reserve_vcc 1
		.amdhsa_float_round_mode_32 0
		.amdhsa_float_round_mode_16_64 0
		.amdhsa_float_denorm_mode_32 3
		.amdhsa_float_denorm_mode_16_64 3
		.amdhsa_fp16_overflow 0
		.amdhsa_workgroup_processor_mode 1
		.amdhsa_memory_ordered 1
		.amdhsa_forward_progress 1
		.amdhsa_inst_pref_size 7
		.amdhsa_round_robin_scheduling 0
		.amdhsa_exception_fp_ieee_invalid_op 0
		.amdhsa_exception_fp_denorm_src 0
		.amdhsa_exception_fp_ieee_div_zero 0
		.amdhsa_exception_fp_ieee_overflow 0
		.amdhsa_exception_fp_ieee_underflow 0
		.amdhsa_exception_fp_ieee_inexact 0
		.amdhsa_exception_int_div_zero 0
	.end_amdhsa_kernel
	.section	.text._ZL36rocblas_hemvn_kernel_upper_block_sumILi64EiPKdPddEviT1_lS3_lT2_lT0_lPT3_i,"axG",@progbits,_ZL36rocblas_hemvn_kernel_upper_block_sumILi64EiPKdPddEviT1_lS3_lT2_lT0_lPT3_i,comdat
.Lfunc_end97:
	.size	_ZL36rocblas_hemvn_kernel_upper_block_sumILi64EiPKdPddEviT1_lS3_lT2_lT0_lPT3_i, .Lfunc_end97-_ZL36rocblas_hemvn_kernel_upper_block_sumILi64EiPKdPddEviT1_lS3_lT2_lT0_lPT3_i
                                        ; -- End function
	.set _ZL36rocblas_hemvn_kernel_upper_block_sumILi64EiPKdPddEviT1_lS3_lT2_lT0_lPT3_i.num_vgpr, 10
	.set _ZL36rocblas_hemvn_kernel_upper_block_sumILi64EiPKdPddEviT1_lS3_lT2_lT0_lPT3_i.num_agpr, 0
	.set _ZL36rocblas_hemvn_kernel_upper_block_sumILi64EiPKdPddEviT1_lS3_lT2_lT0_lPT3_i.numbered_sgpr, 32
	.set _ZL36rocblas_hemvn_kernel_upper_block_sumILi64EiPKdPddEviT1_lS3_lT2_lT0_lPT3_i.num_named_barrier, 0
	.set _ZL36rocblas_hemvn_kernel_upper_block_sumILi64EiPKdPddEviT1_lS3_lT2_lT0_lPT3_i.private_seg_size, 0
	.set _ZL36rocblas_hemvn_kernel_upper_block_sumILi64EiPKdPddEviT1_lS3_lT2_lT0_lPT3_i.uses_vcc, 1
	.set _ZL36rocblas_hemvn_kernel_upper_block_sumILi64EiPKdPddEviT1_lS3_lT2_lT0_lPT3_i.uses_flat_scratch, 0
	.set _ZL36rocblas_hemvn_kernel_upper_block_sumILi64EiPKdPddEviT1_lS3_lT2_lT0_lPT3_i.has_dyn_sized_stack, 0
	.set _ZL36rocblas_hemvn_kernel_upper_block_sumILi64EiPKdPddEviT1_lS3_lT2_lT0_lPT3_i.has_recursion, 0
	.set _ZL36rocblas_hemvn_kernel_upper_block_sumILi64EiPKdPddEviT1_lS3_lT2_lT0_lPT3_i.has_indirect_call, 0
	.section	.AMDGPU.csdata,"",@progbits
; Kernel info:
; codeLenInByte = 776
; TotalNumSgprs: 34
; NumVgprs: 10
; ScratchSize: 0
; MemoryBound: 0
; FloatMode: 240
; IeeeMode: 1
; LDSByteSize: 0 bytes/workgroup (compile time only)
; SGPRBlocks: 0
; VGPRBlocks: 1
; NumSGPRsForWavesPerEU: 34
; NumVGPRsForWavesPerEU: 10
; Occupancy: 16
; WaveLimiterHint : 0
; COMPUTE_PGM_RSRC2:SCRATCH_EN: 0
; COMPUTE_PGM_RSRC2:USER_SGPR: 2
; COMPUTE_PGM_RSRC2:TRAP_HANDLER: 0
; COMPUTE_PGM_RSRC2:TGID_X_EN: 1
; COMPUTE_PGM_RSRC2:TGID_Y_EN: 0
; COMPUTE_PGM_RSRC2:TGID_Z_EN: 1
; COMPUTE_PGM_RSRC2:TIDIG_COMP_CNT: 0
	.section	.text._ZL26rocblas_hemvn_kernel_upperILb0ELi64ELi4ELi33ELi32ELi16EldPKdPdEviT6_lT7_lT5_lS4_lS5_lS3_lT8_i,"axG",@progbits,_ZL26rocblas_hemvn_kernel_upperILb0ELi64ELi4ELi33ELi32ELi16EldPKdPdEviT6_lT7_lT5_lS4_lS5_lS3_lT8_i,comdat
	.globl	_ZL26rocblas_hemvn_kernel_upperILb0ELi64ELi4ELi33ELi32ELi16EldPKdPdEviT6_lT7_lT5_lS4_lS5_lS3_lT8_i ; -- Begin function _ZL26rocblas_hemvn_kernel_upperILb0ELi64ELi4ELi33ELi32ELi16EldPKdPdEviT6_lT7_lT5_lS4_lS5_lS3_lT8_i
	.p2align	8
	.type	_ZL26rocblas_hemvn_kernel_upperILb0ELi64ELi4ELi33ELi32ELi16EldPKdPdEviT6_lT7_lT5_lS4_lS5_lS3_lT8_i,@function
_ZL26rocblas_hemvn_kernel_upperILb0ELi64ELi4ELi33ELi32ELi16EldPKdPdEviT6_lT7_lT5_lS4_lS5_lS3_lT8_i: ; @_ZL26rocblas_hemvn_kernel_upperILb0ELi64ELi4ELi33ELi32ELi16EldPKdPdEviT6_lT7_lT5_lS4_lS5_lS3_lT8_i
; %bb.0:
	s_clause 0x1
	s_load_b64 s[2:3], s[0:1], 0x84
	s_load_b32 s33, s[0:1], 0x70
	s_lshr_b32 s34, ttmp7, 16
	s_wait_kmcnt 0x0
	s_lshr_b32 s4, s2, 16
	s_and_b32 s2, s2, 0xffff
	s_and_b32 s3, s3, 0xffff
	s_mul_i32 s2, s4, s2
	s_delay_alu instid0(SALU_CYCLE_1) | instskip(NEXT) | instid1(SALU_CYCLE_1)
	s_mul_i32 s2, s2, s3
	s_cmp_lg_u32 s2, 0x100
	s_cselect_b32 s2, -1, 0
	s_cmp_ge_u32 s34, s33
	s_cselect_b32 s3, -1, 0
	s_delay_alu instid0(SALU_CYCLE_1) | instskip(NEXT) | instid1(SALU_CYCLE_1)
	s_or_b32 s2, s2, s3
	s_and_b32 vcc_lo, exec_lo, s2
	s_cbranch_vccnz .LBB98_129
; %bb.1:
	s_clause 0x4
	s_load_b64 s[8:9], s[0:1], 0x58
	s_load_b64 s[10:11], s[0:1], 0x8
	s_load_b32 s6, s[0:1], 0x0
	s_load_b512 s[16:31], s[0:1], 0x18
	s_load_b64 s[4:5], s[0:1], 0x68
	v_and_b32_e32 v94, 0x3ff, v0
	v_bfe_u32 v11, v0, 10, 10
	s_add_nc_u64 s[12:13], s[0:1], 0x78
	v_dual_mov_b32 v2, 0 :: v_dual_and_b32 v1, 31, v0
	s_lshl_b32 s48, ttmp9, 6
	s_delay_alu instid0(VALU_DEP_2)
	v_lshl_add_u32 v10, v11, 6, v94
	s_load_b32 s36, s[12:13], 0x0
	s_mov_b32 s35, 0
	s_mov_b32 s2, ttmp9
	s_mov_b32 s37, s35
	v_lshrrev_b32_e32 v12, 5, v10
	v_lshlrev_b32_e32 v95, 3, v94
	v_lshlrev_b32_e32 v23, 5, v11
	v_and_b32_e32 v15, 0x7fe0, v10
	v_cmp_eq_u32_e64 s0, 0, v11
	s_wait_kmcnt 0x0
	v_cmp_neq_f64_e64 s1, s[8:9], 1.0
	v_cmp_neq_f64_e64 s3, s[10:11], 0
	v_mad_co_u64_u32 v[7:8], null, s20, v12, v[1:2]
	v_add_nc_u32_e32 v3, s48, v94
	s_ashr_i32 s7, s6, 31
	s_lshl_b64 s[8:9], s[26:27], 3
	s_lshr_b32 s12, s7, 26
	s_lshl_b64 s[10:11], s[18:19], 3
	s_add_co_i32 s12, s6, s12
	s_delay_alu instid0(VALU_DEP_2)
	v_mov_b32_e32 v2, v8
	v_ashrrev_i32_e32 v4, 31, v3
	v_mul_lo_u32 v13, s29, v3
	v_mad_co_u64_u32 v[5:6], null, s28, v3, 0
	s_and_not1_b32 s12, s12, 63
	v_mul_lo_u32 v9, s28, v4
	s_add_co_i32 s13, s36, -1
	s_wait_alu 0xfffe
	s_add_nc_u64 s[8:9], s[24:25], s[8:9]
	s_mul_u64 s[24:25], s[36:37], s[6:7]
	s_sub_co_i32 s37, s6, s12
	s_add_nc_u64 s[10:11], s[16:17], s[10:11]
	v_lshlrev_b32_e32 v14, 2, v12
	v_mul_u32_u24_e32 v20, 0x108, v12
	v_add3_u32 v6, v6, v9, v13
	v_mad_co_u64_u32 v[8:9], null, s21, v12, v[2:3]
	v_add_nc_u32_e32 v9, 16, v12
	v_add_nc_u32_e32 v13, 24, v12
	s_delay_alu instid0(VALU_DEP_4)
	v_lshlrev_b64_e32 v[5:6], 3, v[5:6]
	v_or_b32_e32 v16, 1, v14
	v_mul_u32_u24_e32 v21, 0x420, v12
	v_lshlrev_b32_e32 v18, 3, v12
	v_cmp_eq_u32_e64 s16, 1, v12
	v_mul_i32_i24_e32 v106, 0xffffffe8, v12
	s_wait_alu 0xfffe
	v_add_co_u32 v98, vcc_lo, s8, v5
	s_delay_alu instid0(VALU_DEP_1)
	v_add_co_ci_u32_e64 v99, null, s9, v6, vcc_lo
	s_or_b32 s56, s3, s1
	s_cmp_eq_u32 ttmp9, s13
	v_cndmask_b32_e64 v97, 0, 1, s3
	s_cselect_b32 s26, s37, 0
	v_lshlrev_b64_e32 v[5:6], 3, v[7:8]
	s_cmp_lg_u32 s26, 0
	v_cmp_gt_i32_e32 vcc_lo, s26, v94
	s_cselect_b32 s57, -1, 0
	s_cmp_eq_u32 s26, 0
	v_mul_u32_u24_e32 v22, 0x108, v16
	s_cselect_b32 s1, -1, 0
	s_ashr_i32 s3, ttmp9, 31
	s_ashr_i32 s49, s48, 31
	s_wait_alu 0xfffe
	s_mul_u64 s[2:3], s[6:7], s[2:3]
	s_lshl_b64 s[6:7], s[48:49], 3
	s_or_b32 s58, s1, vcc_lo
	s_add_nc_u64 s[6:7], s[10:11], s[6:7]
	s_mul_u64 s[8:9], s[20:21], s[48:49]
	v_add_co_u32 v2, vcc_lo, s6, v5
	s_wait_alu 0xfffe
	s_lshl_b64 s[8:9], s[8:9], 3
	s_wait_alu 0xfffd
	v_add_co_ci_u32_e64 v7, null, s7, v6, vcc_lo
	s_wait_alu 0xfffe
	v_add_co_u32 v100, vcc_lo, v2, s8
	v_add_nc_u32_e32 v2, 8, v12
	s_lshl_b64 s[2:3], s[2:3], 3
	s_sub_co_i32 s15, s26, 32
	s_wait_alu 0xfffe
	s_add_nc_u64 s[38:39], s[4:5], s[2:3]
	v_cmp_gt_i32_e64 s4, s26, v9
	v_cmp_gt_i32_e64 s3, s26, v2
	;; [unrolled: 1-line block ×4, first 2 shown]
	v_lshrrev_b32_e32 v2, 4, v10
	v_and_b32_e32 v9, 15, v0
	v_and_b32_e32 v0, 48, v0
	s_wait_alu 0xfffd
	v_add_co_ci_u32_e64 v101, null, s9, v7, vcc_lo
	v_sub_co_u32 v7, s2, 0, v1
	s_wait_alu 0xf1ff
	v_sub_co_ci_u32_e64 v8, null, 0, 0, s2
	v_cmp_gt_i32_e64 s2, s26, v12
	v_cmp_gt_i32_e64 s5, s26, v13
	;; [unrolled: 1-line block ×4, first 2 shown]
	v_lshlrev_b32_e32 v12, 5, v2
	v_lshlrev_b32_e32 v0, 3, v0
	v_or_b32_e32 v13, 0x78, v95
	v_mul_i32_i24_e32 v24, 0xffffffe8, v2
	v_add_nc_u32_e32 v2, 0x100, v23
	v_mul_u32_u24_e32 v16, 33, v1
	s_add_co_i32 s17, ttmp9, 1
	s_ashr_i32 s27, s26, 31
	s_lshl_b64 s[40:41], s[20:21], 6
	s_lshl_b64 s[42:43], s[20:21], 7
	;; [unrolled: 1-line block ×3, first 2 shown]
	v_cmp_gt_u32_e64 s10, 32, v10
	s_cmp_lt_u32 s17, s36
	v_mad_u32_u24 v111, 0x218, v9, v12
	v_cmp_gt_u32_e64 s17, 64, v10
	v_mad_u32_u24 v112, 0x218, v9, v0
	v_mad_u32_u24 v113, 0x218, v9, v13
	v_mad_co_u64_u32 v[9:10], null, s20, v2, 0
	v_lshl_add_u32 v105, v16, 3, v18
	v_add_nc_u32_e32 v16, 0x110, v23
	v_cmp_gt_u32_e64 s6, v14, v1
	v_cmp_ge_u32_e64 s7, v14, v1
	v_or_b32_e32 v17, 2, v14
	v_or_b32_e32 v14, 3, v14
	v_dual_mov_b32 v0, v10 :: v_dual_lshlrev_b32 v107, 2, v11
	v_mad_u32_u24 v110, 0x860, v11, v95
	v_mad_u32_u24 v129, 0x218, v11, v95
	v_mad_co_u64_u32 v[11:12], null, s20, v16, 0
	v_lshlrev_b32_e32 v19, 3, v1
	v_cmp_gt_u32_e64 s9, v14, v1
	v_or_b32_e32 v14, 32, v1
	v_add_nc_u32_e32 v10, 0x118, v23
	v_cmp_gt_u32_e64 s8, v17, v1
	v_add_nc_u32_e32 v104, 0x2380, v15
	v_add_nc_u32_e32 v131, 0x2380, v18
	v_cmp_gt_i32_e64 s11, s26, v14
	v_mad_co_u64_u32 v[13:14], null, s21, v2, v[0:1]
	v_mov_b32_e32 v0, v12
	v_lshl_or_b32 v102, v1, 8, v19
	v_add_nc_u32_e32 v12, 0x108, v23
	v_sub_co_u32 v132, vcc_lo, v9, v5
	s_delay_alu instid0(VALU_DEP_4) | instskip(NEXT) | instid1(VALU_DEP_4)
	v_mad_co_u64_u32 v[16:17], null, s21, v16, v[0:1]
	v_add_nc_u32_e32 v103, v102, v15
	v_mad_co_u64_u32 v[14:15], null, s20, v10, 0
	v_add_nc_u32_e32 v130, v102, v18
	v_mad_co_u64_u32 v[17:18], null, s20, v12, 0
	s_wait_alu 0xfffd
	v_sub_co_ci_u32_e64 v133, null, v13, v6, vcc_lo
	v_sub_co_u32 v134, vcc_lo, v11, v5
	v_dual_mov_b32 v0, v15 :: v_dual_add_nc_u32 v15, 0x180, v23
	s_delay_alu instid0(VALU_DEP_4) | instskip(SKIP_2) | instid1(VALU_DEP_3)
	v_mov_b32_e32 v2, v18
	s_wait_alu 0xfffd
	v_sub_co_ci_u32_e64 v135, null, v16, v6, vcc_lo
	v_mad_co_u64_u32 v[9:10], null, s21, v10, v[0:1]
	v_mad_co_u64_u32 v[10:11], null, s20, v15, 0
	;; [unrolled: 1-line block ×3, first 2 shown]
	v_add_nc_u32_e32 v2, 0x188, v23
	v_sub_co_u32 v136, vcc_lo, v14, v5
	s_wait_alu 0xfffd
	v_sub_co_ci_u32_e64 v137, null, v9, v6, vcc_lo
	s_delay_alu instid0(VALU_DEP_3) | instskip(SKIP_4) | instid1(VALU_DEP_3)
	v_mad_co_u64_u32 v[13:14], null, s20, v2, 0
	v_dual_mov_b32 v0, v11 :: v_dual_add_nc_u32 v9, 0x190, v23
	v_sub_co_u32 v138, vcc_lo, v17, v5
	s_wait_alu 0xfffd
	v_sub_co_ci_u32_e64 v139, null, v12, v6, vcc_lo
	v_mad_co_u64_u32 v[11:12], null, s21, v15, v[0:1]
	v_mov_b32_e32 v0, v14
	v_mad_co_u64_u32 v[14:15], null, s20, v9, 0
	v_sub_co_u32 v140, vcc_lo, v10, v5
	s_delay_alu instid0(VALU_DEP_3) | instskip(SKIP_2) | instid1(VALU_DEP_4)
	v_mad_co_u64_u32 v[16:17], null, s21, v2, v[0:1]
	s_wait_alu 0xfffd
	v_sub_co_ci_u32_e64 v141, null, v11, v6, vcc_lo
	v_dual_mov_b32 v0, v15 :: v_dual_add_nc_u32 v15, 0x200, v23
	v_sub_co_u32 v142, vcc_lo, v13, v5
	s_wait_alu 0xfffd
	s_delay_alu instid0(VALU_DEP_4) | instskip(NEXT) | instid1(VALU_DEP_3)
	v_sub_co_ci_u32_e64 v143, null, v16, v6, vcc_lo
	v_mad_co_u64_u32 v[9:10], null, s21, v9, v[0:1]
	v_mad_co_u64_u32 v[10:11], null, s20, v15, 0
	v_sub_co_u32 v144, vcc_lo, v14, v5
	s_mul_u64 s[46:47], s[28:29], s[48:49]
	v_lshlrev_b64_e32 v[56:57], 3, v[3:4]
	s_wait_alu 0xfffd
	v_sub_co_ci_u32_e64 v145, null, v9, v6, vcc_lo
	v_mov_b32_e32 v0, v11
	v_add_nc_u32_e32 v12, 0x198, v23
	v_add_nc_u32_e32 v9, 0x210, v23
	v_add_nc_u32_e32 v25, 0x290, v23
	v_lshlrev_b64_e32 v[58:59], 3, v[7:8]
	v_add_nc_u32_e32 v96, 0x2380, v95
	v_mad_co_u64_u32 v[17:18], null, s20, v12, 0
	v_cmp_gt_i32_e64 s1, s26, v1
	v_add_nc_u32_e32 v108, 0x2180, v95
	v_or_b32_e32 v114, 1, v107
	v_or_b32_e32 v115, 2, v107
	;; [unrolled: 1-line block ×3, first 2 shown]
	v_add_nc_u32_e32 v118, 17, v107
	v_mov_b32_e32 v2, v18
	v_sub_co_u32 v146, vcc_lo, v17, v5
	v_add_nc_u32_e32 v120, 19, v107
	v_add_nc_u32_e32 v122, 33, v107
	s_delay_alu instid0(VALU_DEP_4)
	v_mad_co_u64_u32 v[12:13], null, s21, v12, v[2:3]
	v_add_nc_u32_e32 v2, 0x208, v23
	v_add_nc_u32_e32 v124, 35, v107
	;; [unrolled: 1-line block ×5, first 2 shown]
	v_mad_co_u64_u32 v[13:14], null, s20, v2, 0
	v_add_nc_u32_e32 v109, 0x2180, v23
	s_wait_alu 0xfffd
	v_sub_co_ci_u32_e64 v147, null, v12, v6, vcc_lo
	v_mad_co_u64_u32 v[11:12], null, s21, v15, v[0:1]
	v_add_nc_u32_e32 v12, 0x218, v23
	v_mov_b32_e32 v0, v14
	v_mad_co_u64_u32 v[14:15], null, s20, v9, 0
	v_add_nc_u32_e32 v117, 16, v107
	v_sub_co_u32 v148, vcc_lo, v10, v5
	s_delay_alu instid0(VALU_DEP_4)
	v_mad_co_u64_u32 v[16:17], null, s21, v2, v[0:1]
	v_mad_co_u64_u32 v[17:18], null, s20, v12, 0
	v_dual_mov_b32 v0, v15 :: v_dual_add_nc_u32 v119, 18, v107
	s_wait_alu 0xfffd
	v_sub_co_ci_u32_e64 v149, null, v11, v6, vcc_lo
	v_sub_co_u32 v150, vcc_lo, v13, v5
	s_delay_alu instid0(VALU_DEP_4) | instskip(SKIP_3) | instid1(VALU_DEP_4)
	v_mov_b32_e32 v2, v18
	v_mad_co_u64_u32 v[9:10], null, s21, v9, v[0:1]
	v_add_nc_u32_e32 v13, 0x280, v23
	v_add_nc_u32_e32 v18, 0x288, v23
	v_mad_co_u64_u32 v[10:11], null, s21, v12, v[2:3]
	s_wait_alu 0xfffd
	v_sub_co_ci_u32_e64 v151, null, v16, v6, vcc_lo
	v_mad_co_u64_u32 v[11:12], null, s20, v13, 0
	v_sub_co_u32 v152, vcc_lo, v14, v5
	v_mad_co_u64_u32 v[15:16], null, s20, v18, 0
	s_wait_alu 0xfffd
	v_sub_co_ci_u32_e64 v153, null, v9, v6, vcc_lo
	v_sub_co_u32 v154, vcc_lo, v17, v5
	s_wait_alu 0xfffd
	v_sub_co_ci_u32_e64 v155, null, v10, v6, vcc_lo
	v_mad_co_u64_u32 v[9:10], null, s20, v25, 0
	v_add_nc_u32_e32 v23, 0x298, v23
	v_dual_mov_b32 v0, v12 :: v_dual_add_nc_u32 v121, 32, v107
	v_dual_mov_b32 v2, v16 :: v_dual_add_nc_u32 v123, 34, v107
	s_delay_alu instid0(VALU_DEP_3) | instskip(SKIP_1) | instid1(VALU_DEP_4)
	v_mad_co_u64_u32 v[16:17], null, s20, v23, 0
	v_add_nc_u32_e32 v125, 48, v107
	v_mad_co_u64_u32 v[12:13], null, s21, v13, v[0:1]
	v_dual_mov_b32 v0, v10 :: v_dual_add_nc_u32 v127, 50, v107
	v_sub_co_u32 v156, vcc_lo, v11, v5
	v_mad_co_u64_u32 v[13:14], null, s21, v18, v[2:3]
	s_delay_alu instid0(VALU_DEP_3) | instskip(SKIP_4) | instid1(VALU_DEP_3)
	v_mad_co_u64_u32 v[10:11], null, s21, v25, v[0:1]
	v_mov_b32_e32 v0, v17
	s_wait_alu 0xfffd
	v_sub_co_ci_u32_e64 v157, null, v12, v6, vcc_lo
	v_sub_co_u32 v158, vcc_lo, v15, v5
	v_mad_co_u64_u32 v[11:12], null, s21, v23, v[0:1]
	s_wait_alu 0xfffd
	v_sub_co_ci_u32_e64 v159, null, v13, v6, vcc_lo
	v_sub_co_u32 v160, vcc_lo, v9, v5
	s_wait_alu 0xfffd
	v_sub_co_ci_u32_e64 v161, null, v10, v6, vcc_lo
	v_sub_co_u32 v162, vcc_lo, v16, v5
	s_wait_alu 0xfffd
	v_sub_co_ci_u32_e64 v163, null, v11, v6, vcc_lo
	v_add_nc_u32_e32 v165, v19, v20
	v_lshlrev_b32_e32 v166, 3, v1
	v_add_nc_u32_e32 v167, v19, v21
	v_add_nc_u32_e32 v168, v19, v22
	s_sub_nc_u64 s[50:51], 0, s[46:47]
	s_mul_u64 s[44:45], s[20:21], 0xc0
	s_cselect_b32 s59, -1, 0
	s_add_co_i32 s60, s36, -2
	s_and_b32 s61, s0, s58
	s_wait_alu 0xfffe
	s_sub_nc_u64 s[46:47], 0, s[26:27]
	s_add_co_i32 s62, s48, 64
	s_lshl_b64 s[20:21], s[20:21], 9
	s_lshl_b64 s[48:49], s[18:19], 3
	s_lshl_b64 s[50:51], s[50:51], 3
	s_branch .LBB98_4
.LBB98_2:                               ;   in Loop: Header=BB98_4 Depth=1
	s_wait_alu 0xfffe
	s_or_b32 exec_lo, exec_lo, s18
.LBB98_3:                               ;   in Loop: Header=BB98_4 Depth=1
	s_add_co_i32 s34, s34, 0x10000
	s_delay_alu instid0(SALU_CYCLE_1)
	s_cmp_lt_u32 s34, s33
	s_cbranch_scc0 .LBB98_129
.LBB98_4:                               ; =>This Loop Header: Depth=1
                                        ;     Child Loop BB98_69 Depth 2
	s_and_not1_b32 vcc_lo, exec_lo, s56
	s_wait_alu 0xfffe
	s_cbranch_vccnz .LBB98_3
; %bb.5:                                ;   in Loop: Header=BB98_4 Depth=1
	v_cmp_ne_u32_e32 vcc_lo, 1, v97
	s_cbranch_vccnz .LBB98_3
; %bb.6:                                ;   in Loop: Header=BB98_4 Depth=1
	s_mul_u64 s[18:19], s[30:31], s[34:35]
	s_wait_alu 0xfffe
	s_lshl_b64 s[18:19], s[18:19], 3
	s_wait_alu 0xfffe
	v_add_co_u32 v12, vcc_lo, v98, s18
	s_wait_alu 0xfffd
	v_add_co_ci_u32_e64 v13, null, s19, v99, vcc_lo
	s_and_saveexec_b32 s18, s0
	s_cbranch_execz .LBB98_10
; %bb.7:                                ;   in Loop: Header=BB98_4 Depth=1
	v_mov_b32_e32 v0, 0
	v_mov_b32_e32 v1, 0
	s_and_saveexec_b32 s19, s58
	s_cbranch_execz .LBB98_9
; %bb.8:                                ;   in Loop: Header=BB98_4 Depth=1
	global_load_b64 v[0:1], v[12:13], off
.LBB98_9:                               ;   in Loop: Header=BB98_4 Depth=1
	s_wait_alu 0xfffe
	s_or_b32 exec_lo, exec_lo, s19
	s_wait_loadcnt 0x0
	ds_store_b64 v96, v[0:1]
.LBB98_10:                              ;   in Loop: Header=BB98_4 Depth=1
	s_wait_alu 0xfffe
	s_or_b32 exec_lo, exec_lo, s18
	s_mul_u64 s[18:19], s[22:23], s[34:35]
                                        ; implicit-def: $vgpr0_vgpr1
	s_wait_alu 0xfffe
	s_lshl_b64 s[18:19], s[18:19], 3
	s_wait_alu 0xfffe
	v_add_co_u32 v2, vcc_lo, v100, s18
	s_wait_alu 0xfffd
	v_add_co_ci_u32_e64 v3, null, s19, v101, vcc_lo
	s_and_b32 vcc_lo, exec_lo, s57
	s_mov_b32 s18, -1
	s_wait_alu 0xfffe
	s_cbranch_vccz .LBB98_20
; %bb.11:                               ;   in Loop: Header=BB98_4 Depth=1
	v_add_co_u32 v0, vcc_lo, v2, v58
	s_wait_alu 0xfffd
	v_add_co_ci_u32_e64 v1, null, v3, v59, vcc_lo
	s_lshl_b64 s[18:19], s[26:27], 3
	v_mov_b32_e32 v6, 0
	s_wait_alu 0xfffe
	v_add_co_u32 v0, vcc_lo, v0, s18
	s_wait_alu 0xfffd
	v_add_co_ci_u32_e64 v1, null, s19, v1, vcc_lo
	v_dual_mov_b32 v7, 0 :: v_dual_mov_b32 v4, 0
	s_delay_alu instid0(VALU_DEP_3) | instskip(SKIP_1) | instid1(VALU_DEP_3)
	v_add_co_u32 v0, vcc_lo, v0, -8
	s_wait_alu 0xfffd
	v_add_co_ci_u32_e64 v1, null, -1, v1, vcc_lo
	v_mov_b32_e32 v5, 0
	s_delay_alu instid0(VALU_DEP_3) | instskip(NEXT) | instid1(VALU_DEP_3)
	v_cndmask_b32_e64 v0, v0, v2, s1
	v_cndmask_b32_e64 v1, v1, v3, s1
	s_and_saveexec_b32 s18, s2
	s_cbranch_execz .LBB98_13
; %bb.12:                               ;   in Loop: Header=BB98_4 Depth=1
	global_load_b64 v[4:5], v[0:1], off
.LBB98_13:                              ;   in Loop: Header=BB98_4 Depth=1
	s_wait_alu 0xfffe
	s_or_b32 exec_lo, exec_lo, s18
	s_wait_loadcnt 0x0
	ds_store_b64 v165, v[4:5]
	s_and_saveexec_b32 s18, s3
	s_cbranch_execz .LBB98_15
; %bb.14:                               ;   in Loop: Header=BB98_4 Depth=1
	v_add_co_u32 v4, vcc_lo, v0, s40
	s_wait_alu 0xfffd
	v_add_co_ci_u32_e64 v5, null, s41, v1, vcc_lo
	global_load_b64 v[6:7], v[4:5], off
.LBB98_15:                              ;   in Loop: Header=BB98_4 Depth=1
	s_wait_alu 0xfffe
	s_or_b32 exec_lo, exec_lo, s18
	v_mov_b32_e32 v4, 0
	v_dual_mov_b32 v5, 0 :: v_dual_mov_b32 v8, 0
	v_mov_b32_e32 v9, 0
	s_wait_loadcnt 0x0
	ds_store_b64 v165, v[6:7] offset:2112
	s_and_saveexec_b32 s18, s4
	s_cbranch_execz .LBB98_17
; %bb.16:                               ;   in Loop: Header=BB98_4 Depth=1
	v_add_co_u32 v6, vcc_lo, v0, s42
	s_wait_alu 0xfffd
	v_add_co_ci_u32_e64 v7, null, s43, v1, vcc_lo
	global_load_b64 v[8:9], v[6:7], off
.LBB98_17:                              ;   in Loop: Header=BB98_4 Depth=1
	s_wait_alu 0xfffe
	s_or_b32 exec_lo, exec_lo, s18
	s_wait_loadcnt 0x0
	ds_store_b64 v165, v[8:9] offset:4224
	s_and_saveexec_b32 s18, s5
	s_cbranch_execz .LBB98_19
; %bb.18:                               ;   in Loop: Header=BB98_4 Depth=1
	v_add_co_u32 v4, vcc_lo, v0, s44
	s_wait_alu 0xfffd
	v_add_co_ci_u32_e64 v5, null, s45, v1, vcc_lo
	global_load_b64 v[4:5], v[4:5], off
.LBB98_19:                              ;   in Loop: Header=BB98_4 Depth=1
	s_wait_alu 0xfffe
	s_or_b32 exec_lo, exec_lo, s18
	v_add_co_u32 v0, vcc_lo, v0, v166
	s_wait_alu 0xfffd
	v_add_co_ci_u32_e64 v1, null, 0, v1, vcc_lo
	s_lshl_b64 s[18:19], s[46:47], 3
	s_wait_loadcnt 0x0
	ds_store_b64 v165, v[4:5] offset:6336
	s_wait_alu 0xfffe
	v_add_co_u32 v0, vcc_lo, v0, s18
	s_wait_alu 0xfffd
	v_add_co_ci_u32_e64 v1, null, s19, v1, vcc_lo
	s_mov_b32 s18, 0
	v_add_co_u32 v0, vcc_lo, v0, 8
	s_wait_alu 0xfffd
	v_add_co_ci_u32_e64 v1, null, 0, v1, vcc_lo
	s_delay_alu instid0(VALU_DEP_2) | instskip(NEXT) | instid1(VALU_DEP_2)
	v_cndmask_b32_e64 v0, v0, v2, s1
	v_cndmask_b32_e64 v1, v1, v3, s1
.LBB98_20:                              ;   in Loop: Header=BB98_4 Depth=1
	s_wait_alu 0xfffe
	s_and_b32 vcc_lo, exec_lo, s18
	s_wait_alu 0xfffe
	s_cbranch_vccz .LBB98_22
; %bb.21:                               ;   in Loop: Header=BB98_4 Depth=1
	v_add_co_u32 v0, vcc_lo, v2, s40
	s_wait_alu 0xfffd
	v_add_co_ci_u32_e64 v1, null, s41, v3, vcc_lo
	s_delay_alu instid0(VALU_DEP_2) | instskip(SKIP_1) | instid1(VALU_DEP_2)
	v_add_co_u32 v4, vcc_lo, v0, s40
	s_wait_alu 0xfffd
	v_add_co_ci_u32_e64 v5, null, s41, v1, vcc_lo
	s_delay_alu instid0(VALU_DEP_2) | instskip(SKIP_1) | instid1(VALU_DEP_2)
	v_add_co_u32 v6, vcc_lo, v4, s40
	s_wait_alu 0xfffd
	v_add_co_ci_u32_e64 v7, null, s41, v5, vcc_lo
	s_clause 0x3
	global_load_b64 v[8:9], v[2:3], off
	global_load_b64 v[10:11], v[0:1], off
	global_load_b64 v[4:5], v[4:5], off
	global_load_b64 v[6:7], v[6:7], off
	v_dual_mov_b32 v0, v2 :: v_dual_mov_b32 v1, v3
	s_wait_loadcnt 0x3
	ds_store_b64 v165, v[8:9]
	s_wait_loadcnt 0x2
	ds_store_b64 v165, v[10:11] offset:2112
	s_wait_loadcnt 0x1
	ds_store_b64 v165, v[4:5] offset:4224
	;; [unrolled: 2-line block ×3, first 2 shown]
.LBB98_22:                              ;   in Loop: Header=BB98_4 Depth=1
	s_wait_dscnt 0x0
	s_barrier_signal -1
	s_barrier_wait -1
	global_inv scope:SCOPE_SE
	s_and_saveexec_b32 s18, s6
	s_cbranch_execnz .LBB98_123
; %bb.23:                               ;   in Loop: Header=BB98_4 Depth=1
	s_wait_alu 0xfffe
	s_or_b32 exec_lo, exec_lo, s18
	s_and_saveexec_b32 s18, s7
	s_cbranch_execnz .LBB98_124
.LBB98_24:                              ;   in Loop: Header=BB98_4 Depth=1
	s_wait_alu 0xfffe
	s_or_b32 exec_lo, exec_lo, s18
	s_and_saveexec_b32 s18, s8
	s_cbranch_execnz .LBB98_125
.LBB98_25:                              ;   in Loop: Header=BB98_4 Depth=1
	s_wait_alu 0xfffe
	s_or_b32 exec_lo, exec_lo, s18
	s_and_saveexec_b32 s18, s9
	s_cbranch_execz .LBB98_27
.LBB98_26:                              ;   in Loop: Header=BB98_4 Depth=1
	ds_load_b64 v[2:3], v168 offset:528
	s_wait_dscnt 0x0
	ds_store_b64 v103, v[2:3] offset:24
.LBB98_27:                              ;   in Loop: Header=BB98_4 Depth=1
	s_wait_alu 0xfffe
	s_or_b32 exec_lo, exec_lo, s18
	s_wait_loadcnt_dscnt 0x0
	s_barrier_signal -1
	s_barrier_wait -1
	global_inv scope:SCOPE_SE
	ds_load_b64 v[10:11], v167
	ds_load_b128 v[2:5], v104
	ds_load_b128 v[6:9], v104 offset:16
	ds_load_b64 v[18:19], v168 offset:528
	ds_load_2addr_b64 v[14:17], v168 offset1:33
	v_mov_b32_e32 v60, 0
	v_mov_b32_e32 v61, 0
	s_wait_loadcnt_dscnt 0x0
	s_barrier_signal -1
	s_barrier_wait -1
	global_inv scope:SCOPE_SE
	v_fma_f64 v[2:3], v[10:11], v[2:3], 0
	s_delay_alu instid0(VALU_DEP_1) | instskip(NEXT) | instid1(VALU_DEP_1)
	v_fma_f64 v[2:3], v[14:15], v[4:5], v[2:3]
	v_fma_f64 v[2:3], v[16:17], v[6:7], v[2:3]
	s_delay_alu instid0(VALU_DEP_1)
	v_fma_f64 v[2:3], v[18:19], v[8:9], v[2:3]
	ds_store_b64 v105, v[2:3]
	s_wait_loadcnt_dscnt 0x0
	s_barrier_signal -1
	s_barrier_wait -1
	global_inv scope:SCOPE_SE
	s_and_saveexec_b32 s18, s10
	s_cbranch_execz .LBB98_29
; %bb.28:                               ;   in Loop: Header=BB98_4 Depth=1
	ds_load_2addr_b64 v[2:5], v102 offset1:1
	ds_load_2addr_b64 v[6:9], v102 offset0:2 offset1:3
	s_wait_dscnt 0x1
	v_add_f64_e32 v[2:3], v[2:3], v[4:5]
	s_wait_dscnt 0x0
	s_delay_alu instid0(VALU_DEP_1) | instskip(NEXT) | instid1(VALU_DEP_1)
	v_add_f64_e32 v[2:3], v[2:3], v[6:7]
	v_add_f64_e32 v[10:11], v[2:3], v[8:9]
	ds_load_2addr_b64 v[2:5], v102 offset0:4 offset1:5
	ds_load_2addr_b64 v[6:9], v102 offset0:6 offset1:7
	s_wait_dscnt 0x1
	v_add_f64_e32 v[2:3], v[10:11], v[2:3]
	s_delay_alu instid0(VALU_DEP_1) | instskip(SKIP_1) | instid1(VALU_DEP_1)
	v_add_f64_e32 v[2:3], v[2:3], v[4:5]
	s_wait_dscnt 0x0
	v_add_f64_e32 v[2:3], v[2:3], v[6:7]
	s_delay_alu instid0(VALU_DEP_1)
	v_add_f64_e32 v[60:61], v[2:3], v[8:9]
.LBB98_29:                              ;   in Loop: Header=BB98_4 Depth=1
	s_wait_alu 0xfffe
	s_or_b32 exec_lo, exec_lo, s18
	v_add_co_u32 v4, vcc_lo, v0, s48
	s_wait_alu 0xfffd
	v_add_co_ci_u32_e64 v5, null, s49, v1, vcc_lo
	s_mov_b32 s18, -1
	v_add_co_u32 v2, vcc_lo, 0x100, v4
	s_wait_alu 0xfffd
	v_add_co_ci_u32_e64 v3, null, 0, v5, vcc_lo
	s_and_b32 vcc_lo, exec_lo, s57
	s_wait_loadcnt 0x0
	s_barrier_signal -1
	s_barrier_wait -1
	global_inv scope:SCOPE_SE
                                        ; implicit-def: $vgpr0_vgpr1
	s_wait_alu 0xfffe
	s_cbranch_vccz .LBB98_39
; %bb.30:                               ;   in Loop: Header=BB98_4 Depth=1
	v_add_co_u32 v0, vcc_lo, v4, v58
	s_wait_alu 0xfffd
	v_add_co_ci_u32_e64 v1, null, v5, v59, vcc_lo
	s_lshl_b64 s[18:19], s[26:27], 3
	v_mov_b32_e32 v8, 0
	s_wait_alu 0xfffe
	v_add_co_u32 v0, vcc_lo, v0, s18
	s_wait_alu 0xfffd
	v_add_co_ci_u32_e64 v1, null, s19, v1, vcc_lo
	v_dual_mov_b32 v9, 0 :: v_dual_mov_b32 v6, 0
	s_delay_alu instid0(VALU_DEP_3) | instskip(SKIP_1) | instid1(VALU_DEP_3)
	v_add_co_u32 v0, vcc_lo, v0, -8
	s_wait_alu 0xfffd
	v_add_co_ci_u32_e64 v1, null, -1, v1, vcc_lo
	v_mov_b32_e32 v7, 0
	s_delay_alu instid0(VALU_DEP_3) | instskip(NEXT) | instid1(VALU_DEP_3)
	v_cndmask_b32_e64 v0, v0, v2, s11
	v_cndmask_b32_e64 v1, v1, v3, s11
	s_and_saveexec_b32 s18, s12
	s_cbranch_execz .LBB98_32
; %bb.31:                               ;   in Loop: Header=BB98_4 Depth=1
	global_load_b64 v[6:7], v[0:1], off
.LBB98_32:                              ;   in Loop: Header=BB98_4 Depth=1
	s_wait_alu 0xfffe
	s_or_b32 exec_lo, exec_lo, s18
	s_wait_loadcnt 0x0
	ds_store_b64 v165, v[6:7]
	s_and_saveexec_b32 s18, s13
	s_cbranch_execz .LBB98_34
; %bb.33:                               ;   in Loop: Header=BB98_4 Depth=1
	v_add_co_u32 v6, vcc_lo, v0, s40
	s_wait_alu 0xfffd
	v_add_co_ci_u32_e64 v7, null, s41, v1, vcc_lo
	global_load_b64 v[8:9], v[6:7], off
.LBB98_34:                              ;   in Loop: Header=BB98_4 Depth=1
	s_wait_alu 0xfffe
	s_or_b32 exec_lo, exec_lo, s18
	v_mov_b32_e32 v6, 0
	v_dual_mov_b32 v7, 0 :: v_dual_mov_b32 v10, 0
	v_mov_b32_e32 v11, 0
	s_wait_loadcnt 0x0
	ds_store_b64 v165, v[8:9] offset:2112
	s_and_saveexec_b32 s18, s14
	s_cbranch_execz .LBB98_36
; %bb.35:                               ;   in Loop: Header=BB98_4 Depth=1
	v_add_co_u32 v8, vcc_lo, v0, s42
	s_wait_alu 0xfffd
	v_add_co_ci_u32_e64 v9, null, s43, v1, vcc_lo
	global_load_b64 v[10:11], v[8:9], off
.LBB98_36:                              ;   in Loop: Header=BB98_4 Depth=1
	s_wait_alu 0xfffe
	s_or_b32 exec_lo, exec_lo, s18
	s_wait_loadcnt 0x0
	ds_store_b64 v165, v[10:11] offset:4224
	s_and_saveexec_b32 s18, s15
	s_cbranch_execz .LBB98_38
; %bb.37:                               ;   in Loop: Header=BB98_4 Depth=1
	v_add_co_u32 v6, vcc_lo, v0, s44
	s_wait_alu 0xfffd
	v_add_co_ci_u32_e64 v7, null, s45, v1, vcc_lo
	global_load_b64 v[6:7], v[6:7], off
.LBB98_38:                              ;   in Loop: Header=BB98_4 Depth=1
	s_wait_alu 0xfffe
	s_or_b32 exec_lo, exec_lo, s18
	v_add_co_u32 v0, vcc_lo, v0, v166
	s_wait_alu 0xfffd
	v_add_co_ci_u32_e64 v1, null, 0, v1, vcc_lo
	s_lshl_b64 s[18:19], s[46:47], 3
	s_wait_loadcnt 0x0
	ds_store_b64 v165, v[6:7] offset:6336
	s_wait_alu 0xfffe
	v_add_co_u32 v0, vcc_lo, v0, s18
	s_wait_alu 0xfffd
	v_add_co_ci_u32_e64 v1, null, s19, v1, vcc_lo
	s_mov_b32 s18, 0
	v_add_co_u32 v0, vcc_lo, 0x108, v0
	s_wait_alu 0xfffd
	v_add_co_ci_u32_e64 v1, null, 0, v1, vcc_lo
	s_delay_alu instid0(VALU_DEP_2) | instskip(NEXT) | instid1(VALU_DEP_2)
	v_cndmask_b32_e64 v0, v0, v2, s11
	v_cndmask_b32_e64 v1, v1, v3, s11
.LBB98_39:                              ;   in Loop: Header=BB98_4 Depth=1
	s_wait_alu 0xfffe
	s_and_b32 vcc_lo, exec_lo, s18
	s_wait_alu 0xfffe
	s_cbranch_vccz .LBB98_41
; %bb.40:                               ;   in Loop: Header=BB98_4 Depth=1
	v_add_co_u32 v0, vcc_lo, v4, s40
	s_wait_alu 0xfffd
	v_add_co_ci_u32_e64 v1, null, s41, v5, vcc_lo
	s_delay_alu instid0(VALU_DEP_2) | instskip(SKIP_1) | instid1(VALU_DEP_2)
	v_add_co_u32 v6, vcc_lo, v0, s40
	s_wait_alu 0xfffd
	v_add_co_ci_u32_e64 v7, null, s41, v1, vcc_lo
	s_delay_alu instid0(VALU_DEP_2) | instskip(SKIP_1) | instid1(VALU_DEP_2)
	v_add_co_u32 v8, vcc_lo, v6, s40
	s_wait_alu 0xfffd
	v_add_co_ci_u32_e64 v9, null, s41, v7, vcc_lo
	s_clause 0x3
	global_load_b64 v[4:5], v[4:5], off offset:256
	global_load_b64 v[10:11], v[0:1], off offset:256
	;; [unrolled: 1-line block ×4, first 2 shown]
	v_dual_mov_b32 v0, v2 :: v_dual_mov_b32 v1, v3
	s_wait_loadcnt 0x3
	ds_store_b64 v165, v[4:5]
	s_wait_loadcnt 0x2
	ds_store_b64 v165, v[10:11] offset:2112
	s_wait_loadcnt 0x1
	ds_store_b64 v165, v[6:7] offset:4224
	;; [unrolled: 2-line block ×3, first 2 shown]
.LBB98_41:                              ;   in Loop: Header=BB98_4 Depth=1
	s_wait_loadcnt_dscnt 0x0
	s_barrier_signal -1
	s_barrier_wait -1
	global_inv scope:SCOPE_SE
	s_and_saveexec_b32 s18, s6
	s_cbranch_execnz .LBB98_126
; %bb.42:                               ;   in Loop: Header=BB98_4 Depth=1
	s_wait_alu 0xfffe
	s_or_b32 exec_lo, exec_lo, s18
	s_and_saveexec_b32 s18, s7
	s_cbranch_execnz .LBB98_127
.LBB98_43:                              ;   in Loop: Header=BB98_4 Depth=1
	s_wait_alu 0xfffe
	s_or_b32 exec_lo, exec_lo, s18
	s_and_saveexec_b32 s18, s8
	s_cbranch_execnz .LBB98_128
.LBB98_44:                              ;   in Loop: Header=BB98_4 Depth=1
	s_wait_alu 0xfffe
	s_or_b32 exec_lo, exec_lo, s18
	s_and_saveexec_b32 s18, s9
	s_cbranch_execz .LBB98_46
.LBB98_45:                              ;   in Loop: Header=BB98_4 Depth=1
	ds_load_b64 v[2:3], v168 offset:528
	s_wait_dscnt 0x0
	ds_store_b64 v103, v[2:3] offset:24
.LBB98_46:                              ;   in Loop: Header=BB98_4 Depth=1
	s_wait_alu 0xfffe
	s_or_b32 exec_lo, exec_lo, s18
	s_wait_loadcnt_dscnt 0x0
	s_barrier_signal -1
	s_barrier_wait -1
	global_inv scope:SCOPE_SE
	ds_load_b64 v[10:11], v167
	ds_load_b128 v[2:5], v104 offset:256
	ds_load_b128 v[6:9], v104 offset:272
	ds_load_b64 v[18:19], v168 offset:528
	ds_load_2addr_b64 v[14:17], v168 offset1:33
	s_wait_loadcnt_dscnt 0x0
	s_barrier_signal -1
	s_barrier_wait -1
	global_inv scope:SCOPE_SE
	v_fma_f64 v[2:3], v[10:11], v[2:3], 0
	s_delay_alu instid0(VALU_DEP_1) | instskip(NEXT) | instid1(VALU_DEP_1)
	v_fma_f64 v[2:3], v[14:15], v[4:5], v[2:3]
	v_fma_f64 v[2:3], v[16:17], v[6:7], v[2:3]
	s_delay_alu instid0(VALU_DEP_1)
	v_fma_f64 v[2:3], v[18:19], v[8:9], v[2:3]
	ds_store_b64 v105, v[2:3]
	s_wait_loadcnt_dscnt 0x0
	s_barrier_signal -1
	s_barrier_wait -1
	global_inv scope:SCOPE_SE
	s_and_saveexec_b32 s18, s16
	s_cbranch_execz .LBB98_48
; %bb.47:                               ;   in Loop: Header=BB98_4 Depth=1
	ds_load_2addr_b64 v[2:5], v102 offset1:1
	ds_load_2addr_b64 v[6:9], v102 offset0:2 offset1:3
	s_wait_dscnt 0x1
	v_add_f64_e32 v[2:3], v[2:3], v[4:5]
	s_wait_dscnt 0x0
	s_delay_alu instid0(VALU_DEP_1) | instskip(NEXT) | instid1(VALU_DEP_1)
	v_add_f64_e32 v[2:3], v[2:3], v[6:7]
	v_add_f64_e32 v[10:11], v[2:3], v[8:9]
	ds_load_2addr_b64 v[2:5], v102 offset0:4 offset1:5
	ds_load_2addr_b64 v[6:9], v102 offset0:6 offset1:7
	s_wait_dscnt 0x1
	v_add_f64_e32 v[2:3], v[10:11], v[2:3]
	s_delay_alu instid0(VALU_DEP_1) | instskip(SKIP_1) | instid1(VALU_DEP_1)
	v_add_f64_e32 v[2:3], v[2:3], v[4:5]
	s_wait_dscnt 0x0
	v_add_f64_e32 v[2:3], v[2:3], v[6:7]
	s_delay_alu instid0(VALU_DEP_1)
	v_add_f64_e32 v[60:61], v[2:3], v[8:9]
.LBB98_48:                              ;   in Loop: Header=BB98_4 Depth=1
	s_wait_alu 0xfffe
	s_or_b32 exec_lo, exec_lo, s18
	v_add_co_u32 v2, vcc_lo, 0xffffff00, v0
	s_wait_alu 0xfffd
	v_add_co_ci_u32_e64 v3, null, -1, v1, vcc_lo
	s_and_b32 vcc_lo, exec_lo, s57
	s_mov_b32 s18, -1
	s_wait_loadcnt 0x0
	s_barrier_signal -1
	s_barrier_wait -1
	global_inv scope:SCOPE_SE
                                        ; implicit-def: $vgpr14_vgpr15
	s_wait_alu 0xfffe
	s_cbranch_vccz .LBB98_58
; %bb.49:                               ;   in Loop: Header=BB98_4 Depth=1
	v_add_co_u32 v4, vcc_lo, v0, v58
	s_wait_alu 0xfffd
	v_add_co_ci_u32_e64 v5, null, v1, v59, vcc_lo
	s_lshl_b64 s[18:19], s[26:27], 3
	v_mov_b32_e32 v8, 0
	s_wait_alu 0xfffe
	v_add_co_u32 v4, vcc_lo, v4, s18
	s_wait_alu 0xfffd
	v_add_co_ci_u32_e64 v5, null, s19, v5, vcc_lo
	v_dual_mov_b32 v9, 0 :: v_dual_mov_b32 v6, 0
	s_delay_alu instid0(VALU_DEP_3) | instskip(SKIP_1) | instid1(VALU_DEP_3)
	v_add_co_u32 v4, vcc_lo, 0xfffffef8, v4
	s_wait_alu 0xfffd
	v_add_co_ci_u32_e64 v5, null, -1, v5, vcc_lo
	v_mov_b32_e32 v7, 0
	s_delay_alu instid0(VALU_DEP_3) | instskip(NEXT) | instid1(VALU_DEP_3)
	v_cndmask_b32_e64 v4, v4, v2, s1
	v_cndmask_b32_e64 v5, v5, v3, s1
	s_and_saveexec_b32 s18, s12
	s_cbranch_execz .LBB98_51
; %bb.50:                               ;   in Loop: Header=BB98_4 Depth=1
	global_load_b64 v[6:7], v[4:5], off
.LBB98_51:                              ;   in Loop: Header=BB98_4 Depth=1
	s_wait_alu 0xfffe
	s_or_b32 exec_lo, exec_lo, s18
	s_wait_loadcnt 0x0
	ds_store_b64 v165, v[6:7]
	s_and_saveexec_b32 s18, s13
	s_cbranch_execz .LBB98_53
; %bb.52:                               ;   in Loop: Header=BB98_4 Depth=1
	v_add_co_u32 v6, vcc_lo, v4, s40
	s_wait_alu 0xfffd
	v_add_co_ci_u32_e64 v7, null, s41, v5, vcc_lo
	global_load_b64 v[8:9], v[6:7], off
.LBB98_53:                              ;   in Loop: Header=BB98_4 Depth=1
	s_wait_alu 0xfffe
	s_or_b32 exec_lo, exec_lo, s18
	v_mov_b32_e32 v6, 0
	v_dual_mov_b32 v7, 0 :: v_dual_mov_b32 v10, 0
	v_mov_b32_e32 v11, 0
	s_wait_loadcnt 0x0
	ds_store_b64 v165, v[8:9] offset:2112
	s_and_saveexec_b32 s18, s14
	s_cbranch_execz .LBB98_55
; %bb.54:                               ;   in Loop: Header=BB98_4 Depth=1
	v_add_co_u32 v8, vcc_lo, v4, s42
	s_wait_alu 0xfffd
	v_add_co_ci_u32_e64 v9, null, s43, v5, vcc_lo
	global_load_b64 v[10:11], v[8:9], off
.LBB98_55:                              ;   in Loop: Header=BB98_4 Depth=1
	s_wait_alu 0xfffe
	s_or_b32 exec_lo, exec_lo, s18
	s_wait_loadcnt 0x0
	ds_store_b64 v165, v[10:11] offset:4224
	s_and_saveexec_b32 s18, s15
	s_cbranch_execz .LBB98_57
; %bb.56:                               ;   in Loop: Header=BB98_4 Depth=1
	v_add_co_u32 v6, vcc_lo, v4, s44
	s_wait_alu 0xfffd
	v_add_co_ci_u32_e64 v7, null, s45, v5, vcc_lo
	global_load_b64 v[6:7], v[6:7], off
.LBB98_57:                              ;   in Loop: Header=BB98_4 Depth=1
	s_wait_alu 0xfffe
	s_or_b32 exec_lo, exec_lo, s18
	v_add_co_u32 v4, vcc_lo, v4, v166
	s_wait_alu 0xfffd
	v_add_co_ci_u32_e64 v5, null, 0, v5, vcc_lo
	s_lshl_b64 s[18:19], s[46:47], 3
	s_wait_loadcnt 0x0
	ds_store_b64 v165, v[6:7] offset:6336
	s_wait_alu 0xfffe
	v_add_co_u32 v4, vcc_lo, v4, s18
	s_wait_alu 0xfffd
	v_add_co_ci_u32_e64 v5, null, s19, v5, vcc_lo
	s_mov_b32 s18, 0
	v_add_co_u32 v4, vcc_lo, v4, 8
	s_wait_alu 0xfffd
	v_add_co_ci_u32_e64 v5, null, 0, v5, vcc_lo
	s_delay_alu instid0(VALU_DEP_2) | instskip(NEXT) | instid1(VALU_DEP_2)
	v_cndmask_b32_e64 v14, v4, v2, s1
	v_cndmask_b32_e64 v15, v5, v3, s1
.LBB98_58:                              ;   in Loop: Header=BB98_4 Depth=1
	s_wait_alu 0xfffe
	s_and_b32 vcc_lo, exec_lo, s18
	s_wait_alu 0xfffe
	s_cbranch_vccz .LBB98_60
; %bb.59:                               ;   in Loop: Header=BB98_4 Depth=1
	v_add_co_u32 v4, vcc_lo, v0, s40
	s_wait_alu 0xfffd
	v_add_co_ci_u32_e64 v5, null, s41, v1, vcc_lo
	v_dual_mov_b32 v15, v3 :: v_dual_mov_b32 v14, v2
	s_delay_alu instid0(VALU_DEP_3) | instskip(SKIP_1) | instid1(VALU_DEP_3)
	v_add_co_u32 v6, vcc_lo, v4, s40
	s_wait_alu 0xfffd
	v_add_co_ci_u32_e64 v7, null, s41, v5, vcc_lo
	s_delay_alu instid0(VALU_DEP_2) | instskip(SKIP_1) | instid1(VALU_DEP_2)
	v_add_co_u32 v8, vcc_lo, v6, s40
	s_wait_alu 0xfffd
	v_add_co_ci_u32_e64 v9, null, s41, v7, vcc_lo
	s_clause 0x3
	global_load_b64 v[0:1], v[0:1], off offset:-256
	global_load_b64 v[4:5], v[4:5], off offset:-256
	;; [unrolled: 1-line block ×4, first 2 shown]
	s_wait_loadcnt 0x3
	ds_store_b64 v165, v[0:1]
	s_wait_loadcnt 0x2
	ds_store_b64 v165, v[4:5] offset:2112
	s_wait_loadcnt 0x1
	ds_store_b64 v165, v[6:7] offset:4224
	;; [unrolled: 2-line block ×3, first 2 shown]
.LBB98_60:                              ;   in Loop: Header=BB98_4 Depth=1
	v_add_nc_u32_e32 v0, v103, v106
	v_add_nc_u32_e32 v2, v104, v106
	s_wait_loadcnt_dscnt 0x0
	s_barrier_signal -1
	s_barrier_wait -1
	global_inv scope:SCOPE_SE
	ds_load_b64 v[0:1], v0
	ds_load_b64 v[2:3], v2
	ds_load_b64 v[8:9], v131 offset:192
	s_wait_dscnt 0x1
	v_fma_f64 v[10:11], v[0:1], v[2:3], 0
	ds_load_2addr_b64 v[0:3], v130 offset0:8 offset1:16
	ds_load_2addr_b64 v[4:7], v131 offset0:8 offset1:16
	s_wait_dscnt 0x0
	v_fma_f64 v[0:1], v[0:1], v[4:5], v[10:11]
	s_delay_alu instid0(VALU_DEP_1)
	v_fma_f64 v[0:1], v[2:3], v[6:7], v[0:1]
	ds_load_b64 v[2:3], v130 offset:192
	s_wait_dscnt 0x0
	v_fma_f64 v[20:21], v[2:3], v[8:9], v[0:1]
	ds_load_b128 v[8:11], v104 offset:256
	ds_load_b128 v[0:3], v104 offset:272
	ds_load_2addr_b64 v[4:7], v168 offset1:33
	ds_load_b64 v[18:19], v167
	ds_load_b64 v[16:17], v168 offset:528
	s_wait_loadcnt_dscnt 0x0
	s_barrier_signal -1
	s_barrier_wait -1
	global_inv scope:SCOPE_SE
	ds_store_b64 v105, v[20:21]
	s_wait_loadcnt_dscnt 0x0
	s_barrier_signal -1
	s_barrier_wait -1
	global_inv scope:SCOPE_SE
	s_and_saveexec_b32 s18, s16
	s_cbranch_execz .LBB98_62
; %bb.61:                               ;   in Loop: Header=BB98_4 Depth=1
	ds_load_2addr_b64 v[20:23], v102 offset1:1
	ds_load_2addr_b64 v[24:27], v102 offset0:2 offset1:3
	s_wait_dscnt 0x1
	v_add_f64_e32 v[20:21], v[60:61], v[20:21]
	s_delay_alu instid0(VALU_DEP_1) | instskip(SKIP_1) | instid1(VALU_DEP_1)
	v_add_f64_e32 v[20:21], v[20:21], v[22:23]
	s_wait_dscnt 0x0
	v_add_f64_e32 v[20:21], v[20:21], v[24:25]
	s_delay_alu instid0(VALU_DEP_1) | instskip(SKIP_4) | instid1(VALU_DEP_1)
	v_add_f64_e32 v[28:29], v[20:21], v[26:27]
	ds_load_2addr_b64 v[20:23], v102 offset0:4 offset1:5
	ds_load_2addr_b64 v[24:27], v102 offset0:6 offset1:7
	s_wait_dscnt 0x1
	v_add_f64_e32 v[20:21], v[28:29], v[20:21]
	v_add_f64_e32 v[20:21], v[20:21], v[22:23]
	s_wait_dscnt 0x0
	s_delay_alu instid0(VALU_DEP_1) | instskip(NEXT) | instid1(VALU_DEP_1)
	v_add_f64_e32 v[20:21], v[20:21], v[24:25]
	v_add_f64_e32 v[60:61], v[20:21], v[26:27]
.LBB98_62:                              ;   in Loop: Header=BB98_4 Depth=1
	s_wait_alu 0xfffe
	s_or_b32 exec_lo, exec_lo, s18
	v_fma_f64 v[8:9], v[18:19], v[8:9], 0
	s_wait_loadcnt 0x0
	s_barrier_signal -1
	s_barrier_wait -1
	global_inv scope:SCOPE_SE
	v_fma_f64 v[4:5], v[4:5], v[10:11], v[8:9]
	s_delay_alu instid0(VALU_DEP_1) | instskip(NEXT) | instid1(VALU_DEP_1)
	v_fma_f64 v[0:1], v[6:7], v[0:1], v[4:5]
	v_fma_f64 v[0:1], v[16:17], v[2:3], v[0:1]
	ds_store_b64 v105, v[0:1]
	s_wait_loadcnt_dscnt 0x0
	s_barrier_signal -1
	s_barrier_wait -1
	global_inv scope:SCOPE_SE
	s_and_saveexec_b32 s18, s10
	s_cbranch_execz .LBB98_64
; %bb.63:                               ;   in Loop: Header=BB98_4 Depth=1
	ds_load_2addr_b64 v[0:3], v102 offset1:1
	ds_load_2addr_b64 v[4:7], v102 offset0:2 offset1:3
	s_wait_dscnt 0x1
	v_add_f64_e32 v[0:1], v[60:61], v[0:1]
	s_delay_alu instid0(VALU_DEP_1) | instskip(SKIP_1) | instid1(VALU_DEP_1)
	v_add_f64_e32 v[0:1], v[0:1], v[2:3]
	s_wait_dscnt 0x0
	v_add_f64_e32 v[0:1], v[0:1], v[4:5]
	s_delay_alu instid0(VALU_DEP_1) | instskip(SKIP_4) | instid1(VALU_DEP_1)
	v_add_f64_e32 v[8:9], v[0:1], v[6:7]
	ds_load_2addr_b64 v[0:3], v102 offset0:4 offset1:5
	ds_load_2addr_b64 v[4:7], v102 offset0:6 offset1:7
	s_wait_dscnt 0x1
	v_add_f64_e32 v[0:1], v[8:9], v[0:1]
	v_add_f64_e32 v[0:1], v[0:1], v[2:3]
	s_wait_dscnt 0x0
	s_delay_alu instid0(VALU_DEP_1) | instskip(NEXT) | instid1(VALU_DEP_1)
	v_add_f64_e32 v[0:1], v[0:1], v[4:5]
	v_add_f64_e32 v[60:61], v[0:1], v[6:7]
.LBB98_64:                              ;   in Loop: Header=BB98_4 Depth=1
	s_wait_alu 0xfffe
	s_or_b32 exec_lo, exec_lo, s18
	s_mul_u64 s[18:19], s[24:25], s[34:35]
	s_and_not1_b32 vcc_lo, exec_lo, s59
	s_wait_alu 0xfffe
	s_lshl_b64 s[18:19], s[18:19], 3
	s_wait_loadcnt 0x0
	s_wait_alu 0xfffe
	s_add_nc_u64 s[52:53], s[38:39], s[18:19]
	s_barrier_signal -1
	s_barrier_wait -1
	global_inv scope:SCOPE_SE
	s_cbranch_vccnz .LBB98_121
; %bb.65:                               ;   in Loop: Header=BB98_4 Depth=1
	v_add_co_u32 v169, vcc_lo, v12, s50
	s_wait_alu 0xfffd
	v_add_co_ci_u32_e64 v170, null, s51, v13, vcc_lo
	v_add_co_u32 v171, vcc_lo, v14, v132
	s_wait_alu 0xfffd
	v_add_co_ci_u32_e64 v172, null, v15, v133, vcc_lo
	;; [unrolled: 3-line block ×17, first 2 shown]
	s_mov_b32 s19, ttmp9
	s_mov_b32 s54, s62
	s_wait_alu 0xfffe
	s_cmp_eq_u32 s60, s19
	s_cselect_b32 s63, s37, 0
	s_and_saveexec_b32 s18, s0
	s_cbranch_execz .LBB98_69
.LBB98_66:                              ;   in Loop: Header=BB98_4 Depth=1
	s_wait_alu 0xfffe
	v_cmp_gt_i32_e32 vcc_lo, s63, v94
	s_cmp_eq_u32 s63, 0
	v_mov_b32_e32 v0, 0
	v_mov_b32_e32 v1, 0
	s_cselect_b32 s55, -1, 0
	s_wait_alu 0xfffe
	s_or_b32 s55, s55, vcc_lo
	s_wait_alu 0xfffe
	s_and_saveexec_b32 s64, s55
	s_cbranch_execz .LBB98_68
; %bb.67:                               ;   in Loop: Header=BB98_4 Depth=1
	s_ashr_i32 s55, s54, 31
	s_wait_alu 0xfffe
	s_mul_u64 s[66:67], s[28:29], s[54:55]
	s_wait_alu 0xfffe
	s_lshl_b64 s[66:67], s[66:67], 3
	s_wait_alu 0xfffe
	v_add_co_u32 v0, vcc_lo, v169, s66
	s_wait_alu 0xfffd
	v_add_co_ci_u32_e64 v1, null, s67, v170, vcc_lo
	global_load_b64 v[0:1], v[0:1], off
.LBB98_68:                              ;   in Loop: Header=BB98_4 Depth=1
	s_or_b32 exec_lo, exec_lo, s64
	s_wait_loadcnt 0x0
	ds_store_b64 v108, v[0:1]
.LBB98_69:                              ;   Parent Loop BB98_4 Depth=1
                                        ; =>  This Inner Loop Header: Depth=2
	s_wait_alu 0xfffe
	s_or_b32 exec_lo, exec_lo, s18
	s_cmp_eq_u32 s63, 0
	v_add_co_u32 v0, vcc_lo, v171, v95
	s_cselect_b32 s55, -1, 0
	s_cmp_lg_u32 s63, 0
	s_wait_alu 0xfffd
	v_add_co_ci_u32_e64 v1, null, 0, v172, vcc_lo
	s_cselect_b32 s18, -1, 0
	s_mov_b32 s64, -1
	s_wait_alu 0xfffe
	s_and_b32 vcc_lo, exec_lo, s18
	s_wait_loadcnt_dscnt 0x0
	s_barrier_signal -1
	s_barrier_wait -1
	global_inv scope:SCOPE_SE
                                        ; implicit-def: $vgpr68_vgpr69
                                        ; implicit-def: $vgpr66_vgpr67
                                        ; implicit-def: $vgpr64_vgpr65
                                        ; implicit-def: $vgpr62_vgpr63
	s_wait_alu 0xfffe
	s_cbranch_vccz .LBB98_79
; %bb.70:                               ;   in Loop: Header=BB98_69 Depth=2
	v_mov_b32_e32 v64, 0
	v_dual_mov_b32 v65, 0 :: v_dual_mov_b32 v62, 0
	v_mov_b32_e32 v63, 0
	s_mov_b32 s64, exec_lo
	v_cmpx_gt_i32_e64 s63, v107
	s_cbranch_execz .LBB98_72
; %bb.71:                               ;   in Loop: Header=BB98_69 Depth=2
	global_load_b64 v[62:63], v[0:1], off
.LBB98_72:                              ;   in Loop: Header=BB98_69 Depth=2
	s_or_b32 exec_lo, exec_lo, s64
	s_delay_alu instid0(SALU_CYCLE_1)
	s_mov_b32 s64, exec_lo
	v_cmpx_gt_i32_e64 s63, v114
	s_cbranch_execz .LBB98_74
; %bb.73:                               ;   in Loop: Header=BB98_69 Depth=2
	v_add_co_u32 v2, vcc_lo, v177, v95
	s_wait_alu 0xfffd
	v_add_co_ci_u32_e64 v3, null, 0, v178, vcc_lo
	global_load_b64 v[64:65], v[2:3], off
.LBB98_74:                              ;   in Loop: Header=BB98_69 Depth=2
	s_or_b32 exec_lo, exec_lo, s64
	v_mov_b32_e32 v68, 0
	v_dual_mov_b32 v69, 0 :: v_dual_mov_b32 v66, 0
	v_mov_b32_e32 v67, 0
	s_mov_b32 s64, exec_lo
	v_cmpx_gt_i32_e64 s63, v115
	s_cbranch_execz .LBB98_76
; %bb.75:                               ;   in Loop: Header=BB98_69 Depth=2
	v_add_co_u32 v2, vcc_lo, v173, v95
	s_wait_alu 0xfffd
	v_add_co_ci_u32_e64 v3, null, 0, v174, vcc_lo
	global_load_b64 v[66:67], v[2:3], off
.LBB98_76:                              ;   in Loop: Header=BB98_69 Depth=2
	s_or_b32 exec_lo, exec_lo, s64
	s_delay_alu instid0(SALU_CYCLE_1)
	s_mov_b32 s64, exec_lo
	v_cmpx_gt_i32_e64 s63, v116
	s_cbranch_execz .LBB98_78
; %bb.77:                               ;   in Loop: Header=BB98_69 Depth=2
	v_add_co_u32 v2, vcc_lo, v175, v95
	s_wait_alu 0xfffd
	v_add_co_ci_u32_e64 v3, null, 0, v176, vcc_lo
	global_load_b64 v[68:69], v[2:3], off
.LBB98_78:                              ;   in Loop: Header=BB98_69 Depth=2
	s_or_b32 exec_lo, exec_lo, s64
	s_mov_b32 s64, 0
.LBB98_79:                              ;   in Loop: Header=BB98_69 Depth=2
	s_delay_alu instid0(SALU_CYCLE_1)
	s_and_b32 vcc_lo, exec_lo, s64
	s_wait_alu 0xfffe
	s_cbranch_vccz .LBB98_81
; %bb.80:                               ;   in Loop: Header=BB98_69 Depth=2
	v_add_co_u32 v2, vcc_lo, v177, v95
	s_wait_alu 0xfffd
	v_add_co_ci_u32_e64 v3, null, 0, v178, vcc_lo
	v_add_co_u32 v4, vcc_lo, v173, v95
	s_wait_alu 0xfffd
	v_add_co_ci_u32_e64 v5, null, 0, v174, vcc_lo
	;; [unrolled: 3-line block ×3, first 2 shown]
	s_wait_loadcnt 0x0
	global_load_b64 v[62:63], v[0:1], off
	global_load_b64 v[64:65], v[2:3], off
	;; [unrolled: 1-line block ×4, first 2 shown]
.LBB98_81:                              ;   in Loop: Header=BB98_69 Depth=2
	ds_load_b64 v[4:5], v96
	ds_load_b128 v[0:3], v109
	v_add_co_u32 v16, vcc_lo, v179, v95
	v_cndmask_b32_e64 v44, 0, 1, s18
	s_wait_alu 0xfffd
	v_add_co_ci_u32_e64 v17, null, 0, v180, vcc_lo
	s_and_not1_b32 vcc_lo, exec_lo, s18
	s_mov_b32 s18, -1
                                        ; implicit-def: $vgpr76_vgpr77
                                        ; implicit-def: $vgpr74_vgpr75
                                        ; implicit-def: $vgpr72_vgpr73
                                        ; implicit-def: $vgpr70_vgpr71
	s_wait_loadcnt_dscnt 0x1
	v_mul_f64_e32 v[8:9], v[62:63], v[4:5]
	v_mul_f64_e32 v[10:11], v[64:65], v[4:5]
	;; [unrolled: 1-line block ×4, first 2 shown]
	ds_load_b128 v[4:7], v109 offset:16
	ds_store_2addr_b64 v110, v[8:9], v[10:11] offset1:67
	ds_store_2addr_b64 v110, v[12:13], v[14:15] offset0:134 offset1:201
	s_wait_dscnt 0x0
	s_barrier_signal -1
	s_barrier_wait -1
	global_inv scope:SCOPE_SE
	ds_load_2addr_b64 v[12:15], v111 offset1:1
	ds_load_2addr_b64 v[8:11], v111 offset0:2 offset1:3
	s_wait_loadcnt_dscnt 0x0
	s_barrier_signal -1
	s_barrier_wait -1
	global_inv scope:SCOPE_SE
	s_wait_alu 0xfffe
	s_cbranch_vccnz .LBB98_91
; %bb.82:                               ;   in Loop: Header=BB98_69 Depth=2
	v_mov_b32_e32 v72, 0
	v_dual_mov_b32 v73, 0 :: v_dual_mov_b32 v70, 0
	v_mov_b32_e32 v71, 0
	s_mov_b32 s18, exec_lo
	v_cmpx_gt_i32_e64 s63, v117
	s_cbranch_execz .LBB98_84
; %bb.83:                               ;   in Loop: Header=BB98_69 Depth=2
	global_load_b64 v[70:71], v[16:17], off
.LBB98_84:                              ;   in Loop: Header=BB98_69 Depth=2
	s_wait_alu 0xfffe
	s_or_b32 exec_lo, exec_lo, s18
	s_delay_alu instid0(SALU_CYCLE_1)
	s_mov_b32 s18, exec_lo
	v_cmpx_gt_i32_e64 s63, v118
	s_cbranch_execz .LBB98_86
; %bb.85:                               ;   in Loop: Header=BB98_69 Depth=2
	v_add_co_u32 v18, vcc_lo, v181, v95
	s_wait_alu 0xfffd
	v_add_co_ci_u32_e64 v19, null, 0, v182, vcc_lo
	global_load_b64 v[72:73], v[18:19], off
.LBB98_86:                              ;   in Loop: Header=BB98_69 Depth=2
	s_wait_alu 0xfffe
	s_or_b32 exec_lo, exec_lo, s18
	v_mov_b32_e32 v76, 0
	v_dual_mov_b32 v77, 0 :: v_dual_mov_b32 v74, 0
	v_mov_b32_e32 v75, 0
	s_mov_b32 s18, exec_lo
	v_cmpx_gt_i32_e64 s63, v119
	s_cbranch_execz .LBB98_88
; %bb.87:                               ;   in Loop: Header=BB98_69 Depth=2
	v_add_co_u32 v18, vcc_lo, v183, v95
	s_wait_alu 0xfffd
	v_add_co_ci_u32_e64 v19, null, 0, v184, vcc_lo
	global_load_b64 v[74:75], v[18:19], off
.LBB98_88:                              ;   in Loop: Header=BB98_69 Depth=2
	s_wait_alu 0xfffe
	s_or_b32 exec_lo, exec_lo, s18
	s_delay_alu instid0(SALU_CYCLE_1)
	s_mov_b32 s18, exec_lo
	v_cmpx_gt_i32_e64 s63, v120
	s_cbranch_execz .LBB98_90
; %bb.89:                               ;   in Loop: Header=BB98_69 Depth=2
	v_add_co_u32 v18, vcc_lo, v185, v95
	s_wait_alu 0xfffd
	v_add_co_ci_u32_e64 v19, null, 0, v186, vcc_lo
	global_load_b64 v[76:77], v[18:19], off
.LBB98_90:                              ;   in Loop: Header=BB98_69 Depth=2
	s_wait_alu 0xfffe
	s_or_b32 exec_lo, exec_lo, s18
	s_mov_b32 s18, 0
.LBB98_91:                              ;   in Loop: Header=BB98_69 Depth=2
	s_wait_alu 0xfffe
	s_and_b32 vcc_lo, exec_lo, s18
	s_wait_alu 0xfffe
	s_cbranch_vccz .LBB98_93
; %bb.92:                               ;   in Loop: Header=BB98_69 Depth=2
	v_add_co_u32 v18, vcc_lo, v181, v95
	s_wait_alu 0xfffd
	v_add_co_ci_u32_e64 v19, null, 0, v182, vcc_lo
	v_add_co_u32 v20, vcc_lo, v183, v95
	s_wait_alu 0xfffd
	v_add_co_ci_u32_e64 v21, null, 0, v184, vcc_lo
	;; [unrolled: 3-line block ×3, first 2 shown]
	s_wait_loadcnt 0x0
	global_load_b64 v[70:71], v[16:17], off
	global_load_b64 v[72:73], v[18:19], off
	;; [unrolled: 1-line block ×4, first 2 shown]
.LBB98_93:                              ;   in Loop: Header=BB98_69 Depth=2
	ds_load_b64 v[20:21], v96
	ds_load_b128 v[16:19], v109 offset:128
	v_cmp_ne_u32_e32 vcc_lo, 1, v44
                                        ; implicit-def: $vgpr84_vgpr85
                                        ; implicit-def: $vgpr82_vgpr83
                                        ; implicit-def: $vgpr80_vgpr81
                                        ; implicit-def: $vgpr78_vgpr79
	s_and_b32 vcc_lo, exec_lo, vcc_lo
	s_wait_loadcnt_dscnt 0x1
	v_mul_f64_e32 v[24:25], v[70:71], v[20:21]
	v_mul_f64_e32 v[26:27], v[72:73], v[20:21]
	;; [unrolled: 1-line block ×4, first 2 shown]
	ds_load_b128 v[20:23], v109 offset:144
	ds_store_2addr_b64 v110, v[24:25], v[26:27] offset1:67
	ds_store_2addr_b64 v110, v[28:29], v[30:31] offset0:134 offset1:201
	s_wait_dscnt 0x0
	s_barrier_signal -1
	s_barrier_wait -1
	global_inv scope:SCOPE_SE
	ds_load_2addr_b64 v[32:35], v111 offset1:1
	ds_load_2addr_b64 v[24:27], v111 offset0:2 offset1:3
	v_add_co_u32 v28, s18, v187, v95
	s_wait_alu 0xf1ff
	v_add_co_ci_u32_e64 v29, null, 0, v188, s18
	s_mov_b32 s18, -1
	s_wait_loadcnt_dscnt 0x0
	s_barrier_signal -1
	s_barrier_wait -1
	global_inv scope:SCOPE_SE
	s_wait_alu 0xfffe
	s_cbranch_vccnz .LBB98_103
; %bb.94:                               ;   in Loop: Header=BB98_69 Depth=2
	v_mov_b32_e32 v80, 0
	v_dual_mov_b32 v81, 0 :: v_dual_mov_b32 v78, 0
	v_mov_b32_e32 v79, 0
	s_mov_b32 s18, exec_lo
	v_cmpx_gt_i32_e64 s63, v121
	s_cbranch_execz .LBB98_96
; %bb.95:                               ;   in Loop: Header=BB98_69 Depth=2
	global_load_b64 v[78:79], v[28:29], off
.LBB98_96:                              ;   in Loop: Header=BB98_69 Depth=2
	s_wait_alu 0xfffe
	s_or_b32 exec_lo, exec_lo, s18
	s_delay_alu instid0(SALU_CYCLE_1)
	s_mov_b32 s18, exec_lo
	v_cmpx_gt_i32_e64 s63, v122
	s_cbranch_execz .LBB98_98
; %bb.97:                               ;   in Loop: Header=BB98_69 Depth=2
	v_add_co_u32 v30, vcc_lo, v189, v95
	s_wait_alu 0xfffd
	v_add_co_ci_u32_e64 v31, null, 0, v190, vcc_lo
	global_load_b64 v[80:81], v[30:31], off
.LBB98_98:                              ;   in Loop: Header=BB98_69 Depth=2
	s_wait_alu 0xfffe
	s_or_b32 exec_lo, exec_lo, s18
	v_mov_b32_e32 v84, 0
	v_dual_mov_b32 v85, 0 :: v_dual_mov_b32 v82, 0
	v_mov_b32_e32 v83, 0
	s_mov_b32 s18, exec_lo
	v_cmpx_gt_i32_e64 s63, v123
	s_cbranch_execz .LBB98_100
; %bb.99:                               ;   in Loop: Header=BB98_69 Depth=2
	v_add_co_u32 v30, vcc_lo, v191, v95
	s_wait_alu 0xfffd
	v_add_co_ci_u32_e64 v31, null, 0, v192, vcc_lo
	global_load_b64 v[82:83], v[30:31], off
.LBB98_100:                             ;   in Loop: Header=BB98_69 Depth=2
	s_wait_alu 0xfffe
	s_or_b32 exec_lo, exec_lo, s18
	s_delay_alu instid0(SALU_CYCLE_1)
	s_mov_b32 s18, exec_lo
	v_cmpx_gt_i32_e64 s63, v124
	s_cbranch_execz .LBB98_102
; %bb.101:                              ;   in Loop: Header=BB98_69 Depth=2
	v_add_co_u32 v30, vcc_lo, v193, v95
	s_wait_alu 0xfffd
	v_add_co_ci_u32_e64 v31, null, 0, v194, vcc_lo
	global_load_b64 v[84:85], v[30:31], off
.LBB98_102:                             ;   in Loop: Header=BB98_69 Depth=2
	s_wait_alu 0xfffe
	s_or_b32 exec_lo, exec_lo, s18
	s_mov_b32 s18, 0
.LBB98_103:                             ;   in Loop: Header=BB98_69 Depth=2
	s_wait_alu 0xfffe
	s_and_b32 vcc_lo, exec_lo, s18
	s_wait_alu 0xfffe
	s_cbranch_vccz .LBB98_105
; %bb.104:                              ;   in Loop: Header=BB98_69 Depth=2
	v_add_co_u32 v30, vcc_lo, v189, v95
	s_wait_alu 0xfffd
	v_add_co_ci_u32_e64 v31, null, 0, v190, vcc_lo
	v_add_co_u32 v36, vcc_lo, v191, v95
	s_wait_alu 0xfffd
	v_add_co_ci_u32_e64 v37, null, 0, v192, vcc_lo
	;; [unrolled: 3-line block ×3, first 2 shown]
	s_wait_loadcnt 0x0
	global_load_b64 v[78:79], v[28:29], off
	global_load_b64 v[80:81], v[30:31], off
	;; [unrolled: 1-line block ×4, first 2 shown]
.LBB98_105:                             ;   in Loop: Header=BB98_69 Depth=2
	ds_load_b64 v[36:37], v96
	ds_load_b128 v[28:31], v109 offset:256
	v_cmp_ne_u32_e32 vcc_lo, 1, v44
	v_add_co_u32 v44, s18, v195, v95
                                        ; implicit-def: $vgpr88_vgpr89
                                        ; implicit-def: $vgpr92_vgpr93
                                        ; implicit-def: $vgpr90_vgpr91
                                        ; implicit-def: $vgpr86_vgpr87
	s_and_b32 vcc_lo, exec_lo, vcc_lo
	s_wait_loadcnt_dscnt 0x1
	v_mul_f64_e32 v[40:41], v[78:79], v[36:37]
	v_mul_f64_e32 v[42:43], v[80:81], v[36:37]
	;; [unrolled: 1-line block ×4, first 2 shown]
	ds_load_b128 v[36:39], v109 offset:272
	ds_store_2addr_b64 v110, v[40:41], v[42:43] offset1:67
	ds_store_2addr_b64 v110, v[45:46], v[47:48] offset0:134 offset1:201
	s_wait_dscnt 0x0
	s_barrier_signal -1
	s_barrier_wait -1
	global_inv scope:SCOPE_SE
	ds_load_2addr_b64 v[48:51], v111 offset1:1
	ds_load_2addr_b64 v[40:43], v111 offset0:2 offset1:3
	s_wait_alu 0xf1ff
	v_add_co_ci_u32_e64 v45, null, 0, v196, s18
	s_mov_b32 s18, -1
	s_wait_loadcnt_dscnt 0x0
	s_barrier_signal -1
	s_barrier_wait -1
	global_inv scope:SCOPE_SE
	s_wait_alu 0xfffe
	s_cbranch_vccnz .LBB98_115
; %bb.106:                              ;   in Loop: Header=BB98_69 Depth=2
	v_mov_b32_e32 v90, 0
	v_dual_mov_b32 v91, 0 :: v_dual_mov_b32 v86, 0
	v_mov_b32_e32 v87, 0
	s_mov_b32 s18, exec_lo
	v_cmpx_gt_i32_e64 s63, v125
	s_cbranch_execz .LBB98_108
; %bb.107:                              ;   in Loop: Header=BB98_69 Depth=2
	global_load_b64 v[86:87], v[44:45], off
.LBB98_108:                             ;   in Loop: Header=BB98_69 Depth=2
	s_wait_alu 0xfffe
	s_or_b32 exec_lo, exec_lo, s18
	s_delay_alu instid0(SALU_CYCLE_1)
	s_mov_b32 s18, exec_lo
	v_cmpx_gt_i32_e64 s63, v126
	s_cbranch_execz .LBB98_110
; %bb.109:                              ;   in Loop: Header=BB98_69 Depth=2
	v_add_co_u32 v46, vcc_lo, v197, v95
	s_wait_alu 0xfffd
	v_add_co_ci_u32_e64 v47, null, 0, v198, vcc_lo
	global_load_b64 v[90:91], v[46:47], off
.LBB98_110:                             ;   in Loop: Header=BB98_69 Depth=2
	s_wait_alu 0xfffe
	s_or_b32 exec_lo, exec_lo, s18
	v_mov_b32_e32 v88, 0
	v_dual_mov_b32 v89, 0 :: v_dual_mov_b32 v92, 0
	v_mov_b32_e32 v93, 0
	s_mov_b32 s18, exec_lo
	v_cmpx_gt_i32_e64 s63, v127
	s_cbranch_execz .LBB98_112
; %bb.111:                              ;   in Loop: Header=BB98_69 Depth=2
	v_add_co_u32 v46, vcc_lo, v199, v95
	s_wait_alu 0xfffd
	v_add_co_ci_u32_e64 v47, null, 0, v200, vcc_lo
	global_load_b64 v[92:93], v[46:47], off
.LBB98_112:                             ;   in Loop: Header=BB98_69 Depth=2
	s_wait_alu 0xfffe
	s_or_b32 exec_lo, exec_lo, s18
	s_delay_alu instid0(SALU_CYCLE_1)
	s_mov_b32 s18, exec_lo
	v_cmpx_gt_i32_e64 s63, v128
	s_cbranch_execz .LBB98_114
; %bb.113:                              ;   in Loop: Header=BB98_69 Depth=2
	v_add_co_u32 v46, vcc_lo, v201, v95
	s_wait_alu 0xfffd
	v_add_co_ci_u32_e64 v47, null, 0, v202, vcc_lo
	global_load_b64 v[88:89], v[46:47], off
.LBB98_114:                             ;   in Loop: Header=BB98_69 Depth=2
	s_wait_alu 0xfffe
	s_or_b32 exec_lo, exec_lo, s18
	s_mov_b32 s18, 0
.LBB98_115:                             ;   in Loop: Header=BB98_69 Depth=2
	s_wait_alu 0xfffe
	s_and_b32 vcc_lo, exec_lo, s18
	s_wait_alu 0xfffe
	s_cbranch_vccz .LBB98_117
; %bb.116:                              ;   in Loop: Header=BB98_69 Depth=2
	v_add_co_u32 v46, vcc_lo, v197, v95
	s_wait_alu 0xfffd
	v_add_co_ci_u32_e64 v47, null, 0, v198, vcc_lo
	v_add_co_u32 v52, vcc_lo, v199, v95
	s_wait_alu 0xfffd
	v_add_co_ci_u32_e64 v53, null, 0, v200, vcc_lo
	;; [unrolled: 3-line block ×3, first 2 shown]
	s_wait_loadcnt 0x0
	global_load_b64 v[86:87], v[44:45], off
	global_load_b64 v[90:91], v[46:47], off
	;; [unrolled: 1-line block ×4, first 2 shown]
.LBB98_117:                             ;   in Loop: Header=BB98_69 Depth=2
	ds_load_b64 v[44:45], v96
	ds_load_b128 v[52:55], v109 offset:384
	v_add_f64_e32 v[32:33], 0, v[32:33]
	v_add_f64_e32 v[12:13], 0, v[12:13]
	v_add_f64_e32 v[48:49], 0, v[48:49]
	v_cmp_gt_i32_e32 vcc_lo, s63, v94
	s_or_b32 s18, s55, vcc_lo
	s_wait_alu 0xfffe
	s_and_b32 s55, s17, s18
	s_wait_loadcnt_dscnt 0x1
	v_mul_f64_e32 v[203:204], v[86:87], v[44:45]
	v_mul_f64_e32 v[205:206], v[90:91], v[44:45]
	v_mul_f64_e32 v[207:208], v[92:93], v[44:45]
	v_mul_f64_e32 v[209:210], v[88:89], v[44:45]
	ds_load_b128 v[44:47], v109 offset:400
	ds_store_2addr_b64 v110, v[203:204], v[205:206] offset1:67
	ds_store_2addr_b64 v110, v[207:208], v[209:210] offset0:134 offset1:201
	s_wait_dscnt 0x0
	s_barrier_signal -1
	s_barrier_wait -1
	global_inv scope:SCOPE_SE
	ds_load_2addr_b64 v[203:206], v111 offset1:1
	ds_load_2addr_b64 v[207:210], v111 offset0:2 offset1:3
	v_add_f64_e32 v[32:33], v[32:33], v[34:35]
	v_add_f64_e32 v[12:13], v[12:13], v[14:15]
	;; [unrolled: 1-line block ×3, first 2 shown]
	s_wait_loadcnt_dscnt 0x0
	s_barrier_signal -1
	s_barrier_wait -1
	global_inv scope:SCOPE_SE
	v_add_f64_e32 v[203:204], 0, v[203:204]
	v_add_f64_e32 v[24:25], v[32:33], v[24:25]
	v_add_f64_e32 v[8:9], v[12:13], v[8:9]
	v_add_f64_e32 v[34:35], v[48:49], v[40:41]
	s_delay_alu instid0(VALU_DEP_4) | instskip(NEXT) | instid1(VALU_DEP_4)
	v_add_f64_e32 v[14:15], v[203:204], v[205:206]
	v_add_f64_e32 v[24:25], v[24:25], v[26:27]
	s_delay_alu instid0(VALU_DEP_4) | instskip(NEXT) | instid1(VALU_DEP_3)
	v_add_f64_e32 v[8:9], v[8:9], v[10:11]
	v_add_f64_e32 v[12:13], v[14:15], v[207:208]
	;; [unrolled: 1-line block ×3, first 2 shown]
	s_delay_alu instid0(VALU_DEP_2)
	v_add_f64_e32 v[10:11], v[12:13], v[209:210]
	ds_store_2addr_b64 v164, v[8:9], v[24:25] offset1:16
	ds_store_2addr_b64 v164, v[14:15], v[10:11] offset0:32 offset1:48
	s_wait_loadcnt_dscnt 0x0
	s_barrier_signal -1
	s_barrier_wait -1
	global_inv scope:SCOPE_SE
	s_wait_alu 0xfffe
	s_and_saveexec_b32 s18, s55
	s_cbranch_execz .LBB98_119
; %bb.118:                              ;   in Loop: Header=BB98_69 Depth=2
	ds_load_2addr_b64 v[8:11], v112 offset1:1
	ds_load_2addr_b64 v[12:15], v112 offset0:2 offset1:3
	s_wait_dscnt 0x1
	v_add_f64_e32 v[8:9], v[8:9], v[10:11]
	s_wait_dscnt 0x0
	s_delay_alu instid0(VALU_DEP_1) | instskip(NEXT) | instid1(VALU_DEP_1)
	v_add_f64_e32 v[8:9], v[8:9], v[12:13]
	v_add_f64_e32 v[24:25], v[8:9], v[14:15]
	ds_load_2addr_b64 v[8:11], v112 offset0:4 offset1:5
	ds_load_2addr_b64 v[12:15], v112 offset0:6 offset1:7
	s_wait_dscnt 0x1
	v_add_f64_e32 v[8:9], v[24:25], v[8:9]
	s_delay_alu instid0(VALU_DEP_1) | instskip(SKIP_1) | instid1(VALU_DEP_1)
	v_add_f64_e32 v[8:9], v[8:9], v[10:11]
	s_wait_dscnt 0x0
	v_add_f64_e32 v[8:9], v[8:9], v[12:13]
	s_delay_alu instid0(VALU_DEP_1) | instskip(SKIP_4) | instid1(VALU_DEP_1)
	v_add_f64_e32 v[24:25], v[8:9], v[14:15]
	ds_load_2addr_b64 v[8:11], v112 offset0:8 offset1:9
	ds_load_2addr_b64 v[12:15], v112 offset0:10 offset1:11
	s_wait_dscnt 0x1
	v_add_f64_e32 v[8:9], v[24:25], v[8:9]
	v_add_f64_e32 v[8:9], v[8:9], v[10:11]
	s_wait_dscnt 0x0
	s_delay_alu instid0(VALU_DEP_1) | instskip(NEXT) | instid1(VALU_DEP_1)
	v_add_f64_e32 v[8:9], v[8:9], v[12:13]
	v_add_f64_e32 v[12:13], v[8:9], v[14:15]
	ds_load_2addr_b64 v[8:11], v112 offset0:12 offset1:13
	ds_load_b64 v[14:15], v112 offset:112
	s_wait_dscnt 0x1
	v_add_f64_e32 v[8:9], v[12:13], v[8:9]
	s_delay_alu instid0(VALU_DEP_1) | instskip(SKIP_4) | instid1(VALU_DEP_1)
	v_add_f64_e32 v[8:9], v[8:9], v[10:11]
	ds_load_b64 v[10:11], v113
	s_wait_dscnt 0x1
	v_add_f64_e32 v[8:9], v[8:9], v[14:15]
	s_wait_dscnt 0x0
	v_add_f64_e32 v[8:9], v[8:9], v[10:11]
	v_add_nc_u32_e32 v10, s54, v94
	s_delay_alu instid0(VALU_DEP_1) | instskip(NEXT) | instid1(VALU_DEP_1)
	v_ashrrev_i32_e32 v11, 31, v10
	v_lshlrev_b64_e32 v[10:11], 3, v[10:11]
	s_delay_alu instid0(VALU_DEP_1) | instskip(SKIP_1) | instid1(VALU_DEP_2)
	v_add_co_u32 v10, vcc_lo, s52, v10
	s_wait_alu 0xfffd
	v_add_co_ci_u32_e64 v11, null, s53, v11, vcc_lo
	global_store_b64 v[10:11], v[8:9], off
.LBB98_119:                             ;   in Loop: Header=BB98_69 Depth=2
	s_wait_alu 0xfffe
	s_or_b32 exec_lo, exec_lo, s18
	v_fma_f64 v[0:1], v[62:63], v[0:1], v[60:61]
	v_add_co_u32 v171, vcc_lo, v171, s20
	s_wait_alu 0xfffd
	v_add_co_ci_u32_e64 v172, null, s21, v172, vcc_lo
	v_add_co_u32 v173, vcc_lo, v173, s20
	s_wait_alu 0xfffd
	v_add_co_ci_u32_e64 v174, null, s21, v174, vcc_lo
	;; [unrolled: 3-line block ×9, first 2 shown]
	v_add_co_u32 v189, vcc_lo, v189, s20
	v_fma_f64 v[0:1], v[64:65], v[2:3], v[0:1]
	s_wait_alu 0xfffd
	v_add_co_ci_u32_e64 v190, null, s21, v190, vcc_lo
	v_add_co_u32 v191, vcc_lo, v191, s20
	s_wait_alu 0xfffd
	v_add_co_ci_u32_e64 v192, null, s21, v192, vcc_lo
	v_add_co_u32 v193, vcc_lo, v193, s20
	;; [unrolled: 3-line block ×6, first 2 shown]
	s_wait_alu 0xfffd
	v_add_co_ci_u32_e64 v202, null, s21, v202, vcc_lo
	s_add_co_i32 s18, s19, 1
	s_add_co_i32 s19, s19, 2
	;; [unrolled: 1-line block ×3, first 2 shown]
	s_wait_alu 0xfffe
	s_cmp_ge_u32 s19, s36
	s_wait_loadcnt 0x0
	s_wait_storecnt 0x0
	s_barrier_signal -1
	s_barrier_wait -1
	global_inv scope:SCOPE_SE
	v_fma_f64 v[0:1], v[66:67], v[4:5], v[0:1]
	s_delay_alu instid0(VALU_DEP_1) | instskip(NEXT) | instid1(VALU_DEP_1)
	v_fma_f64 v[0:1], v[68:69], v[6:7], v[0:1]
	v_fma_f64 v[0:1], v[70:71], v[16:17], v[0:1]
	s_delay_alu instid0(VALU_DEP_1) | instskip(NEXT) | instid1(VALU_DEP_1)
	v_fma_f64 v[0:1], v[72:73], v[18:19], v[0:1]
	;; [unrolled: 3-line block ×6, first 2 shown]
	v_fma_f64 v[0:1], v[92:93], v[44:45], v[0:1]
	s_delay_alu instid0(VALU_DEP_1)
	v_fma_f64 v[60:61], v[88:89], v[46:47], v[0:1]
	s_cbranch_scc1 .LBB98_121
; %bb.120:                              ;   in Loop: Header=BB98_69 Depth=2
	s_mov_b32 s19, s18
	s_wait_alu 0xfffe
	s_cmp_eq_u32 s60, s19
	s_cselect_b32 s63, s37, 0
	s_and_saveexec_b32 s18, s0
	s_cbranch_execnz .LBB98_66
	s_branch .LBB98_69
.LBB98_121:                             ;   in Loop: Header=BB98_4 Depth=1
	ds_store_b64 v129, v[60:61]
	s_wait_loadcnt_dscnt 0x0
	s_barrier_signal -1
	s_barrier_wait -1
	global_inv scope:SCOPE_SE
	s_and_saveexec_b32 s18, s61
	s_cbranch_execz .LBB98_2
; %bb.122:                              ;   in Loop: Header=BB98_4 Depth=1
	ds_load_2addr_b64 v[0:3], v95 offset1:67
	s_wait_dscnt 0x0
	v_add_f64_e32 v[4:5], v[0:1], v[2:3]
	ds_load_2addr_b64 v[0:3], v95 offset0:134 offset1:201
	s_wait_dscnt 0x0
	v_add_f64_e32 v[0:1], v[4:5], v[0:1]
	s_delay_alu instid0(VALU_DEP_1)
	v_add_f64_e32 v[0:1], v[0:1], v[2:3]
	s_wait_alu 0xfffe
	v_add_co_u32 v2, vcc_lo, s52, v56
	s_wait_alu 0xfffd
	v_add_co_ci_u32_e64 v3, null, s53, v57, vcc_lo
	global_store_b64 v[2:3], v[0:1], off
	s_branch .LBB98_2
.LBB98_123:                             ;   in Loop: Header=BB98_4 Depth=1
	ds_load_b64 v[2:3], v167
	s_wait_dscnt 0x0
	ds_store_b64 v103, v[2:3]
	s_wait_alu 0xfffe
	s_or_b32 exec_lo, exec_lo, s18
	s_and_saveexec_b32 s18, s7
	s_cbranch_execz .LBB98_24
.LBB98_124:                             ;   in Loop: Header=BB98_4 Depth=1
	ds_load_b64 v[2:3], v168
	s_wait_dscnt 0x0
	ds_store_b64 v103, v[2:3] offset:8
	s_wait_alu 0xfffe
	s_or_b32 exec_lo, exec_lo, s18
	s_and_saveexec_b32 s18, s8
	s_cbranch_execz .LBB98_25
.LBB98_125:                             ;   in Loop: Header=BB98_4 Depth=1
	ds_load_b64 v[2:3], v168 offset:264
	s_wait_dscnt 0x0
	ds_store_b64 v103, v[2:3] offset:16
	s_wait_alu 0xfffe
	s_or_b32 exec_lo, exec_lo, s18
	s_and_saveexec_b32 s18, s9
	s_cbranch_execnz .LBB98_26
	s_branch .LBB98_27
.LBB98_126:                             ;   in Loop: Header=BB98_4 Depth=1
	ds_load_b64 v[2:3], v167
	s_wait_dscnt 0x0
	ds_store_b64 v103, v[2:3]
	s_wait_alu 0xfffe
	s_or_b32 exec_lo, exec_lo, s18
	s_and_saveexec_b32 s18, s7
	s_cbranch_execz .LBB98_43
.LBB98_127:                             ;   in Loop: Header=BB98_4 Depth=1
	ds_load_b64 v[2:3], v168
	s_wait_dscnt 0x0
	ds_store_b64 v103, v[2:3] offset:8
	s_wait_alu 0xfffe
	s_or_b32 exec_lo, exec_lo, s18
	s_and_saveexec_b32 s18, s8
	s_cbranch_execz .LBB98_44
.LBB98_128:                             ;   in Loop: Header=BB98_4 Depth=1
	ds_load_b64 v[2:3], v168 offset:264
	s_wait_dscnt 0x0
	ds_store_b64 v103, v[2:3] offset:16
	s_wait_alu 0xfffe
	s_or_b32 exec_lo, exec_lo, s18
	s_and_saveexec_b32 s18, s9
	s_cbranch_execnz .LBB98_45
	s_branch .LBB98_46
.LBB98_129:
	s_nop 0
	s_sendmsg sendmsg(MSG_DEALLOC_VGPRS)
	s_endpgm
	.section	.rodata,"a",@progbits
	.p2align	6, 0x0
	.amdhsa_kernel _ZL26rocblas_hemvn_kernel_upperILb0ELi64ELi4ELi33ELi32ELi16EldPKdPdEviT6_lT7_lT5_lS4_lS5_lS3_lT8_i
		.amdhsa_group_segment_fixed_size 9600
		.amdhsa_private_segment_fixed_size 0
		.amdhsa_kernarg_size 376
		.amdhsa_user_sgpr_count 2
		.amdhsa_user_sgpr_dispatch_ptr 0
		.amdhsa_user_sgpr_queue_ptr 0
		.amdhsa_user_sgpr_kernarg_segment_ptr 1
		.amdhsa_user_sgpr_dispatch_id 0
		.amdhsa_user_sgpr_private_segment_size 0
		.amdhsa_wavefront_size32 1
		.amdhsa_uses_dynamic_stack 0
		.amdhsa_enable_private_segment 0
		.amdhsa_system_sgpr_workgroup_id_x 1
		.amdhsa_system_sgpr_workgroup_id_y 0
		.amdhsa_system_sgpr_workgroup_id_z 1
		.amdhsa_system_sgpr_workgroup_info 0
		.amdhsa_system_vgpr_workitem_id 1
		.amdhsa_next_free_vgpr 211
		.amdhsa_next_free_sgpr 68
		.amdhsa_reserve_vcc 1
		.amdhsa_float_round_mode_32 0
		.amdhsa_float_round_mode_16_64 0
		.amdhsa_float_denorm_mode_32 3
		.amdhsa_float_denorm_mode_16_64 3
		.amdhsa_fp16_overflow 0
		.amdhsa_workgroup_processor_mode 1
		.amdhsa_memory_ordered 1
		.amdhsa_forward_progress 1
		.amdhsa_inst_pref_size 75
		.amdhsa_round_robin_scheduling 0
		.amdhsa_exception_fp_ieee_invalid_op 0
		.amdhsa_exception_fp_denorm_src 0
		.amdhsa_exception_fp_ieee_div_zero 0
		.amdhsa_exception_fp_ieee_overflow 0
		.amdhsa_exception_fp_ieee_underflow 0
		.amdhsa_exception_fp_ieee_inexact 0
		.amdhsa_exception_int_div_zero 0
	.end_amdhsa_kernel
	.section	.text._ZL26rocblas_hemvn_kernel_upperILb0ELi64ELi4ELi33ELi32ELi16EldPKdPdEviT6_lT7_lT5_lS4_lS5_lS3_lT8_i,"axG",@progbits,_ZL26rocblas_hemvn_kernel_upperILb0ELi64ELi4ELi33ELi32ELi16EldPKdPdEviT6_lT7_lT5_lS4_lS5_lS3_lT8_i,comdat
.Lfunc_end98:
	.size	_ZL26rocblas_hemvn_kernel_upperILb0ELi64ELi4ELi33ELi32ELi16EldPKdPdEviT6_lT7_lT5_lS4_lS5_lS3_lT8_i, .Lfunc_end98-_ZL26rocblas_hemvn_kernel_upperILb0ELi64ELi4ELi33ELi32ELi16EldPKdPdEviT6_lT7_lT5_lS4_lS5_lS3_lT8_i
                                        ; -- End function
	.set _ZL26rocblas_hemvn_kernel_upperILb0ELi64ELi4ELi33ELi32ELi16EldPKdPdEviT6_lT7_lT5_lS4_lS5_lS3_lT8_i.num_vgpr, 211
	.set _ZL26rocblas_hemvn_kernel_upperILb0ELi64ELi4ELi33ELi32ELi16EldPKdPdEviT6_lT7_lT5_lS4_lS5_lS3_lT8_i.num_agpr, 0
	.set _ZL26rocblas_hemvn_kernel_upperILb0ELi64ELi4ELi33ELi32ELi16EldPKdPdEviT6_lT7_lT5_lS4_lS5_lS3_lT8_i.numbered_sgpr, 68
	.set _ZL26rocblas_hemvn_kernel_upperILb0ELi64ELi4ELi33ELi32ELi16EldPKdPdEviT6_lT7_lT5_lS4_lS5_lS3_lT8_i.num_named_barrier, 0
	.set _ZL26rocblas_hemvn_kernel_upperILb0ELi64ELi4ELi33ELi32ELi16EldPKdPdEviT6_lT7_lT5_lS4_lS5_lS3_lT8_i.private_seg_size, 0
	.set _ZL26rocblas_hemvn_kernel_upperILb0ELi64ELi4ELi33ELi32ELi16EldPKdPdEviT6_lT7_lT5_lS4_lS5_lS3_lT8_i.uses_vcc, 1
	.set _ZL26rocblas_hemvn_kernel_upperILb0ELi64ELi4ELi33ELi32ELi16EldPKdPdEviT6_lT7_lT5_lS4_lS5_lS3_lT8_i.uses_flat_scratch, 0
	.set _ZL26rocblas_hemvn_kernel_upperILb0ELi64ELi4ELi33ELi32ELi16EldPKdPdEviT6_lT7_lT5_lS4_lS5_lS3_lT8_i.has_dyn_sized_stack, 0
	.set _ZL26rocblas_hemvn_kernel_upperILb0ELi64ELi4ELi33ELi32ELi16EldPKdPdEviT6_lT7_lT5_lS4_lS5_lS3_lT8_i.has_recursion, 0
	.set _ZL26rocblas_hemvn_kernel_upperILb0ELi64ELi4ELi33ELi32ELi16EldPKdPdEviT6_lT7_lT5_lS4_lS5_lS3_lT8_i.has_indirect_call, 0
	.section	.AMDGPU.csdata,"",@progbits
; Kernel info:
; codeLenInByte = 9476
; TotalNumSgprs: 70
; NumVgprs: 211
; ScratchSize: 0
; MemoryBound: 0
; FloatMode: 240
; IeeeMode: 1
; LDSByteSize: 9600 bytes/workgroup (compile time only)
; SGPRBlocks: 0
; VGPRBlocks: 26
; NumSGPRsForWavesPerEU: 70
; NumVGPRsForWavesPerEU: 211
; Occupancy: 7
; WaveLimiterHint : 0
; COMPUTE_PGM_RSRC2:SCRATCH_EN: 0
; COMPUTE_PGM_RSRC2:USER_SGPR: 2
; COMPUTE_PGM_RSRC2:TRAP_HANDLER: 0
; COMPUTE_PGM_RSRC2:TGID_X_EN: 1
; COMPUTE_PGM_RSRC2:TGID_Y_EN: 0
; COMPUTE_PGM_RSRC2:TGID_Z_EN: 1
; COMPUTE_PGM_RSRC2:TIDIG_COMP_CNT: 1
	.section	.text._ZL36rocblas_hemvn_kernel_upper_block_sumILi64EldPddEviT1_lS1_lT2_lT0_lPT3_i,"axG",@progbits,_ZL36rocblas_hemvn_kernel_upper_block_sumILi64EldPddEviT1_lS1_lT2_lT0_lPT3_i,comdat
	.globl	_ZL36rocblas_hemvn_kernel_upper_block_sumILi64EldPddEviT1_lS1_lT2_lT0_lPT3_i ; -- Begin function _ZL36rocblas_hemvn_kernel_upper_block_sumILi64EldPddEviT1_lS1_lT2_lT0_lPT3_i
	.p2align	8
	.type	_ZL36rocblas_hemvn_kernel_upper_block_sumILi64EldPddEviT1_lS1_lT2_lT0_lPT3_i,@function
_ZL36rocblas_hemvn_kernel_upper_block_sumILi64EldPddEviT1_lS1_lT2_lT0_lPT3_i: ; @_ZL36rocblas_hemvn_kernel_upper_block_sumILi64EldPddEviT1_lS1_lT2_lT0_lPT3_i
; %bb.0:
	s_load_b32 s18, s[0:1], 0x50
	s_lshr_b32 s2, ttmp7, 16
	s_wait_kmcnt 0x0
	s_cmp_ge_u32 s2, s18
	s_cbranch_scc1 .LBB99_25
; %bb.1:
	s_clause 0x4
	s_load_b64 s[12:13], s[0:1], 0x8
	s_load_b64 s[14:15], s[0:1], 0x18
	s_load_b256 s[4:11], s[0:1], 0x30
	s_load_b32 s24, s[0:1], 0x0
	s_load_b64 s[22:23], s[0:1], 0x28
	s_add_nc_u64 s[16:17], s[0:1], 0x58
	v_lshl_or_b32 v0, ttmp9, 6, v0
	s_delay_alu instid0(VALU_DEP_1) | instskip(NEXT) | instid1(VALU_DEP_1)
	v_ashrrev_i32_e32 v1, 31, v0
	v_lshlrev_b64_e32 v[2:3], 3, v[0:1]
	s_wait_kmcnt 0x0
	v_cmp_neq_f64_e64 s3, s[12:13], 0
	v_cmp_neq_f64_e64 s21, s[14:15], 1.0
	v_cmp_eq_f64_e64 s19, s[14:15], 0
	v_cmp_eq_f64_e64 s1, s[12:13], 0
	v_cmp_neq_f64_e64 s20, s[14:15], 0
	v_mul_lo_u32 v6, s6, v1
	v_mul_lo_u32 v7, s7, v0
	v_mad_co_u64_u32 v[4:5], null, s6, v0, 0
	v_cmp_gt_i32_e64 s0, s24, v0
	v_add_co_u32 v0, vcc_lo, s10, v2
	s_delay_alu instid0(VALU_DEP_1) | instskip(SKIP_4) | instid1(VALU_DEP_1)
	v_add_co_ci_u32_e64 v1, null, s11, v3, vcc_lo
	s_lshl_b64 s[4:5], s[4:5], 3
	v_add3_u32 v5, v5, v6, v7
	s_ashr_i32 s25, s24, 31
	s_add_nc_u64 s[4:5], s[22:23], s[4:5]
	v_lshlrev_b64_e32 v[2:3], 3, v[4:5]
	s_or_b32 s21, s3, s21
	s_cmp_gt_i32 ttmp9, -1
	s_mov_b32 s3, 0
	s_cselect_b32 s22, -1, 0
	s_add_co_i32 s23, ttmp9, 1
	s_wait_alu 0xfffe
	s_lshl_b64 s[6:7], s[24:25], 3
	s_branch .LBB99_4
.LBB99_2:                               ;   in Loop: Header=BB99_4 Depth=1
	s_wait_alu 0xfffe
	s_or_b32 exec_lo, exec_lo, s25
.LBB99_3:                               ;   in Loop: Header=BB99_4 Depth=1
	s_add_co_i32 s2, s2, 0x10000
	s_wait_alu 0xfffe
	s_cmp_lt_u32 s2, s18
	s_cbranch_scc0 .LBB99_25
.LBB99_4:                               ; =>This Loop Header: Depth=1
                                        ;     Child Loop BB99_16 Depth 2
	s_and_not1_b32 vcc_lo, exec_lo, s21
	s_wait_alu 0xfffe
	s_cbranch_vccnz .LBB99_3
; %bb.5:                                ;   in Loop: Header=BB99_4 Depth=1
	s_mul_u64 s[10:11], s[8:9], s[2:3]
	s_and_not1_b32 vcc_lo, exec_lo, s1
	s_wait_alu 0xfffe
	s_lshl_b64 s[10:11], s[10:11], 3
	s_wait_alu 0xfffe
	s_add_nc_u64 s[10:11], s[4:5], s[10:11]
	s_cbranch_vccnz .LBB99_9
; %bb.6:                                ;   in Loop: Header=BB99_4 Depth=1
	s_mov_b32 s25, 0
	s_mov_b32 s24, 0
                                        ; implicit-def: $vgpr4_vgpr5
	s_and_saveexec_b32 s26, s0
	s_cbranch_execz .LBB99_10
; %bb.7:                                ;   in Loop: Header=BB99_4 Depth=1
	s_and_not1_b32 vcc_lo, exec_lo, s20
	s_wait_alu 0xfffe
	s_cbranch_vccnz .LBB99_11
; %bb.8:                                ;   in Loop: Header=BB99_4 Depth=1
	v_add_co_u32 v4, vcc_lo, s10, v2
	s_wait_alu 0xfffd
	v_add_co_ci_u32_e64 v5, null, s11, v3, vcc_lo
	global_load_b64 v[4:5], v[4:5], off
	s_wait_loadcnt 0x0
	v_mul_f64_e32 v[4:5], s[14:15], v[4:5]
	s_branch .LBB99_12
.LBB99_9:                               ;   in Loop: Header=BB99_4 Depth=1
	s_mov_b32 s24, 0
                                        ; implicit-def: $vgpr4_vgpr5
	s_cbranch_execnz .LBB99_13
	s_branch .LBB99_23
.LBB99_10:                              ;   in Loop: Header=BB99_4 Depth=1
	s_wait_alu 0xfffe
	s_or_b32 exec_lo, exec_lo, s26
	s_delay_alu instid0(SALU_CYCLE_1)
	s_and_b32 vcc_lo, exec_lo, s25
	s_wait_alu 0xfffe
	s_cbranch_vccnz .LBB99_13
	s_branch .LBB99_23
.LBB99_11:                              ;   in Loop: Header=BB99_4 Depth=1
	v_mov_b32_e32 v4, 0
	v_mov_b32_e32 v5, 0
.LBB99_12:                              ;   in Loop: Header=BB99_4 Depth=1
	s_mov_b32 s24, exec_lo
	s_or_b32 exec_lo, exec_lo, s26
	s_delay_alu instid0(SALU_CYCLE_1)
	s_and_b32 vcc_lo, exec_lo, s25
	s_wait_alu 0xfffe
	s_cbranch_vccz .LBB99_23
.LBB99_13:                              ;   in Loop: Header=BB99_4 Depth=1
                                        ; implicit-def: $vgpr4_vgpr5
	s_and_saveexec_b32 s25, s0
	s_cbranch_execz .LBB99_22
; %bb.14:                               ;   in Loop: Header=BB99_4 Depth=1
	v_mov_b32_e32 v6, 0
	v_mov_b32_e32 v7, 0
	s_and_not1_b32 vcc_lo, exec_lo, s22
	s_wait_alu 0xfffe
	s_cbranch_vccnz .LBB99_17
; %bb.15:                               ;   in Loop: Header=BB99_4 Depth=1
	s_load_b32 s26, s[16:17], 0x0
	s_mov_b32 s27, s3
	s_wait_kmcnt 0x0
	s_wait_alu 0xfffe
	s_mul_u64 s[26:27], s[6:7], s[26:27]
	s_wait_alu 0xfffe
	v_mad_co_u64_u32 v[4:5], null, s26, s2, v[0:1]
	s_mov_b32 s26, s23
	v_mad_co_u64_u32 v[5:6], null, s27, s2, v[5:6]
	v_mov_b32_e32 v6, 0
	v_mov_b32_e32 v7, 0
.LBB99_16:                              ;   Parent Loop BB99_4 Depth=1
                                        ; =>  This Inner Loop Header: Depth=2
	global_load_b64 v[8:9], v[4:5], off
	v_add_co_u32 v4, vcc_lo, v4, s6
	s_wait_alu 0xfffd
	v_add_co_ci_u32_e64 v5, null, s7, v5, vcc_lo
	s_wait_alu 0xfffe
	s_add_co_i32 s26, s26, -1
	s_wait_alu 0xfffe
	s_cmp_eq_u32 s26, 0
	s_wait_loadcnt 0x0
	v_add_f64_e32 v[6:7], v[6:7], v[8:9]
	s_cbranch_scc0 .LBB99_16
.LBB99_17:                              ;   in Loop: Header=BB99_4 Depth=1
	s_and_b32 vcc_lo, exec_lo, s19
	s_mov_b32 s26, -1
                                        ; implicit-def: $vgpr4_vgpr5
	s_wait_alu 0xfffe
	s_cbranch_vccz .LBB99_19
; %bb.18:                               ;   in Loop: Header=BB99_4 Depth=1
	s_delay_alu instid0(VALU_DEP_1)
	v_mul_f64_e32 v[4:5], s[12:13], v[6:7]
	s_mov_b32 s26, 0
.LBB99_19:                              ;   in Loop: Header=BB99_4 Depth=1
	s_wait_alu 0xfffe
	s_and_not1_b32 vcc_lo, exec_lo, s26
	s_wait_alu 0xfffe
	s_cbranch_vccnz .LBB99_21
; %bb.20:                               ;   in Loop: Header=BB99_4 Depth=1
	v_add_co_u32 v4, vcc_lo, s10, v2
	s_wait_alu 0xfffd
	v_add_co_ci_u32_e64 v5, null, s11, v3, vcc_lo
	global_load_b64 v[4:5], v[4:5], off
	s_wait_loadcnt 0x0
	v_mul_f64_e32 v[4:5], s[14:15], v[4:5]
	s_delay_alu instid0(VALU_DEP_1)
	v_fma_f64 v[4:5], s[12:13], v[6:7], v[4:5]
.LBB99_21:                              ;   in Loop: Header=BB99_4 Depth=1
	s_or_b32 s24, s24, exec_lo
.LBB99_22:                              ;   in Loop: Header=BB99_4 Depth=1
	s_wait_alu 0xfffe
	s_or_b32 exec_lo, exec_lo, s25
.LBB99_23:                              ;   in Loop: Header=BB99_4 Depth=1
	s_wait_alu 0xfffe
	s_and_saveexec_b32 s25, s24
	s_cbranch_execz .LBB99_2
; %bb.24:                               ;   in Loop: Header=BB99_4 Depth=1
	v_add_co_u32 v6, vcc_lo, s10, v2
	s_wait_alu 0xfffd
	v_add_co_ci_u32_e64 v7, null, s11, v3, vcc_lo
	global_store_b64 v[6:7], v[4:5], off
	s_branch .LBB99_2
.LBB99_25:
	s_endpgm
	.section	.rodata,"a",@progbits
	.p2align	6, 0x0
	.amdhsa_kernel _ZL36rocblas_hemvn_kernel_upper_block_sumILi64EldPddEviT1_lS1_lT2_lT0_lPT3_i
		.amdhsa_group_segment_fixed_size 0
		.amdhsa_private_segment_fixed_size 0
		.amdhsa_kernarg_size 344
		.amdhsa_user_sgpr_count 2
		.amdhsa_user_sgpr_dispatch_ptr 0
		.amdhsa_user_sgpr_queue_ptr 0
		.amdhsa_user_sgpr_kernarg_segment_ptr 1
		.amdhsa_user_sgpr_dispatch_id 0
		.amdhsa_user_sgpr_private_segment_size 0
		.amdhsa_wavefront_size32 1
		.amdhsa_uses_dynamic_stack 0
		.amdhsa_enable_private_segment 0
		.amdhsa_system_sgpr_workgroup_id_x 1
		.amdhsa_system_sgpr_workgroup_id_y 0
		.amdhsa_system_sgpr_workgroup_id_z 1
		.amdhsa_system_sgpr_workgroup_info 0
		.amdhsa_system_vgpr_workitem_id 0
		.amdhsa_next_free_vgpr 10
		.amdhsa_next_free_sgpr 28
		.amdhsa_reserve_vcc 1
		.amdhsa_float_round_mode_32 0
		.amdhsa_float_round_mode_16_64 0
		.amdhsa_float_denorm_mode_32 3
		.amdhsa_float_denorm_mode_16_64 3
		.amdhsa_fp16_overflow 0
		.amdhsa_workgroup_processor_mode 1
		.amdhsa_memory_ordered 1
		.amdhsa_forward_progress 1
		.amdhsa_inst_pref_size 6
		.amdhsa_round_robin_scheduling 0
		.amdhsa_exception_fp_ieee_invalid_op 0
		.amdhsa_exception_fp_denorm_src 0
		.amdhsa_exception_fp_ieee_div_zero 0
		.amdhsa_exception_fp_ieee_overflow 0
		.amdhsa_exception_fp_ieee_underflow 0
		.amdhsa_exception_fp_ieee_inexact 0
		.amdhsa_exception_int_div_zero 0
	.end_amdhsa_kernel
	.section	.text._ZL36rocblas_hemvn_kernel_upper_block_sumILi64EldPddEviT1_lS1_lT2_lT0_lPT3_i,"axG",@progbits,_ZL36rocblas_hemvn_kernel_upper_block_sumILi64EldPddEviT1_lS1_lT2_lT0_lPT3_i,comdat
.Lfunc_end99:
	.size	_ZL36rocblas_hemvn_kernel_upper_block_sumILi64EldPddEviT1_lS1_lT2_lT0_lPT3_i, .Lfunc_end99-_ZL36rocblas_hemvn_kernel_upper_block_sumILi64EldPddEviT1_lS1_lT2_lT0_lPT3_i
                                        ; -- End function
	.set _ZL36rocblas_hemvn_kernel_upper_block_sumILi64EldPddEviT1_lS1_lT2_lT0_lPT3_i.num_vgpr, 10
	.set _ZL36rocblas_hemvn_kernel_upper_block_sumILi64EldPddEviT1_lS1_lT2_lT0_lPT3_i.num_agpr, 0
	.set _ZL36rocblas_hemvn_kernel_upper_block_sumILi64EldPddEviT1_lS1_lT2_lT0_lPT3_i.numbered_sgpr, 28
	.set _ZL36rocblas_hemvn_kernel_upper_block_sumILi64EldPddEviT1_lS1_lT2_lT0_lPT3_i.num_named_barrier, 0
	.set _ZL36rocblas_hemvn_kernel_upper_block_sumILi64EldPddEviT1_lS1_lT2_lT0_lPT3_i.private_seg_size, 0
	.set _ZL36rocblas_hemvn_kernel_upper_block_sumILi64EldPddEviT1_lS1_lT2_lT0_lPT3_i.uses_vcc, 1
	.set _ZL36rocblas_hemvn_kernel_upper_block_sumILi64EldPddEviT1_lS1_lT2_lT0_lPT3_i.uses_flat_scratch, 0
	.set _ZL36rocblas_hemvn_kernel_upper_block_sumILi64EldPddEviT1_lS1_lT2_lT0_lPT3_i.has_dyn_sized_stack, 0
	.set _ZL36rocblas_hemvn_kernel_upper_block_sumILi64EldPddEviT1_lS1_lT2_lT0_lPT3_i.has_recursion, 0
	.set _ZL36rocblas_hemvn_kernel_upper_block_sumILi64EldPddEviT1_lS1_lT2_lT0_lPT3_i.has_indirect_call, 0
	.section	.AMDGPU.csdata,"",@progbits
; Kernel info:
; codeLenInByte = 764
; TotalNumSgprs: 30
; NumVgprs: 10
; ScratchSize: 0
; MemoryBound: 0
; FloatMode: 240
; IeeeMode: 1
; LDSByteSize: 0 bytes/workgroup (compile time only)
; SGPRBlocks: 0
; VGPRBlocks: 1
; NumSGPRsForWavesPerEU: 30
; NumVGPRsForWavesPerEU: 10
; Occupancy: 16
; WaveLimiterHint : 0
; COMPUTE_PGM_RSRC2:SCRATCH_EN: 0
; COMPUTE_PGM_RSRC2:USER_SGPR: 2
; COMPUTE_PGM_RSRC2:TRAP_HANDLER: 0
; COMPUTE_PGM_RSRC2:TGID_X_EN: 1
; COMPUTE_PGM_RSRC2:TGID_Y_EN: 0
; COMPUTE_PGM_RSRC2:TGID_Z_EN: 1
; COMPUTE_PGM_RSRC2:TIDIG_COMP_CNT: 0
	.section	.text._ZL26rocblas_hemvn_kernel_upperILb0ELi64ELi4ELi33ELi32ELi16EidPKdPdEviT6_lT7_lT5_lS4_lS5_lS3_lT8_i,"axG",@progbits,_ZL26rocblas_hemvn_kernel_upperILb0ELi64ELi4ELi33ELi32ELi16EidPKdPdEviT6_lT7_lT5_lS4_lS5_lS3_lT8_i,comdat
	.globl	_ZL26rocblas_hemvn_kernel_upperILb0ELi64ELi4ELi33ELi32ELi16EidPKdPdEviT6_lT7_lT5_lS4_lS5_lS3_lT8_i ; -- Begin function _ZL26rocblas_hemvn_kernel_upperILb0ELi64ELi4ELi33ELi32ELi16EidPKdPdEviT6_lT7_lT5_lS4_lS5_lS3_lT8_i
	.p2align	8
	.type	_ZL26rocblas_hemvn_kernel_upperILb0ELi64ELi4ELi33ELi32ELi16EidPKdPdEviT6_lT7_lT5_lS4_lS5_lS3_lT8_i,@function
_ZL26rocblas_hemvn_kernel_upperILb0ELi64ELi4ELi33ELi32ELi16EidPKdPdEviT6_lT7_lT5_lS4_lS5_lS3_lT8_i: ; @_ZL26rocblas_hemvn_kernel_upperILb0ELi64ELi4ELi33ELi32ELi16EidPKdPdEviT6_lT7_lT5_lS4_lS5_lS3_lT8_i
; %bb.0:
	s_clause 0x1
	s_load_b64 s[2:3], s[0:1], 0x84
	s_load_b32 s19, s[0:1], 0x70
	s_lshr_b32 s28, ttmp7, 16
	s_wait_kmcnt 0x0
	s_lshr_b32 s4, s2, 16
	s_and_b32 s2, s2, 0xffff
	s_and_b32 s3, s3, 0xffff
	s_mul_i32 s2, s4, s2
	s_delay_alu instid0(SALU_CYCLE_1) | instskip(NEXT) | instid1(SALU_CYCLE_1)
	s_mul_i32 s2, s2, s3
	s_cmp_lg_u32 s2, 0x100
	s_cselect_b32 s2, -1, 0
	s_cmp_ge_u32 s28, s19
	s_cselect_b32 s3, -1, 0
	s_delay_alu instid0(SALU_CYCLE_1) | instskip(NEXT) | instid1(SALU_CYCLE_1)
	s_or_b32 s2, s2, s3
	s_and_b32 vcc_lo, exec_lo, s2
	s_cbranch_vccnz .LBB100_129
; %bb.1:
	s_clause 0x5
	s_load_b128 s[20:23], s[0:1], 0x50
	s_load_b64 s[4:5], s[0:1], 0x8
	s_load_b32 s10, s[0:1], 0x0
	s_load_b32 s72, s[0:1], 0x28
	s_load_b96 s[16:18], s[0:1], 0x40
	s_load_b64 s[8:9], s[0:1], 0x68
	v_and_b32_e32 v48, 0x3ff, v0
	v_bfe_u32 v11, v0, 10, 10
	s_lshl_b32 s40, ttmp9, 6
	v_and_b32_e32 v1, 31, v0
	s_mov_b32 s29, 0
	v_add_nc_u32_e32 v2, s40, v48
	v_lshl_add_u32 v12, v11, 6, v48
	s_mov_b32 s2, ttmp9
	v_lshlrev_b32_e32 v105, 2, v11
	v_lshlrev_b32_e32 v15, 3, v1
	;; [unrolled: 1-line block ×3, first 2 shown]
	v_lshrrev_b32_e32 v9, 5, v12
	v_and_b32_e32 v14, 0x7fe0, v12
	v_lshl_add_u32 v107, v11, 5, 0x2180
	s_wait_kmcnt 0x0
	v_cmp_neq_f64_e64 s3, s[22:23], 1.0
	v_cmp_neq_f64_e64 s30, s[4:5], 0
	s_clause 0x1
	s_load_b128 s[4:7], s[0:1], 0x18
	s_load_b128 s[24:27], s[0:1], 0x30
	s_add_nc_u64 s[0:1], s[0:1], 0x78
	v_mul_lo_u32 v3, s18, v2
	s_load_b32 s22, s[0:1], 0x0
	s_ashr_i32 s11, s10, 31
	v_mad_co_u64_u32 v[5:6], null, s72, v9, v[1:2]
	s_lshr_b32 s1, s11, 26
	s_mov_b32 s23, s29
	s_add_co_i32 s1, s10, s1
	v_ashrrev_i32_e32 v4, 31, v3
	s_lshl_b64 s[12:13], s[16:17], 3
	s_and_not1_b32 s1, s1, 63
	s_ashr_i32 s73, s72, 31
	v_ashrrev_i32_e32 v6, 31, v5
	v_lshlrev_b64_e32 v[3:4], 3, v[3:4]
	v_lshlrev_b32_e32 v13, 2, v9
	v_add_nc_u32_e32 v10, 24, v9
	v_mul_u32_u24_e32 v16, 0x108, v9
	s_wait_kmcnt 0x0
	s_lshl_b64 s[14:15], s[6:7], 3
	s_add_nc_u64 s[12:13], s[26:27], s[12:13]
	v_lshlrev_b64_e32 v[5:6], 3, v[5:6]
	v_add_co_u32 v97, vcc_lo, s12, v3
	s_add_co_i32 s7, s22, -1
	s_wait_alu 0xfffe
	s_mul_u64 s[26:27], s[22:23], s[10:11]
	s_sub_co_i32 s23, s10, s1
	v_add_co_ci_u32_e64 v98, null, s13, v4, vcc_lo
	s_add_nc_u64 s[4:5], s[4:5], s[14:15]
	s_mul_i32 s6, s72, s40
	v_or_b32_e32 v18, 1, v13
	v_or_b32_e32 v19, 2, v13
	v_mul_u32_u24_e32 v17, 0x420, v9
	v_lshlrev_b32_e32 v21, 3, v9
	v_cmp_eq_u32_e64 s16, 1, v9
	v_mul_i32_i24_e32 v106, 0xffffffe8, v9
	s_or_b32 s33, s30, s3
	s_cmp_eq_u32 ttmp9, s7
	v_cndmask_b32_e64 v96, 0, 1, s30
	s_wait_alu 0xfffe
	s_cselect_b32 s30, s23, 0
	v_lshl_or_b32 v101, v1, 8, v15
	s_wait_alu 0xfffe
	s_cmp_lg_u32 s30, 0
	v_cmp_gt_i32_e32 vcc_lo, s30, v48
	s_cselect_b32 s84, -1, 0
	s_cmp_eq_u32 s30, 0
	v_add_nc_u32_e32 v102, v101, v14
	s_cselect_b32 s12, -1, 0
	s_ashr_i32 s3, ttmp9, 31
	s_ashr_i32 s41, s40, 31
	s_mul_u64 s[2:3], s[10:11], s[2:3]
	s_wait_alu 0xfffe
	s_lshl_b64 s[10:11], s[40:41], 3
	s_or_b32 s85, s12, vcc_lo
	s_add_nc_u64 s[4:5], s[4:5], s[10:11]
	s_ashr_i32 s7, s6, 31
	s_wait_alu 0xfffe
	v_add_co_u32 v3, vcc_lo, s4, v5
	s_wait_alu 0xfffd
	v_add_co_ci_u32_e64 v4, null, s5, v6, vcc_lo
	s_lshl_b64 s[6:7], s[6:7], 3
	s_lshl_b64 s[2:3], s[2:3], 3
	v_add_co_u32 v99, vcc_lo, v3, s6
	s_wait_alu 0xfffd
	v_add_co_ci_u32_e64 v100, null, s7, v4, vcc_lo
	v_add_nc_u32_e32 v3, 8, v9
	v_add_nc_u32_e32 v4, 16, v9
	v_cmp_gt_u32_e64 s6, v13, v1
	v_cmp_ge_u32_e64 s7, v13, v1
	v_or_b32_e32 v13, 3, v13
	s_add_nc_u64 s[34:35], s[8:9], s[2:3]
	v_sub_co_u32 v7, s2, 0, v1
	s_sub_co_i32 s15, s30, 32
	v_sub_co_ci_u32_e64 v8, null, 0, 0, s2
	v_cmp_gt_i32_e64 s2, s30, v9
	v_cmp_gt_i32_e64 s5, s30, v10
	;; [unrolled: 1-line block ×6, first 2 shown]
	v_mad_co_u64_u32 v[9:10], null, s72, v105, v[48:49]
	v_cmp_gt_i32_e64 s3, s30, v3
	v_cmp_gt_u32_e64 s9, v13, v1
	v_or_b32_e32 v13, 32, v1
	v_lshrrev_b32_e32 v3, 4, v12
	v_cmp_gt_i32_e64 s4, s30, v4
	v_and_b32_e32 v4, 15, v0
	v_add_nc_u32_e32 v103, 0x2380, v14
	v_cmp_gt_i32_e64 s11, s30, v13
	v_lshlrev_b32_e32 v13, 5, v3
	v_ashrrev_i32_e32 v10, 31, v9
	v_or_b32_e32 v14, 0x78, v94
	s_lshl_b32 s56, s72, 5
	v_sub_co_u32 v116, vcc_lo, 0, v5
	s_ashr_i32 s57, s56, 31
	v_mad_u32_u24 v109, 0x218, v4, v13
	s_wait_alu 0xfffd
	v_sub_co_ci_u32_e64 v117, null, 0, v6, vcc_lo
	v_add_co_u32 v13, vcc_lo, s56, v9
	v_mad_u32_u24 v111, 0x218, v4, v14
	s_wait_alu 0xfffd
	v_add_co_ci_u32_e64 v14, null, s57, v10, vcc_lo
	v_cmp_eq_u32_e64 s0, 0, v11
	v_cmp_gt_u32_e64 s10, 32, v12
	v_and_b32_e32 v0, 48, v0
	v_mad_u32_u24 v108, 0x860, v11, v94
	v_cmp_gt_u32_e64 s17, 64, v12
	v_mad_u32_u24 v112, 0x218, v11, v94
	v_lshlrev_b64_e32 v[11:12], 3, v[9:10]
	v_lshlrev_b64_e32 v[13:14], 3, v[13:14]
	s_lshl_b32 s36, s72, 3
	s_lshl_b32 s74, s72, 4
	s_mul_i32 s38, s72, 24
	s_mul_i32 s40, s18, s40
	s_add_co_i32 s44, ttmp9, 1
	s_ashr_i32 s31, s30, 31
	s_ashr_i32 s37, s36, 31
	;; [unrolled: 1-line block ×4, first 2 shown]
	s_wait_alu 0xfffe
	s_ashr_i32 s41, s40, 31
	v_lshlrev_b32_e32 v0, 3, v0
	s_cmp_lt_u32 s44, s22
	s_mul_u64 s[82:83], s[72:73], 24
	v_sub_co_u32 v118, vcc_lo, v11, v5
	s_cselect_b32 s86, -1, 0
	s_lshl_b64 s[46:47], s[56:57], 3
	s_wait_alu 0xfffd
	v_sub_co_ci_u32_e64 v119, null, v12, v6, vcc_lo
	v_add_co_u32 v120, vcc_lo, s82, v13
	s_add_nc_u64 s[56:57], s[56:57], s[74:75]
	v_mad_u32_u24 v110, 0x218, v4, v0
	s_wait_alu 0xfffd
	v_add_co_ci_u32_e64 v121, null, s83, v14, vcc_lo
	s_wait_alu 0xfffe
	v_add_co_u32 v4, vcc_lo, s56, v9
	s_wait_alu 0xfffd
	v_add_co_ci_u32_e64 v5, null, s57, v10, vcc_lo
	s_add_nc_u64 s[98:99], s[72:73], s[74:75]
	v_mad_co_i64_i32 v[49:50], null, s74, 24, v[13:14]
	v_mad_co_u64_u32 v[51:52], null, s98, 24, v[13:14]
	v_lshlrev_b64_e32 v[4:5], 3, v[4:5]
	s_lshl_b64 s[96:97], s[74:75], 4
	s_lshl_b32 s50, s72, 1
	s_mul_i32 s54, s72, 3
	s_ashr_i32 s51, s50, 31
	s_lshl_b64 s[76:77], s[72:73], 3
	v_add_co_u32 v122, vcc_lo, s82, v4
	v_mov_b32_e32 v0, v52
	s_wait_alu 0xfffd
	v_add_co_ci_u32_e64 v123, null, s83, v5, vcc_lo
	s_add_nc_u64 s[82:83], s[82:83], s[96:97]
	s_ashr_i32 s55, s54, 31
	s_wait_alu 0xfffe
	v_add_co_u32 v124, vcc_lo, s82, v13
	s_lshl_b64 s[92:93], s[50:51], 3
	s_wait_alu 0xfffd
	v_add_co_ci_u32_e64 v125, null, s83, v14, vcc_lo
	v_add_co_u32 v126, vcc_lo, v49, s76
	v_mad_co_u64_u32 v[4:5], null, s99, 24, v[0:1]
	v_cmp_gt_u32_e64 s8, v19, v1
	s_lshl_b32 s88, s18, 6
	v_mul_i32_i24_e32 v19, 0xffffffe8, v3
	v_ashrrev_i32_e32 v3, 31, v2
	s_mul_i32 s18, s18, s44
	s_lshl_b64 s[44:45], s[74:75], 5
	s_lshl_b64 s[80:81], s[72:73], 4
	;; [unrolled: 1-line block ×4, first 2 shown]
	s_mul_u64 s[74:75], s[74:75], 24
	s_wait_alu 0xfffd
	v_add_co_ci_u32_e64 v127, null, s77, v50, vcc_lo
	v_add_co_u32 v128, vcc_lo, v49, s92
	v_mul_u32_u24_e32 v20, 33, v1
	v_mul_u32_u24_e32 v18, 0x108, v18
	s_wait_alu 0xfffd
	v_add_co_ci_u32_e64 v129, null, s93, v50, vcc_lo
	v_add_co_u32 v130, vcc_lo, v49, s94
	s_wait_alu 0xfffe
	s_add_nc_u64 s[74:75], s[74:75], s[80:81]
	s_wait_alu 0xfffd
	v_add_co_ci_u32_e64 v131, null, s95, v50, vcc_lo
	s_wait_alu 0xfffe
	v_add_co_u32 v132, vcc_lo, s74, v13
	v_lshlrev_b64_e32 v[52:53], 3, v[7:8]
	v_lshlrev_b64_e32 v[54:55], 3, v[2:3]
	v_dual_mov_b32 v134, v4 :: v_dual_add_nc_u32 v95, 0x2380, v94
	v_cmp_gt_i32_e64 s1, s30, v1
	v_lshl_add_u32 v104, v20, 3, v21
	v_add_nc_u32_e32 v113, v101, v21
	v_add_nc_u32_e32 v114, 0x2380, v21
	;; [unrolled: 1-line block ×3, first 2 shown]
	s_wait_alu 0xfffd
	v_add_co_ci_u32_e64 v133, null, s75, v14, vcc_lo
	v_add_nc_u32_e32 v135, v15, v16
	v_add_nc_u32_e32 v136, v15, v17
	;; [unrolled: 1-line block ×4, first 2 shown]
	v_lshlrev_b32_e32 v139, 3, v1
	s_sub_nc_u64 s[78:79], 0, s[40:41]
	s_add_nc_u64 s[48:49], s[80:81], s[46:47]
	s_add_nc_u64 s[50:51], s[76:77], s[46:47]
	s_add_nc_u64 s[58:59], s[46:47], s[54:55]
	s_add_nc_u64 s[68:69], s[96:97], s[46:47]
	s_add_co_i32 s87, s22, -2
	s_and_b32 s89, s0, s85
	s_sub_nc_u64 s[40:41], 0, s[30:31]
	s_lshl_b64 s[42:43], s[72:73], 6
	s_lshl_b32 s90, s18, 6
	s_add_nc_u64 s[52:53], s[46:47], s[92:93]
	s_add_nc_u64 s[56:57], s[46:47], s[94:95]
	;; [unrolled: 1-line block ×10, first 2 shown]
	s_lshl_b64 s[78:79], s[78:79], 3
	s_branch .LBB100_4
.LBB100_2:                              ;   in Loop: Header=BB100_4 Depth=1
	s_wait_alu 0xfffe
	s_or_b32 exec_lo, exec_lo, s18
.LBB100_3:                              ;   in Loop: Header=BB100_4 Depth=1
	s_add_co_i32 s28, s28, 0x10000
	s_delay_alu instid0(SALU_CYCLE_1)
	s_cmp_lt_u32 s28, s19
	s_cbranch_scc0 .LBB100_129
.LBB100_4:                              ; =>This Loop Header: Depth=1
                                        ;     Child Loop BB100_69 Depth 2
	s_and_not1_b32 vcc_lo, exec_lo, s33
	s_wait_alu 0xfffe
	s_cbranch_vccnz .LBB100_3
; %bb.5:                                ;   in Loop: Header=BB100_4 Depth=1
	v_cmp_ne_u32_e32 vcc_lo, 1, v96
	s_cbranch_vccnz .LBB100_3
; %bb.6:                                ;   in Loop: Header=BB100_4 Depth=1
	s_mul_u64 s[80:81], s[20:21], s[28:29]
	s_wait_alu 0xfffe
	s_lshl_b64 s[80:81], s[80:81], 3
	s_wait_alu 0xfffe
	v_add_co_u32 v12, vcc_lo, v97, s80
	s_wait_alu 0xfffd
	v_add_co_ci_u32_e64 v13, null, s81, v98, vcc_lo
	s_and_saveexec_b32 s18, s0
	s_cbranch_execz .LBB100_10
; %bb.7:                                ;   in Loop: Header=BB100_4 Depth=1
	v_mov_b32_e32 v0, 0
	v_mov_b32_e32 v1, 0
	s_and_saveexec_b32 s80, s85
	s_cbranch_execz .LBB100_9
; %bb.8:                                ;   in Loop: Header=BB100_4 Depth=1
	global_load_b64 v[0:1], v[12:13], off
.LBB100_9:                              ;   in Loop: Header=BB100_4 Depth=1
	s_wait_alu 0xfffe
	s_or_b32 exec_lo, exec_lo, s80
	s_wait_loadcnt 0x0
	ds_store_b64 v95, v[0:1]
.LBB100_10:                             ;   in Loop: Header=BB100_4 Depth=1
	s_wait_alu 0xfffe
	s_or_b32 exec_lo, exec_lo, s18
	s_mul_u64 s[80:81], s[24:25], s[28:29]
	s_mov_b32 s18, -1
	s_wait_alu 0xfffe
	s_lshl_b64 s[80:81], s[80:81], 3
                                        ; implicit-def: $vgpr0_vgpr1
	s_wait_alu 0xfffe
	v_add_co_u32 v2, vcc_lo, v99, s80
	s_wait_alu 0xfffd
	v_add_co_ci_u32_e64 v3, null, s81, v100, vcc_lo
	s_and_b32 vcc_lo, exec_lo, s84
	s_wait_alu 0xfffe
	s_cbranch_vccz .LBB100_20
; %bb.11:                               ;   in Loop: Header=BB100_4 Depth=1
	v_add_co_u32 v0, vcc_lo, v2, v52
	s_wait_alu 0xfffd
	v_add_co_ci_u32_e64 v1, null, v3, v53, vcc_lo
	s_lshl_b64 s[80:81], s[30:31], 3
	v_mov_b32_e32 v6, 0
	s_wait_alu 0xfffe
	v_add_co_u32 v0, vcc_lo, v0, s80
	s_wait_alu 0xfffd
	v_add_co_ci_u32_e64 v1, null, s81, v1, vcc_lo
	v_dual_mov_b32 v7, 0 :: v_dual_mov_b32 v4, 0
	s_delay_alu instid0(VALU_DEP_3) | instskip(SKIP_1) | instid1(VALU_DEP_3)
	v_add_co_u32 v0, vcc_lo, v0, -8
	s_wait_alu 0xfffd
	v_add_co_ci_u32_e64 v1, null, -1, v1, vcc_lo
	v_mov_b32_e32 v5, 0
	s_delay_alu instid0(VALU_DEP_3) | instskip(NEXT) | instid1(VALU_DEP_3)
	v_cndmask_b32_e64 v0, v0, v2, s1
	v_cndmask_b32_e64 v1, v1, v3, s1
	s_and_saveexec_b32 s18, s2
	s_cbranch_execz .LBB100_13
; %bb.12:                               ;   in Loop: Header=BB100_4 Depth=1
	global_load_b64 v[4:5], v[0:1], off
.LBB100_13:                             ;   in Loop: Header=BB100_4 Depth=1
	s_wait_alu 0xfffe
	s_or_b32 exec_lo, exec_lo, s18
	s_wait_loadcnt 0x0
	ds_store_b64 v135, v[4:5]
	s_and_saveexec_b32 s18, s3
	s_cbranch_execz .LBB100_15
; %bb.14:                               ;   in Loop: Header=BB100_4 Depth=1
	s_lshl_b64 s[80:81], s[36:37], 3
	s_wait_alu 0xfffe
	v_add_co_u32 v4, vcc_lo, v0, s80
	s_wait_alu 0xfffd
	v_add_co_ci_u32_e64 v5, null, s81, v1, vcc_lo
	global_load_b64 v[6:7], v[4:5], off
.LBB100_15:                             ;   in Loop: Header=BB100_4 Depth=1
	s_wait_alu 0xfffe
	s_or_b32 exec_lo, exec_lo, s18
	v_mov_b32_e32 v4, 0
	v_dual_mov_b32 v5, 0 :: v_dual_mov_b32 v8, 0
	v_mov_b32_e32 v9, 0
	s_wait_loadcnt 0x0
	ds_store_b64 v135, v[6:7] offset:2112
	s_and_saveexec_b32 s18, s4
	s_cbranch_execz .LBB100_17
; %bb.16:                               ;   in Loop: Header=BB100_4 Depth=1
	v_add_co_u32 v6, vcc_lo, v0, s54
	s_wait_alu 0xfffd
	v_add_co_ci_u32_e64 v7, null, s55, v1, vcc_lo
	global_load_b64 v[8:9], v[6:7], off
.LBB100_17:                             ;   in Loop: Header=BB100_4 Depth=1
	s_wait_alu 0xfffe
	s_or_b32 exec_lo, exec_lo, s18
	s_wait_loadcnt 0x0
	ds_store_b64 v135, v[8:9] offset:4224
	s_and_saveexec_b32 s18, s5
	s_cbranch_execz .LBB100_19
; %bb.18:                               ;   in Loop: Header=BB100_4 Depth=1
	s_lshl_b64 s[80:81], s[38:39], 3
	s_wait_alu 0xfffe
	v_add_co_u32 v4, vcc_lo, v0, s80
	s_wait_alu 0xfffd
	v_add_co_ci_u32_e64 v5, null, s81, v1, vcc_lo
	global_load_b64 v[4:5], v[4:5], off
.LBB100_19:                             ;   in Loop: Header=BB100_4 Depth=1
	s_wait_alu 0xfffe
	s_or_b32 exec_lo, exec_lo, s18
	v_add_co_u32 v0, vcc_lo, v0, v139
	s_wait_alu 0xfffd
	v_add_co_ci_u32_e64 v1, null, 0, v1, vcc_lo
	s_lshl_b64 s[80:81], s[40:41], 3
	s_mov_b32 s18, 0
	s_wait_alu 0xfffe
	v_add_co_u32 v0, vcc_lo, v0, s80
	s_wait_alu 0xfffd
	v_add_co_ci_u32_e64 v1, null, s81, v1, vcc_lo
	s_wait_loadcnt 0x0
	ds_store_b64 v135, v[4:5] offset:6336
	v_add_co_u32 v0, vcc_lo, v0, 8
	s_wait_alu 0xfffd
	v_add_co_ci_u32_e64 v1, null, 0, v1, vcc_lo
	s_delay_alu instid0(VALU_DEP_2) | instskip(NEXT) | instid1(VALU_DEP_2)
	v_cndmask_b32_e64 v0, v0, v2, s1
	v_cndmask_b32_e64 v1, v1, v3, s1
.LBB100_20:                             ;   in Loop: Header=BB100_4 Depth=1
	s_and_b32 vcc_lo, exec_lo, s18
	s_wait_alu 0xfffe
	s_cbranch_vccz .LBB100_22
; %bb.21:                               ;   in Loop: Header=BB100_4 Depth=1
	s_lshl_b64 s[80:81], s[36:37], 3
	s_wait_alu 0xfffe
	v_add_co_u32 v0, vcc_lo, v2, s80
	s_wait_alu 0xfffd
	v_add_co_ci_u32_e64 v1, null, s81, v3, vcc_lo
	s_delay_alu instid0(VALU_DEP_2) | instskip(SKIP_1) | instid1(VALU_DEP_2)
	v_add_co_u32 v4, vcc_lo, v0, s42
	s_wait_alu 0xfffd
	v_add_co_ci_u32_e64 v5, null, s43, v1, vcc_lo
	s_delay_alu instid0(VALU_DEP_2) | instskip(SKIP_1) | instid1(VALU_DEP_2)
	v_add_co_u32 v6, vcc_lo, v4, s42
	s_wait_alu 0xfffd
	v_add_co_ci_u32_e64 v7, null, s43, v5, vcc_lo
	s_clause 0x3
	global_load_b64 v[8:9], v[2:3], off
	global_load_b64 v[10:11], v[0:1], off
	;; [unrolled: 1-line block ×4, first 2 shown]
	v_dual_mov_b32 v0, v2 :: v_dual_mov_b32 v1, v3
	s_wait_loadcnt 0x3
	ds_store_b64 v135, v[8:9]
	s_wait_loadcnt 0x2
	ds_store_b64 v135, v[10:11] offset:2112
	s_wait_loadcnt 0x1
	ds_store_b64 v135, v[4:5] offset:4224
	;; [unrolled: 2-line block ×3, first 2 shown]
.LBB100_22:                             ;   in Loop: Header=BB100_4 Depth=1
	s_wait_dscnt 0x0
	s_barrier_signal -1
	s_barrier_wait -1
	global_inv scope:SCOPE_SE
	s_and_saveexec_b32 s18, s6
	s_cbranch_execnz .LBB100_123
; %bb.23:                               ;   in Loop: Header=BB100_4 Depth=1
	s_wait_alu 0xfffe
	s_or_b32 exec_lo, exec_lo, s18
	s_and_saveexec_b32 s18, s7
	s_cbranch_execnz .LBB100_124
.LBB100_24:                             ;   in Loop: Header=BB100_4 Depth=1
	s_wait_alu 0xfffe
	s_or_b32 exec_lo, exec_lo, s18
	s_and_saveexec_b32 s18, s8
	s_cbranch_execnz .LBB100_125
.LBB100_25:                             ;   in Loop: Header=BB100_4 Depth=1
	s_wait_alu 0xfffe
	s_or_b32 exec_lo, exec_lo, s18
	s_and_saveexec_b32 s18, s9
	s_cbranch_execz .LBB100_27
.LBB100_26:                             ;   in Loop: Header=BB100_4 Depth=1
	ds_load_b64 v[2:3], v137 offset:528
	s_wait_dscnt 0x0
	ds_store_b64 v102, v[2:3] offset:24
.LBB100_27:                             ;   in Loop: Header=BB100_4 Depth=1
	s_wait_alu 0xfffe
	s_or_b32 exec_lo, exec_lo, s18
	s_wait_loadcnt_dscnt 0x0
	s_barrier_signal -1
	s_barrier_wait -1
	global_inv scope:SCOPE_SE
	ds_load_b64 v[10:11], v136
	ds_load_b128 v[2:5], v103
	ds_load_b128 v[6:9], v103 offset:16
	ds_load_b64 v[18:19], v137 offset:528
	ds_load_2addr_b64 v[14:17], v137 offset1:33
	v_mov_b32_e32 v56, 0
	v_mov_b32_e32 v57, 0
	s_wait_loadcnt_dscnt 0x0
	s_barrier_signal -1
	s_barrier_wait -1
	global_inv scope:SCOPE_SE
	v_fma_f64 v[2:3], v[10:11], v[2:3], 0
	s_delay_alu instid0(VALU_DEP_1) | instskip(NEXT) | instid1(VALU_DEP_1)
	v_fma_f64 v[2:3], v[14:15], v[4:5], v[2:3]
	v_fma_f64 v[2:3], v[16:17], v[6:7], v[2:3]
	s_delay_alu instid0(VALU_DEP_1)
	v_fma_f64 v[2:3], v[18:19], v[8:9], v[2:3]
	ds_store_b64 v104, v[2:3]
	s_wait_loadcnt_dscnt 0x0
	s_barrier_signal -1
	s_barrier_wait -1
	global_inv scope:SCOPE_SE
	s_and_saveexec_b32 s18, s10
	s_cbranch_execz .LBB100_29
; %bb.28:                               ;   in Loop: Header=BB100_4 Depth=1
	ds_load_2addr_b64 v[2:5], v101 offset1:1
	ds_load_2addr_b64 v[6:9], v101 offset0:2 offset1:3
	s_wait_dscnt 0x1
	v_add_f64_e32 v[2:3], v[2:3], v[4:5]
	s_wait_dscnt 0x0
	s_delay_alu instid0(VALU_DEP_1) | instskip(NEXT) | instid1(VALU_DEP_1)
	v_add_f64_e32 v[2:3], v[2:3], v[6:7]
	v_add_f64_e32 v[10:11], v[2:3], v[8:9]
	ds_load_2addr_b64 v[2:5], v101 offset0:4 offset1:5
	ds_load_2addr_b64 v[6:9], v101 offset0:6 offset1:7
	s_wait_dscnt 0x1
	v_add_f64_e32 v[2:3], v[10:11], v[2:3]
	s_delay_alu instid0(VALU_DEP_1) | instskip(SKIP_1) | instid1(VALU_DEP_1)
	v_add_f64_e32 v[2:3], v[2:3], v[4:5]
	s_wait_dscnt 0x0
	v_add_f64_e32 v[2:3], v[2:3], v[6:7]
	s_delay_alu instid0(VALU_DEP_1)
	v_add_f64_e32 v[56:57], v[2:3], v[8:9]
.LBB100_29:                             ;   in Loop: Header=BB100_4 Depth=1
	s_wait_alu 0xfffe
	s_or_b32 exec_lo, exec_lo, s18
	v_add_co_u32 v4, vcc_lo, v0, s46
	s_wait_alu 0xfffd
	v_add_co_ci_u32_e64 v5, null, s47, v1, vcc_lo
	s_mov_b32 s18, -1
	v_add_co_u32 v2, vcc_lo, 0x100, v4
	s_wait_alu 0xfffd
	v_add_co_ci_u32_e64 v3, null, 0, v5, vcc_lo
	s_and_b32 vcc_lo, exec_lo, s84
	s_wait_loadcnt 0x0
	s_barrier_signal -1
	s_barrier_wait -1
	global_inv scope:SCOPE_SE
                                        ; implicit-def: $vgpr0_vgpr1
	s_wait_alu 0xfffe
	s_cbranch_vccz .LBB100_39
; %bb.30:                               ;   in Loop: Header=BB100_4 Depth=1
	v_add_co_u32 v0, vcc_lo, v4, v52
	s_wait_alu 0xfffd
	v_add_co_ci_u32_e64 v1, null, v5, v53, vcc_lo
	s_lshl_b64 s[80:81], s[30:31], 3
	v_mov_b32_e32 v8, 0
	s_wait_alu 0xfffe
	v_add_co_u32 v0, vcc_lo, v0, s80
	s_wait_alu 0xfffd
	v_add_co_ci_u32_e64 v1, null, s81, v1, vcc_lo
	v_dual_mov_b32 v9, 0 :: v_dual_mov_b32 v6, 0
	s_delay_alu instid0(VALU_DEP_3) | instskip(SKIP_1) | instid1(VALU_DEP_3)
	v_add_co_u32 v0, vcc_lo, v0, -8
	s_wait_alu 0xfffd
	v_add_co_ci_u32_e64 v1, null, -1, v1, vcc_lo
	v_mov_b32_e32 v7, 0
	s_delay_alu instid0(VALU_DEP_3) | instskip(NEXT) | instid1(VALU_DEP_3)
	v_cndmask_b32_e64 v0, v0, v2, s11
	v_cndmask_b32_e64 v1, v1, v3, s11
	s_and_saveexec_b32 s18, s12
	s_cbranch_execz .LBB100_32
; %bb.31:                               ;   in Loop: Header=BB100_4 Depth=1
	global_load_b64 v[6:7], v[0:1], off
.LBB100_32:                             ;   in Loop: Header=BB100_4 Depth=1
	s_wait_alu 0xfffe
	s_or_b32 exec_lo, exec_lo, s18
	s_wait_loadcnt 0x0
	ds_store_b64 v135, v[6:7]
	s_and_saveexec_b32 s18, s13
	s_cbranch_execz .LBB100_34
; %bb.33:                               ;   in Loop: Header=BB100_4 Depth=1
	s_lshl_b64 s[80:81], s[36:37], 3
	s_wait_alu 0xfffe
	v_add_co_u32 v6, vcc_lo, v0, s80
	s_wait_alu 0xfffd
	v_add_co_ci_u32_e64 v7, null, s81, v1, vcc_lo
	global_load_b64 v[8:9], v[6:7], off
.LBB100_34:                             ;   in Loop: Header=BB100_4 Depth=1
	s_wait_alu 0xfffe
	s_or_b32 exec_lo, exec_lo, s18
	v_mov_b32_e32 v6, 0
	v_dual_mov_b32 v7, 0 :: v_dual_mov_b32 v10, 0
	v_mov_b32_e32 v11, 0
	s_wait_loadcnt 0x0
	ds_store_b64 v135, v[8:9] offset:2112
	s_and_saveexec_b32 s18, s14
	s_cbranch_execz .LBB100_36
; %bb.35:                               ;   in Loop: Header=BB100_4 Depth=1
	v_add_co_u32 v8, vcc_lo, v0, s54
	s_wait_alu 0xfffd
	v_add_co_ci_u32_e64 v9, null, s55, v1, vcc_lo
	global_load_b64 v[10:11], v[8:9], off
.LBB100_36:                             ;   in Loop: Header=BB100_4 Depth=1
	s_wait_alu 0xfffe
	s_or_b32 exec_lo, exec_lo, s18
	s_wait_loadcnt 0x0
	ds_store_b64 v135, v[10:11] offset:4224
	s_and_saveexec_b32 s18, s15
	s_cbranch_execz .LBB100_38
; %bb.37:                               ;   in Loop: Header=BB100_4 Depth=1
	s_lshl_b64 s[80:81], s[38:39], 3
	s_wait_alu 0xfffe
	v_add_co_u32 v6, vcc_lo, v0, s80
	s_wait_alu 0xfffd
	v_add_co_ci_u32_e64 v7, null, s81, v1, vcc_lo
	global_load_b64 v[6:7], v[6:7], off
.LBB100_38:                             ;   in Loop: Header=BB100_4 Depth=1
	s_wait_alu 0xfffe
	s_or_b32 exec_lo, exec_lo, s18
	v_add_co_u32 v0, vcc_lo, v0, v139
	s_wait_alu 0xfffd
	v_add_co_ci_u32_e64 v1, null, 0, v1, vcc_lo
	s_lshl_b64 s[80:81], s[40:41], 3
	s_mov_b32 s18, 0
	s_wait_alu 0xfffe
	v_add_co_u32 v0, vcc_lo, v0, s80
	s_wait_alu 0xfffd
	v_add_co_ci_u32_e64 v1, null, s81, v1, vcc_lo
	s_wait_loadcnt 0x0
	ds_store_b64 v135, v[6:7] offset:6336
	v_add_co_u32 v0, vcc_lo, 0x108, v0
	s_wait_alu 0xfffd
	v_add_co_ci_u32_e64 v1, null, 0, v1, vcc_lo
	s_delay_alu instid0(VALU_DEP_2) | instskip(NEXT) | instid1(VALU_DEP_2)
	v_cndmask_b32_e64 v0, v0, v2, s11
	v_cndmask_b32_e64 v1, v1, v3, s11
.LBB100_39:                             ;   in Loop: Header=BB100_4 Depth=1
	s_and_b32 vcc_lo, exec_lo, s18
	s_wait_alu 0xfffe
	s_cbranch_vccz .LBB100_41
; %bb.40:                               ;   in Loop: Header=BB100_4 Depth=1
	s_lshl_b64 s[80:81], s[36:37], 3
	s_wait_alu 0xfffe
	v_add_co_u32 v0, vcc_lo, v4, s80
	s_wait_alu 0xfffd
	v_add_co_ci_u32_e64 v1, null, s81, v5, vcc_lo
	s_delay_alu instid0(VALU_DEP_2) | instskip(SKIP_1) | instid1(VALU_DEP_2)
	v_add_co_u32 v6, vcc_lo, v0, s42
	s_wait_alu 0xfffd
	v_add_co_ci_u32_e64 v7, null, s43, v1, vcc_lo
	s_delay_alu instid0(VALU_DEP_2) | instskip(SKIP_1) | instid1(VALU_DEP_2)
	v_add_co_u32 v8, vcc_lo, v6, s42
	s_wait_alu 0xfffd
	v_add_co_ci_u32_e64 v9, null, s43, v7, vcc_lo
	s_clause 0x3
	global_load_b64 v[4:5], v[4:5], off offset:256
	global_load_b64 v[10:11], v[0:1], off offset:256
	;; [unrolled: 1-line block ×4, first 2 shown]
	v_dual_mov_b32 v0, v2 :: v_dual_mov_b32 v1, v3
	s_wait_loadcnt 0x3
	ds_store_b64 v135, v[4:5]
	s_wait_loadcnt 0x2
	ds_store_b64 v135, v[10:11] offset:2112
	s_wait_loadcnt 0x1
	ds_store_b64 v135, v[6:7] offset:4224
	;; [unrolled: 2-line block ×3, first 2 shown]
.LBB100_41:                             ;   in Loop: Header=BB100_4 Depth=1
	s_wait_loadcnt_dscnt 0x0
	s_barrier_signal -1
	s_barrier_wait -1
	global_inv scope:SCOPE_SE
	s_and_saveexec_b32 s18, s6
	s_cbranch_execnz .LBB100_126
; %bb.42:                               ;   in Loop: Header=BB100_4 Depth=1
	s_wait_alu 0xfffe
	s_or_b32 exec_lo, exec_lo, s18
	s_and_saveexec_b32 s18, s7
	s_cbranch_execnz .LBB100_127
.LBB100_43:                             ;   in Loop: Header=BB100_4 Depth=1
	s_wait_alu 0xfffe
	s_or_b32 exec_lo, exec_lo, s18
	s_and_saveexec_b32 s18, s8
	s_cbranch_execnz .LBB100_128
.LBB100_44:                             ;   in Loop: Header=BB100_4 Depth=1
	s_wait_alu 0xfffe
	s_or_b32 exec_lo, exec_lo, s18
	s_and_saveexec_b32 s18, s9
	s_cbranch_execz .LBB100_46
.LBB100_45:                             ;   in Loop: Header=BB100_4 Depth=1
	ds_load_b64 v[2:3], v137 offset:528
	s_wait_dscnt 0x0
	ds_store_b64 v102, v[2:3] offset:24
.LBB100_46:                             ;   in Loop: Header=BB100_4 Depth=1
	s_wait_alu 0xfffe
	s_or_b32 exec_lo, exec_lo, s18
	s_wait_loadcnt_dscnt 0x0
	s_barrier_signal -1
	s_barrier_wait -1
	global_inv scope:SCOPE_SE
	ds_load_b64 v[10:11], v136
	ds_load_b128 v[2:5], v103 offset:256
	ds_load_b128 v[6:9], v103 offset:272
	ds_load_b64 v[18:19], v137 offset:528
	ds_load_2addr_b64 v[14:17], v137 offset1:33
	s_wait_loadcnt_dscnt 0x0
	s_barrier_signal -1
	s_barrier_wait -1
	global_inv scope:SCOPE_SE
	v_fma_f64 v[2:3], v[10:11], v[2:3], 0
	s_delay_alu instid0(VALU_DEP_1) | instskip(NEXT) | instid1(VALU_DEP_1)
	v_fma_f64 v[2:3], v[14:15], v[4:5], v[2:3]
	v_fma_f64 v[2:3], v[16:17], v[6:7], v[2:3]
	s_delay_alu instid0(VALU_DEP_1)
	v_fma_f64 v[2:3], v[18:19], v[8:9], v[2:3]
	ds_store_b64 v104, v[2:3]
	s_wait_loadcnt_dscnt 0x0
	s_barrier_signal -1
	s_barrier_wait -1
	global_inv scope:SCOPE_SE
	s_and_saveexec_b32 s18, s16
	s_cbranch_execz .LBB100_48
; %bb.47:                               ;   in Loop: Header=BB100_4 Depth=1
	ds_load_2addr_b64 v[2:5], v101 offset1:1
	ds_load_2addr_b64 v[6:9], v101 offset0:2 offset1:3
	s_wait_dscnt 0x1
	v_add_f64_e32 v[2:3], v[2:3], v[4:5]
	s_wait_dscnt 0x0
	s_delay_alu instid0(VALU_DEP_1) | instskip(NEXT) | instid1(VALU_DEP_1)
	v_add_f64_e32 v[2:3], v[2:3], v[6:7]
	v_add_f64_e32 v[10:11], v[2:3], v[8:9]
	ds_load_2addr_b64 v[2:5], v101 offset0:4 offset1:5
	ds_load_2addr_b64 v[6:9], v101 offset0:6 offset1:7
	s_wait_dscnt 0x1
	v_add_f64_e32 v[2:3], v[10:11], v[2:3]
	s_delay_alu instid0(VALU_DEP_1) | instskip(SKIP_1) | instid1(VALU_DEP_1)
	v_add_f64_e32 v[2:3], v[2:3], v[4:5]
	s_wait_dscnt 0x0
	v_add_f64_e32 v[2:3], v[2:3], v[6:7]
	s_delay_alu instid0(VALU_DEP_1)
	v_add_f64_e32 v[56:57], v[2:3], v[8:9]
.LBB100_48:                             ;   in Loop: Header=BB100_4 Depth=1
	s_wait_alu 0xfffe
	s_or_b32 exec_lo, exec_lo, s18
	v_add_co_u32 v2, vcc_lo, 0xffffff00, v0
	s_wait_alu 0xfffd
	v_add_co_ci_u32_e64 v3, null, -1, v1, vcc_lo
	s_and_b32 vcc_lo, exec_lo, s84
	s_mov_b32 s18, -1
	s_wait_loadcnt 0x0
	s_barrier_signal -1
	s_barrier_wait -1
	global_inv scope:SCOPE_SE
                                        ; implicit-def: $vgpr14_vgpr15
	s_wait_alu 0xfffe
	s_cbranch_vccz .LBB100_58
; %bb.49:                               ;   in Loop: Header=BB100_4 Depth=1
	v_add_co_u32 v4, vcc_lo, v0, v52
	s_wait_alu 0xfffd
	v_add_co_ci_u32_e64 v5, null, v1, v53, vcc_lo
	s_lshl_b64 s[80:81], s[30:31], 3
	v_mov_b32_e32 v8, 0
	s_wait_alu 0xfffe
	v_add_co_u32 v4, vcc_lo, v4, s80
	s_wait_alu 0xfffd
	v_add_co_ci_u32_e64 v5, null, s81, v5, vcc_lo
	v_dual_mov_b32 v9, 0 :: v_dual_mov_b32 v6, 0
	s_delay_alu instid0(VALU_DEP_3) | instskip(SKIP_1) | instid1(VALU_DEP_3)
	v_add_co_u32 v4, vcc_lo, 0xfffffef8, v4
	s_wait_alu 0xfffd
	v_add_co_ci_u32_e64 v5, null, -1, v5, vcc_lo
	v_mov_b32_e32 v7, 0
	s_delay_alu instid0(VALU_DEP_3) | instskip(NEXT) | instid1(VALU_DEP_3)
	v_cndmask_b32_e64 v4, v4, v2, s1
	v_cndmask_b32_e64 v5, v5, v3, s1
	s_and_saveexec_b32 s18, s12
	s_cbranch_execz .LBB100_51
; %bb.50:                               ;   in Loop: Header=BB100_4 Depth=1
	global_load_b64 v[6:7], v[4:5], off
.LBB100_51:                             ;   in Loop: Header=BB100_4 Depth=1
	s_wait_alu 0xfffe
	s_or_b32 exec_lo, exec_lo, s18
	s_wait_loadcnt 0x0
	ds_store_b64 v135, v[6:7]
	s_and_saveexec_b32 s18, s13
	s_cbranch_execz .LBB100_53
; %bb.52:                               ;   in Loop: Header=BB100_4 Depth=1
	s_lshl_b64 s[80:81], s[36:37], 3
	s_wait_alu 0xfffe
	v_add_co_u32 v6, vcc_lo, v4, s80
	s_wait_alu 0xfffd
	v_add_co_ci_u32_e64 v7, null, s81, v5, vcc_lo
	global_load_b64 v[8:9], v[6:7], off
.LBB100_53:                             ;   in Loop: Header=BB100_4 Depth=1
	s_wait_alu 0xfffe
	s_or_b32 exec_lo, exec_lo, s18
	v_mov_b32_e32 v6, 0
	v_dual_mov_b32 v7, 0 :: v_dual_mov_b32 v10, 0
	v_mov_b32_e32 v11, 0
	s_wait_loadcnt 0x0
	ds_store_b64 v135, v[8:9] offset:2112
	s_and_saveexec_b32 s18, s14
	s_cbranch_execz .LBB100_55
; %bb.54:                               ;   in Loop: Header=BB100_4 Depth=1
	v_add_co_u32 v8, vcc_lo, v4, s54
	s_wait_alu 0xfffd
	v_add_co_ci_u32_e64 v9, null, s55, v5, vcc_lo
	global_load_b64 v[10:11], v[8:9], off
.LBB100_55:                             ;   in Loop: Header=BB100_4 Depth=1
	s_wait_alu 0xfffe
	s_or_b32 exec_lo, exec_lo, s18
	s_wait_loadcnt 0x0
	ds_store_b64 v135, v[10:11] offset:4224
	s_and_saveexec_b32 s18, s15
	s_cbranch_execz .LBB100_57
; %bb.56:                               ;   in Loop: Header=BB100_4 Depth=1
	s_lshl_b64 s[80:81], s[38:39], 3
	s_wait_alu 0xfffe
	v_add_co_u32 v6, vcc_lo, v4, s80
	s_wait_alu 0xfffd
	v_add_co_ci_u32_e64 v7, null, s81, v5, vcc_lo
	global_load_b64 v[6:7], v[6:7], off
.LBB100_57:                             ;   in Loop: Header=BB100_4 Depth=1
	s_wait_alu 0xfffe
	s_or_b32 exec_lo, exec_lo, s18
	v_add_co_u32 v4, vcc_lo, v4, v139
	s_wait_alu 0xfffd
	v_add_co_ci_u32_e64 v5, null, 0, v5, vcc_lo
	s_lshl_b64 s[80:81], s[40:41], 3
	s_mov_b32 s18, 0
	s_wait_alu 0xfffe
	v_add_co_u32 v4, vcc_lo, v4, s80
	s_wait_alu 0xfffd
	v_add_co_ci_u32_e64 v5, null, s81, v5, vcc_lo
	s_wait_loadcnt 0x0
	ds_store_b64 v135, v[6:7] offset:6336
	v_add_co_u32 v4, vcc_lo, v4, 8
	s_wait_alu 0xfffd
	v_add_co_ci_u32_e64 v5, null, 0, v5, vcc_lo
	s_delay_alu instid0(VALU_DEP_2) | instskip(NEXT) | instid1(VALU_DEP_2)
	v_cndmask_b32_e64 v14, v4, v2, s1
	v_cndmask_b32_e64 v15, v5, v3, s1
.LBB100_58:                             ;   in Loop: Header=BB100_4 Depth=1
	s_and_b32 vcc_lo, exec_lo, s18
	s_wait_alu 0xfffe
	s_cbranch_vccz .LBB100_60
; %bb.59:                               ;   in Loop: Header=BB100_4 Depth=1
	s_lshl_b64 s[80:81], s[36:37], 3
	v_dual_mov_b32 v15, v3 :: v_dual_mov_b32 v14, v2
	s_wait_alu 0xfffe
	v_add_co_u32 v4, vcc_lo, v0, s80
	s_wait_alu 0xfffd
	v_add_co_ci_u32_e64 v5, null, s81, v1, vcc_lo
	s_delay_alu instid0(VALU_DEP_2) | instskip(SKIP_1) | instid1(VALU_DEP_2)
	v_add_co_u32 v6, vcc_lo, v4, s42
	s_wait_alu 0xfffd
	v_add_co_ci_u32_e64 v7, null, s43, v5, vcc_lo
	s_delay_alu instid0(VALU_DEP_2) | instskip(SKIP_1) | instid1(VALU_DEP_2)
	v_add_co_u32 v8, vcc_lo, v6, s42
	s_wait_alu 0xfffd
	v_add_co_ci_u32_e64 v9, null, s43, v7, vcc_lo
	s_clause 0x3
	global_load_b64 v[0:1], v[0:1], off offset:-256
	global_load_b64 v[4:5], v[4:5], off offset:-256
	;; [unrolled: 1-line block ×4, first 2 shown]
	s_wait_loadcnt 0x3
	ds_store_b64 v135, v[0:1]
	s_wait_loadcnt 0x2
	ds_store_b64 v135, v[4:5] offset:2112
	s_wait_loadcnt 0x1
	ds_store_b64 v135, v[6:7] offset:4224
	;; [unrolled: 2-line block ×3, first 2 shown]
.LBB100_60:                             ;   in Loop: Header=BB100_4 Depth=1
	v_add_nc_u32_e32 v0, v102, v106
	v_add_nc_u32_e32 v2, v103, v106
	s_wait_loadcnt_dscnt 0x0
	s_barrier_signal -1
	s_barrier_wait -1
	global_inv scope:SCOPE_SE
	ds_load_b64 v[0:1], v0
	ds_load_b64 v[2:3], v2
	s_wait_dscnt 0x0
	v_fma_f64 v[8:9], v[0:1], v[2:3], 0
	ds_load_2addr_b64 v[0:3], v113 offset0:8 offset1:16
	ds_load_2addr_b64 v[4:7], v114 offset0:8 offset1:16
	s_wait_dscnt 0x0
	v_fma_f64 v[0:1], v[0:1], v[4:5], v[8:9]
	s_delay_alu instid0(VALU_DEP_1)
	v_fma_f64 v[0:1], v[2:3], v[6:7], v[0:1]
	ds_load_b64 v[2:3], v113 offset:192
	ds_load_b64 v[4:5], v114 offset:192
	ds_load_b64 v[18:19], v136
	ds_load_b64 v[16:17], v137 offset:528
	s_wait_dscnt 0x2
	v_fma_f64 v[20:21], v[2:3], v[4:5], v[0:1]
	ds_load_b128 v[8:11], v103 offset:256
	ds_load_b128 v[0:3], v103 offset:272
	ds_load_2addr_b64 v[4:7], v137 offset1:33
	s_wait_loadcnt_dscnt 0x0
	s_barrier_signal -1
	s_barrier_wait -1
	global_inv scope:SCOPE_SE
	ds_store_b64 v104, v[20:21]
	s_wait_loadcnt_dscnt 0x0
	s_barrier_signal -1
	s_barrier_wait -1
	global_inv scope:SCOPE_SE
	s_and_saveexec_b32 s18, s16
	s_cbranch_execz .LBB100_62
; %bb.61:                               ;   in Loop: Header=BB100_4 Depth=1
	ds_load_2addr_b64 v[20:23], v101 offset1:1
	ds_load_2addr_b64 v[24:27], v101 offset0:2 offset1:3
	s_wait_dscnt 0x1
	v_add_f64_e32 v[20:21], v[56:57], v[20:21]
	s_delay_alu instid0(VALU_DEP_1) | instskip(SKIP_1) | instid1(VALU_DEP_1)
	v_add_f64_e32 v[20:21], v[20:21], v[22:23]
	s_wait_dscnt 0x0
	v_add_f64_e32 v[20:21], v[20:21], v[24:25]
	s_delay_alu instid0(VALU_DEP_1) | instskip(SKIP_4) | instid1(VALU_DEP_1)
	v_add_f64_e32 v[28:29], v[20:21], v[26:27]
	ds_load_2addr_b64 v[20:23], v101 offset0:4 offset1:5
	ds_load_2addr_b64 v[24:27], v101 offset0:6 offset1:7
	s_wait_dscnt 0x1
	v_add_f64_e32 v[20:21], v[28:29], v[20:21]
	v_add_f64_e32 v[20:21], v[20:21], v[22:23]
	s_wait_dscnt 0x0
	s_delay_alu instid0(VALU_DEP_1) | instskip(NEXT) | instid1(VALU_DEP_1)
	v_add_f64_e32 v[20:21], v[20:21], v[24:25]
	v_add_f64_e32 v[56:57], v[20:21], v[26:27]
.LBB100_62:                             ;   in Loop: Header=BB100_4 Depth=1
	s_wait_alu 0xfffe
	s_or_b32 exec_lo, exec_lo, s18
	v_fma_f64 v[8:9], v[18:19], v[8:9], 0
	s_wait_loadcnt 0x0
	s_barrier_signal -1
	s_barrier_wait -1
	global_inv scope:SCOPE_SE
	v_fma_f64 v[4:5], v[4:5], v[10:11], v[8:9]
	s_delay_alu instid0(VALU_DEP_1) | instskip(NEXT) | instid1(VALU_DEP_1)
	v_fma_f64 v[0:1], v[6:7], v[0:1], v[4:5]
	v_fma_f64 v[0:1], v[16:17], v[2:3], v[0:1]
	ds_store_b64 v104, v[0:1]
	s_wait_loadcnt_dscnt 0x0
	s_barrier_signal -1
	s_barrier_wait -1
	global_inv scope:SCOPE_SE
	s_and_saveexec_b32 s18, s10
	s_cbranch_execz .LBB100_64
; %bb.63:                               ;   in Loop: Header=BB100_4 Depth=1
	ds_load_2addr_b64 v[0:3], v101 offset1:1
	ds_load_2addr_b64 v[4:7], v101 offset0:2 offset1:3
	s_wait_dscnt 0x1
	v_add_f64_e32 v[0:1], v[56:57], v[0:1]
	s_delay_alu instid0(VALU_DEP_1) | instskip(SKIP_1) | instid1(VALU_DEP_1)
	v_add_f64_e32 v[0:1], v[0:1], v[2:3]
	s_wait_dscnt 0x0
	v_add_f64_e32 v[0:1], v[0:1], v[4:5]
	s_delay_alu instid0(VALU_DEP_1) | instskip(SKIP_4) | instid1(VALU_DEP_1)
	v_add_f64_e32 v[8:9], v[0:1], v[6:7]
	ds_load_2addr_b64 v[0:3], v101 offset0:4 offset1:5
	ds_load_2addr_b64 v[4:7], v101 offset0:6 offset1:7
	s_wait_dscnt 0x1
	v_add_f64_e32 v[0:1], v[8:9], v[0:1]
	v_add_f64_e32 v[0:1], v[0:1], v[2:3]
	s_wait_dscnt 0x0
	s_delay_alu instid0(VALU_DEP_1) | instskip(NEXT) | instid1(VALU_DEP_1)
	v_add_f64_e32 v[0:1], v[0:1], v[4:5]
	v_add_f64_e32 v[56:57], v[0:1], v[6:7]
.LBB100_64:                             ;   in Loop: Header=BB100_4 Depth=1
	s_wait_alu 0xfffe
	s_or_b32 exec_lo, exec_lo, s18
	s_mul_u64 s[80:81], s[26:27], s[28:29]
	s_and_not1_b32 vcc_lo, exec_lo, s86
	s_wait_alu 0xfffe
	s_lshl_b64 s[80:81], s[80:81], 3
	s_wait_loadcnt 0x0
	s_wait_alu 0xfffe
	s_add_nc_u64 s[80:81], s[34:35], s[80:81]
	s_barrier_signal -1
	s_barrier_wait -1
	global_inv scope:SCOPE_SE
	s_cbranch_vccnz .LBB100_121
; %bb.65:                               ;   in Loop: Header=BB100_4 Depth=1
	v_add_co_u32 v140, vcc_lo, v12, s78
	s_wait_alu 0xfffd
	v_add_co_ci_u32_e64 v141, null, s79, v13, vcc_lo
	v_add_co_u32 v142, vcc_lo, v14, s46
	s_wait_alu 0xfffd
	v_add_co_ci_u32_e64 v143, null, s47, v15, vcc_lo
	v_add_co_u32 v144, vcc_lo, v14, s48
	s_wait_alu 0xfffd
	v_add_co_ci_u32_e64 v145, null, s49, v15, vcc_lo
	v_add_co_u32 v146, vcc_lo, v14, v120
	s_wait_alu 0xfffd
	v_add_co_ci_u32_e64 v147, null, v15, v121, vcc_lo
	v_add_co_u32 v148, vcc_lo, v14, s50
	s_wait_alu 0xfffd
	v_add_co_ci_u32_e64 v149, null, s51, v15, vcc_lo
	v_add_co_u32 v150, vcc_lo, v14, s52
	s_wait_alu 0xfffd
	v_add_co_ci_u32_e64 v151, null, s53, v15, vcc_lo
	v_add_co_u32 v152, vcc_lo, v14, s56
	s_wait_alu 0xfffd
	v_add_co_ci_u32_e64 v153, null, s57, v15, vcc_lo
	v_add_co_u32 v154, vcc_lo, v14, s58
	s_wait_alu 0xfffd
	v_add_co_ci_u32_e64 v155, null, s59, v15, vcc_lo
	v_add_co_u32 v156, vcc_lo, v14, s60
	s_wait_alu 0xfffd
	v_add_co_ci_u32_e64 v157, null, s61, v15, vcc_lo
	v_add_co_u32 v158, vcc_lo, v14, s62
	s_wait_alu 0xfffd
	v_add_co_ci_u32_e64 v159, null, s63, v15, vcc_lo
	v_add_co_u32 v160, vcc_lo, v14, s64
	s_wait_alu 0xfffd
	v_add_co_ci_u32_e64 v161, null, s65, v15, vcc_lo
	v_add_co_u32 v162, vcc_lo, v14, s66
	s_wait_alu 0xfffd
	v_add_co_ci_u32_e64 v163, null, s67, v15, vcc_lo
	v_add_co_u32 v164, vcc_lo, v14, v122
	s_wait_alu 0xfffd
	v_add_co_ci_u32_e64 v165, null, v15, v123, vcc_lo
	v_add_co_u32 v166, vcc_lo, v14, s68
	s_wait_alu 0xfffd
	v_add_co_ci_u32_e64 v167, null, s69, v15, vcc_lo
	v_add_co_u32 v168, vcc_lo, v14, s70
	s_wait_alu 0xfffd
	v_add_co_ci_u32_e64 v169, null, s71, v15, vcc_lo
	v_add_co_u32 v170, vcc_lo, v14, s72
	s_wait_alu 0xfffd
	v_add_co_ci_u32_e64 v171, null, s73, v15, vcc_lo
	v_add_co_u32 v172, vcc_lo, v14, s74
	s_wait_alu 0xfffd
	v_add_co_ci_u32_e64 v173, null, s75, v15, vcc_lo
	v_add_co_u32 v174, vcc_lo, v14, s76
	s_wait_alu 0xfffd
	v_add_co_ci_u32_e64 v175, null, s77, v15, vcc_lo
	v_add_co_u32 v176, vcc_lo, v14, v124
	s_wait_alu 0xfffd
	v_add_co_ci_u32_e64 v177, null, v15, v125, vcc_lo
	v_add_co_u32 v178, vcc_lo, v14, v49
	s_wait_alu 0xfffd
	v_add_co_ci_u32_e64 v179, null, v15, v50, vcc_lo
	v_add_co_u32 v180, vcc_lo, v14, v126
	s_wait_alu 0xfffd
	v_add_co_ci_u32_e64 v181, null, v15, v127, vcc_lo
	v_add_co_u32 v182, vcc_lo, v14, v128
	s_wait_alu 0xfffd
	v_add_co_ci_u32_e64 v183, null, v15, v129, vcc_lo
	v_add_co_u32 v184, vcc_lo, v14, v130
	s_wait_alu 0xfffd
	v_add_co_ci_u32_e64 v185, null, v15, v131, vcc_lo
	v_add_co_u32 v186, vcc_lo, v14, v132
	s_wait_alu 0xfffd
	v_add_co_ci_u32_e64 v187, null, v15, v133, vcc_lo
	v_add_co_u32 v188, vcc_lo, v14, v51
	s_wait_alu 0xfffd
	v_add_co_ci_u32_e64 v189, null, v15, v134, vcc_lo
	v_mov_b32_e32 v58, v115
	s_mov_b32 s91, ttmp9
	s_mov_b32 s82, s90
	s_cmp_eq_u32 s87, s91
	s_cselect_b32 s92, s23, 0
	s_and_saveexec_b32 s18, s0
	s_cbranch_execz .LBB100_69
.LBB100_66:                             ;   in Loop: Header=BB100_4 Depth=1
	s_wait_alu 0xfffe
	v_cmp_gt_i32_e32 vcc_lo, s92, v48
	s_cmp_eq_u32 s92, 0
	v_mov_b32_e32 v0, 0
	v_mov_b32_e32 v1, 0
	s_cselect_b32 s83, -1, 0
	s_wait_alu 0xfffe
	s_or_b32 s83, s83, vcc_lo
	s_wait_alu 0xfffe
	s_and_saveexec_b32 s93, s83
	s_cbranch_execz .LBB100_68
; %bb.67:                               ;   in Loop: Header=BB100_4 Depth=1
	s_ashr_i32 s83, s82, 31
	s_wait_alu 0xfffe
	s_lshl_b64 s[94:95], s[82:83], 3
	s_wait_alu 0xfffe
	v_add_co_u32 v0, vcc_lo, v140, s94
	s_wait_alu 0xfffd
	v_add_co_ci_u32_e64 v1, null, s95, v141, vcc_lo
	global_load_b64 v[0:1], v[0:1], off
.LBB100_68:                             ;   in Loop: Header=BB100_4 Depth=1
	s_wait_alu 0xfffe
	s_or_b32 exec_lo, exec_lo, s93
	v_add_nc_u32_e32 v2, 0x2180, v94
	s_wait_loadcnt 0x0
	ds_store_b64 v2, v[0:1]
.LBB100_69:                             ;   Parent Loop BB100_4 Depth=1
                                        ; =>  This Inner Loop Header: Depth=2
	s_wait_alu 0xfffe
	s_or_b32 exec_lo, exec_lo, s18
	s_cmp_eq_u32 s92, 0
	v_add_co_u32 v0, vcc_lo, v142, v118
	s_cselect_b32 s83, -1, 0
	s_cmp_lg_u32 s92, 0
	s_wait_alu 0xfffd
	v_add_co_ci_u32_e64 v1, null, v143, v119, vcc_lo
	s_cselect_b32 s18, -1, 0
	s_mov_b32 s93, -1
	s_wait_alu 0xfffe
	s_and_b32 vcc_lo, exec_lo, s18
	s_wait_loadcnt_dscnt 0x0
	s_barrier_signal -1
	s_barrier_wait -1
	global_inv scope:SCOPE_SE
                                        ; implicit-def: $vgpr66_vgpr67
                                        ; implicit-def: $vgpr64_vgpr65
                                        ; implicit-def: $vgpr62_vgpr63
                                        ; implicit-def: $vgpr60_vgpr61
	s_wait_alu 0xfffe
	s_cbranch_vccz .LBB100_79
; %bb.70:                               ;   in Loop: Header=BB100_69 Depth=2
	v_mov_b32_e32 v62, 0
	v_dual_mov_b32 v63, 0 :: v_dual_mov_b32 v60, 0
	v_mov_b32_e32 v61, 0
	s_mov_b32 s93, exec_lo
	v_cmpx_gt_i32_e64 s92, v105
	s_cbranch_execz .LBB100_72
; %bb.71:                               ;   in Loop: Header=BB100_69 Depth=2
	global_load_b64 v[60:61], v[0:1], off
.LBB100_72:                             ;   in Loop: Header=BB100_69 Depth=2
	s_wait_alu 0xfffe
	s_or_b32 exec_lo, exec_lo, s93
	v_or_b32_e32 v2, 1, v105
	s_mov_b32 s93, exec_lo
	s_delay_alu instid0(VALU_DEP_1)
	v_cmpx_gt_i32_e64 s92, v2
	s_cbranch_execz .LBB100_74
; %bb.73:                               ;   in Loop: Header=BB100_69 Depth=2
	v_add_co_u32 v2, vcc_lo, v148, v118
	s_wait_alu 0xfffd
	v_add_co_ci_u32_e64 v3, null, v149, v119, vcc_lo
	global_load_b64 v[62:63], v[2:3], off
.LBB100_74:                             ;   in Loop: Header=BB100_69 Depth=2
	s_wait_alu 0xfffe
	s_or_b32 exec_lo, exec_lo, s93
	v_mov_b32_e32 v66, 0
	v_dual_mov_b32 v67, 0 :: v_dual_mov_b32 v64, 0
	v_or_b32_e32 v2, 2, v105
	v_mov_b32_e32 v65, 0
	s_mov_b32 s93, exec_lo
	s_delay_alu instid0(VALU_DEP_2)
	v_cmpx_gt_i32_e64 s92, v2
	s_cbranch_execz .LBB100_76
; %bb.75:                               ;   in Loop: Header=BB100_69 Depth=2
	v_add_co_u32 v2, vcc_lo, v150, v118
	s_wait_alu 0xfffd
	v_add_co_ci_u32_e64 v3, null, v151, v119, vcc_lo
	global_load_b64 v[64:65], v[2:3], off
.LBB100_76:                             ;   in Loop: Header=BB100_69 Depth=2
	s_wait_alu 0xfffe
	s_or_b32 exec_lo, exec_lo, s93
	v_or_b32_e32 v2, 3, v105
	s_mov_b32 s93, exec_lo
	s_delay_alu instid0(VALU_DEP_1)
	v_cmpx_gt_i32_e64 s92, v2
	s_cbranch_execz .LBB100_78
; %bb.77:                               ;   in Loop: Header=BB100_69 Depth=2
	v_add_co_u32 v2, vcc_lo, v152, v118
	s_wait_alu 0xfffd
	v_add_co_ci_u32_e64 v3, null, v153, v119, vcc_lo
	global_load_b64 v[66:67], v[2:3], off
.LBB100_78:                             ;   in Loop: Header=BB100_69 Depth=2
	s_wait_alu 0xfffe
	s_or_b32 exec_lo, exec_lo, s93
	s_mov_b32 s93, 0
.LBB100_79:                             ;   in Loop: Header=BB100_69 Depth=2
	s_wait_alu 0xfffe
	s_and_b32 vcc_lo, exec_lo, s93
	s_wait_alu 0xfffe
	s_cbranch_vccz .LBB100_81
; %bb.80:                               ;   in Loop: Header=BB100_69 Depth=2
	v_add_co_u32 v2, vcc_lo, v148, v118
	s_wait_alu 0xfffd
	v_add_co_ci_u32_e64 v3, null, v149, v119, vcc_lo
	v_add_co_u32 v4, vcc_lo, v144, v118
	s_wait_alu 0xfffd
	v_add_co_ci_u32_e64 v5, null, v145, v119, vcc_lo
	v_add_co_u32 v6, vcc_lo, v146, v116
	s_wait_alu 0xfffd
	v_add_co_ci_u32_e64 v7, null, v147, v117, vcc_lo
	s_wait_loadcnt 0x0
	global_load_b64 v[60:61], v[0:1], off
	global_load_b64 v[62:63], v[2:3], off
	;; [unrolled: 1-line block ×4, first 2 shown]
.LBB100_81:                             ;   in Loop: Header=BB100_69 Depth=2
	ds_load_b64 v[4:5], v95
	ds_load_b128 v[0:3], v107
	v_cndmask_b32_e64 v59, 0, 1, s18
                                        ; implicit-def: $vgpr74_vgpr75
                                        ; implicit-def: $vgpr72_vgpr73
                                        ; implicit-def: $vgpr70_vgpr71
                                        ; implicit-def: $vgpr68_vgpr69
	s_wait_loadcnt_dscnt 0x1
	v_mul_f64_e32 v[8:9], v[60:61], v[4:5]
	v_mul_f64_e32 v[10:11], v[62:63], v[4:5]
	;; [unrolled: 1-line block ×4, first 2 shown]
	ds_load_b128 v[4:7], v107 offset:16
	ds_store_2addr_b64 v108, v[8:9], v[10:11] offset1:67
	ds_store_2addr_b64 v108, v[12:13], v[14:15] offset0:134 offset1:201
	s_wait_dscnt 0x0
	s_barrier_signal -1
	s_barrier_wait -1
	global_inv scope:SCOPE_SE
	ds_load_2addr_b64 v[20:23], v109 offset1:1
	ds_load_2addr_b64 v[16:19], v109 offset0:2 offset1:3
	v_add_co_u32 v8, vcc_lo, v154, v118
	s_wait_alu 0xfffd
	v_add_co_ci_u32_e64 v9, null, v155, v119, vcc_lo
	s_and_not1_b32 vcc_lo, exec_lo, s18
	s_mov_b32 s18, -1
	s_wait_loadcnt_dscnt 0x0
	s_barrier_signal -1
	s_barrier_wait -1
	global_inv scope:SCOPE_SE
	s_wait_alu 0xfffe
	s_cbranch_vccnz .LBB100_91
; %bb.82:                               ;   in Loop: Header=BB100_69 Depth=2
	v_mov_b32_e32 v70, 0
	v_mov_b32_e32 v68, 0
	v_dual_mov_b32 v71, 0 :: v_dual_add_nc_u32 v10, 16, v105
	v_mov_b32_e32 v69, 0
	s_mov_b32 s18, exec_lo
	s_delay_alu instid0(VALU_DEP_2)
	v_cmpx_gt_i32_e64 s92, v10
	s_cbranch_execz .LBB100_84
; %bb.83:                               ;   in Loop: Header=BB100_69 Depth=2
	global_load_b64 v[68:69], v[8:9], off
.LBB100_84:                             ;   in Loop: Header=BB100_69 Depth=2
	s_wait_alu 0xfffe
	s_or_b32 exec_lo, exec_lo, s18
	v_add_nc_u32_e32 v10, 17, v105
	s_mov_b32 s18, exec_lo
	s_delay_alu instid0(VALU_DEP_1)
	v_cmpx_gt_i32_e64 s92, v10
	s_cbranch_execz .LBB100_86
; %bb.85:                               ;   in Loop: Header=BB100_69 Depth=2
	v_add_co_u32 v10, vcc_lo, v156, v118
	s_wait_alu 0xfffd
	v_add_co_ci_u32_e64 v11, null, v157, v119, vcc_lo
	global_load_b64 v[70:71], v[10:11], off
.LBB100_86:                             ;   in Loop: Header=BB100_69 Depth=2
	s_wait_alu 0xfffe
	s_or_b32 exec_lo, exec_lo, s18
	v_mov_b32_e32 v74, 0
	v_mov_b32_e32 v72, 0
	v_dual_mov_b32 v75, 0 :: v_dual_add_nc_u32 v10, 18, v105
	v_mov_b32_e32 v73, 0
	s_mov_b32 s18, exec_lo
	s_delay_alu instid0(VALU_DEP_2)
	v_cmpx_gt_i32_e64 s92, v10
	s_cbranch_execz .LBB100_88
; %bb.87:                               ;   in Loop: Header=BB100_69 Depth=2
	v_add_co_u32 v10, vcc_lo, v158, v118
	s_wait_alu 0xfffd
	v_add_co_ci_u32_e64 v11, null, v159, v119, vcc_lo
	global_load_b64 v[72:73], v[10:11], off
.LBB100_88:                             ;   in Loop: Header=BB100_69 Depth=2
	s_wait_alu 0xfffe
	s_or_b32 exec_lo, exec_lo, s18
	v_add_nc_u32_e32 v10, 19, v105
	s_mov_b32 s18, exec_lo
	s_delay_alu instid0(VALU_DEP_1)
	v_cmpx_gt_i32_e64 s92, v10
	s_cbranch_execz .LBB100_90
; %bb.89:                               ;   in Loop: Header=BB100_69 Depth=2
	v_add_co_u32 v10, vcc_lo, v160, v118
	s_wait_alu 0xfffd
	v_add_co_ci_u32_e64 v11, null, v161, v119, vcc_lo
	global_load_b64 v[74:75], v[10:11], off
.LBB100_90:                             ;   in Loop: Header=BB100_69 Depth=2
	s_wait_alu 0xfffe
	s_or_b32 exec_lo, exec_lo, s18
	s_mov_b32 s18, 0
.LBB100_91:                             ;   in Loop: Header=BB100_69 Depth=2
	s_wait_alu 0xfffe
	s_and_b32 vcc_lo, exec_lo, s18
	s_wait_alu 0xfffe
	s_cbranch_vccz .LBB100_93
; %bb.92:                               ;   in Loop: Header=BB100_69 Depth=2
	v_add_co_u32 v10, vcc_lo, v156, v118
	s_wait_alu 0xfffd
	v_add_co_ci_u32_e64 v11, null, v157, v119, vcc_lo
	v_add_co_u32 v12, vcc_lo, v162, v118
	s_wait_alu 0xfffd
	v_add_co_ci_u32_e64 v13, null, v163, v119, vcc_lo
	;; [unrolled: 3-line block ×3, first 2 shown]
	s_wait_loadcnt 0x0
	global_load_b64 v[68:69], v[8:9], off
	global_load_b64 v[70:71], v[10:11], off
	;; [unrolled: 1-line block ×4, first 2 shown]
.LBB100_93:                             ;   in Loop: Header=BB100_69 Depth=2
	ds_load_b64 v[12:13], v95
	ds_load_b128 v[8:11], v107 offset:128
	v_cmp_ne_u32_e32 vcc_lo, 1, v59
                                        ; implicit-def: $vgpr82_vgpr83
                                        ; implicit-def: $vgpr80_vgpr81
                                        ; implicit-def: $vgpr78_vgpr79
                                        ; implicit-def: $vgpr76_vgpr77
	s_and_b32 vcc_lo, exec_lo, vcc_lo
	s_wait_loadcnt_dscnt 0x1
	v_mul_f64_e32 v[24:25], v[68:69], v[12:13]
	v_mul_f64_e32 v[26:27], v[70:71], v[12:13]
	;; [unrolled: 1-line block ×4, first 2 shown]
	ds_load_b128 v[12:15], v107 offset:144
	ds_store_2addr_b64 v108, v[24:25], v[26:27] offset1:67
	ds_store_2addr_b64 v108, v[28:29], v[30:31] offset0:134 offset1:201
	s_wait_dscnt 0x0
	s_barrier_signal -1
	s_barrier_wait -1
	global_inv scope:SCOPE_SE
	ds_load_2addr_b64 v[36:39], v109 offset1:1
	ds_load_2addr_b64 v[32:35], v109 offset0:2 offset1:3
	v_add_co_u32 v24, s18, v166, v118
	s_wait_alu 0xf1ff
	v_add_co_ci_u32_e64 v25, null, v167, v119, s18
	s_mov_b32 s18, -1
	s_wait_loadcnt_dscnt 0x0
	s_barrier_signal -1
	s_barrier_wait -1
	global_inv scope:SCOPE_SE
	s_wait_alu 0xfffe
	s_cbranch_vccnz .LBB100_103
; %bb.94:                               ;   in Loop: Header=BB100_69 Depth=2
	v_mov_b32_e32 v78, 0
	v_mov_b32_e32 v76, 0
	v_dual_mov_b32 v79, 0 :: v_dual_add_nc_u32 v26, 32, v105
	v_mov_b32_e32 v77, 0
	s_mov_b32 s18, exec_lo
	s_delay_alu instid0(VALU_DEP_2)
	v_cmpx_gt_i32_e64 s92, v26
	s_cbranch_execz .LBB100_96
; %bb.95:                               ;   in Loop: Header=BB100_69 Depth=2
	global_load_b64 v[76:77], v[24:25], off
.LBB100_96:                             ;   in Loop: Header=BB100_69 Depth=2
	s_wait_alu 0xfffe
	s_or_b32 exec_lo, exec_lo, s18
	v_add_nc_u32_e32 v26, 33, v105
	s_mov_b32 s18, exec_lo
	s_delay_alu instid0(VALU_DEP_1)
	v_cmpx_gt_i32_e64 s92, v26
	s_cbranch_execz .LBB100_98
; %bb.97:                               ;   in Loop: Header=BB100_69 Depth=2
	v_add_co_u32 v26, vcc_lo, v168, v118
	s_wait_alu 0xfffd
	v_add_co_ci_u32_e64 v27, null, v169, v119, vcc_lo
	global_load_b64 v[78:79], v[26:27], off
.LBB100_98:                             ;   in Loop: Header=BB100_69 Depth=2
	s_wait_alu 0xfffe
	s_or_b32 exec_lo, exec_lo, s18
	v_mov_b32_e32 v82, 0
	v_mov_b32_e32 v80, 0
	v_dual_mov_b32 v83, 0 :: v_dual_add_nc_u32 v26, 34, v105
	v_mov_b32_e32 v81, 0
	s_mov_b32 s18, exec_lo
	s_delay_alu instid0(VALU_DEP_2)
	v_cmpx_gt_i32_e64 s92, v26
	s_cbranch_execz .LBB100_100
; %bb.99:                               ;   in Loop: Header=BB100_69 Depth=2
	v_add_co_u32 v26, vcc_lo, v170, v118
	s_wait_alu 0xfffd
	v_add_co_ci_u32_e64 v27, null, v171, v119, vcc_lo
	global_load_b64 v[80:81], v[26:27], off
.LBB100_100:                            ;   in Loop: Header=BB100_69 Depth=2
	s_wait_alu 0xfffe
	s_or_b32 exec_lo, exec_lo, s18
	v_add_nc_u32_e32 v26, 35, v105
	s_mov_b32 s18, exec_lo
	s_delay_alu instid0(VALU_DEP_1)
	v_cmpx_gt_i32_e64 s92, v26
	s_cbranch_execz .LBB100_102
; %bb.101:                              ;   in Loop: Header=BB100_69 Depth=2
	v_add_co_u32 v26, vcc_lo, v172, v118
	s_wait_alu 0xfffd
	v_add_co_ci_u32_e64 v27, null, v173, v119, vcc_lo
	global_load_b64 v[82:83], v[26:27], off
.LBB100_102:                            ;   in Loop: Header=BB100_69 Depth=2
	s_wait_alu 0xfffe
	s_or_b32 exec_lo, exec_lo, s18
	s_mov_b32 s18, 0
.LBB100_103:                            ;   in Loop: Header=BB100_69 Depth=2
	s_wait_alu 0xfffe
	s_and_b32 vcc_lo, exec_lo, s18
	s_wait_alu 0xfffe
	s_cbranch_vccz .LBB100_105
; %bb.104:                              ;   in Loop: Header=BB100_69 Depth=2
	v_add_co_u32 v26, vcc_lo, v168, v118
	s_wait_alu 0xfffd
	v_add_co_ci_u32_e64 v27, null, v169, v119, vcc_lo
	v_add_co_u32 v28, vcc_lo, v174, v118
	s_wait_alu 0xfffd
	v_add_co_ci_u32_e64 v29, null, v175, v119, vcc_lo
	v_add_co_u32 v30, vcc_lo, v176, v116
	s_wait_alu 0xfffd
	v_add_co_ci_u32_e64 v31, null, v177, v117, vcc_lo
	s_wait_loadcnt 0x0
	global_load_b64 v[76:77], v[24:25], off
	global_load_b64 v[78:79], v[26:27], off
	;; [unrolled: 1-line block ×4, first 2 shown]
.LBB100_105:                            ;   in Loop: Header=BB100_69 Depth=2
	ds_load_b64 v[28:29], v95
	ds_load_b128 v[24:27], v107 offset:256
	v_cmp_ne_u32_e32 vcc_lo, 1, v59
	v_add_co_u32 v92, s18, v178, v116
	s_wait_alu 0xf1ff
	v_add_co_ci_u32_e64 v93, null, v179, v117, s18
	s_and_b32 vcc_lo, exec_lo, vcc_lo
	s_mov_b32 s18, -1
                                        ; implicit-def: $vgpr84_vgpr85
                                        ; implicit-def: $vgpr90_vgpr91
                                        ; implicit-def: $vgpr88_vgpr89
                                        ; implicit-def: $vgpr86_vgpr87
	s_wait_loadcnt_dscnt 0x1
	v_mul_f64_e32 v[40:41], v[76:77], v[28:29]
	v_mul_f64_e32 v[42:43], v[78:79], v[28:29]
	;; [unrolled: 1-line block ×4, first 2 shown]
	ds_load_b128 v[28:31], v107 offset:272
	ds_store_2addr_b64 v108, v[40:41], v[42:43] offset1:67
	ds_store_2addr_b64 v108, v[44:45], v[46:47] offset0:134 offset1:201
	s_wait_dscnt 0x0
	s_barrier_signal -1
	s_barrier_wait -1
	global_inv scope:SCOPE_SE
	ds_load_2addr_b64 v[44:47], v109 offset1:1
	ds_load_2addr_b64 v[40:43], v109 offset0:2 offset1:3
	s_wait_loadcnt_dscnt 0x0
	s_barrier_signal -1
	s_barrier_wait -1
	global_inv scope:SCOPE_SE
	s_wait_alu 0xfffe
	s_cbranch_vccnz .LBB100_115
; %bb.106:                              ;   in Loop: Header=BB100_69 Depth=2
	v_dual_mov_b32 v88, 0 :: v_dual_add_nc_u32 v59, 48, v105
	v_dual_mov_b32 v89, 0 :: v_dual_mov_b32 v86, 0
	v_mov_b32_e32 v87, 0
	s_mov_b32 s18, exec_lo
	s_delay_alu instid0(VALU_DEP_3)
	v_cmpx_gt_i32_e64 s92, v59
	s_cbranch_execz .LBB100_108
; %bb.107:                              ;   in Loop: Header=BB100_69 Depth=2
	global_load_b64 v[86:87], v[92:93], off
.LBB100_108:                            ;   in Loop: Header=BB100_69 Depth=2
	s_wait_alu 0xfffe
	s_or_b32 exec_lo, exec_lo, s18
	v_add_nc_u32_e32 v59, 49, v105
	s_mov_b32 s18, exec_lo
	s_delay_alu instid0(VALU_DEP_1)
	v_cmpx_gt_i32_e64 s92, v59
	s_cbranch_execz .LBB100_110
; %bb.109:                              ;   in Loop: Header=BB100_69 Depth=2
	v_add_co_u32 v84, vcc_lo, v180, v116
	s_wait_alu 0xfffd
	v_add_co_ci_u32_e64 v85, null, v181, v117, vcc_lo
	global_load_b64 v[88:89], v[84:85], off
.LBB100_110:                            ;   in Loop: Header=BB100_69 Depth=2
	s_wait_alu 0xfffe
	s_or_b32 exec_lo, exec_lo, s18
	v_dual_mov_b32 v84, 0 :: v_dual_add_nc_u32 v59, 50, v105
	v_dual_mov_b32 v85, 0 :: v_dual_mov_b32 v90, 0
	v_mov_b32_e32 v91, 0
	s_mov_b32 s18, exec_lo
	s_delay_alu instid0(VALU_DEP_3)
	v_cmpx_gt_i32_e64 s92, v59
	s_cbranch_execz .LBB100_112
; %bb.111:                              ;   in Loop: Header=BB100_69 Depth=2
	v_add_co_u32 v90, vcc_lo, v182, v116
	s_wait_alu 0xfffd
	v_add_co_ci_u32_e64 v91, null, v183, v117, vcc_lo
	global_load_b64 v[90:91], v[90:91], off
.LBB100_112:                            ;   in Loop: Header=BB100_69 Depth=2
	s_wait_alu 0xfffe
	s_or_b32 exec_lo, exec_lo, s18
	v_add_nc_u32_e32 v59, 51, v105
	s_mov_b32 s18, exec_lo
	s_delay_alu instid0(VALU_DEP_1)
	v_cmpx_gt_i32_e64 s92, v59
	s_cbranch_execz .LBB100_114
; %bb.113:                              ;   in Loop: Header=BB100_69 Depth=2
	v_add_co_u32 v84, vcc_lo, v184, v116
	s_wait_alu 0xfffd
	v_add_co_ci_u32_e64 v85, null, v185, v117, vcc_lo
	global_load_b64 v[84:85], v[84:85], off
.LBB100_114:                            ;   in Loop: Header=BB100_69 Depth=2
	s_wait_alu 0xfffe
	s_or_b32 exec_lo, exec_lo, s18
	s_mov_b32 s18, 0
.LBB100_115:                            ;   in Loop: Header=BB100_69 Depth=2
	s_wait_alu 0xfffe
	s_and_b32 vcc_lo, exec_lo, s18
	s_wait_alu 0xfffe
	s_cbranch_vccz .LBB100_117
; %bb.116:                              ;   in Loop: Header=BB100_69 Depth=2
	s_wait_loadcnt 0x0
	v_add_co_u32 v84, vcc_lo, v180, v116
	s_wait_alu 0xfffd
	v_add_co_ci_u32_e64 v85, null, v181, v117, vcc_lo
	v_add_co_u32 v90, vcc_lo, v186, v116
	s_wait_alu 0xfffd
	v_add_co_ci_u32_e64 v91, null, v187, v117, vcc_lo
	;; [unrolled: 3-line block ×3, first 2 shown]
	global_load_b64 v[86:87], v[92:93], off
	global_load_b64 v[88:89], v[84:85], off
	;; [unrolled: 1-line block ×4, first 2 shown]
.LBB100_117:                            ;   in Loop: Header=BB100_69 Depth=2
	v_add_f64_e32 v[36:37], 0, v[36:37]
	v_add_f64_e32 v[20:21], 0, v[20:21]
	;; [unrolled: 1-line block ×3, first 2 shown]
	v_cmp_gt_i32_e32 vcc_lo, s92, v48
	s_or_b32 s18, s83, vcc_lo
	s_wait_alu 0xfffe
	s_and_b32 s83, s17, s18
	s_delay_alu instid0(VALU_DEP_4) | instskip(NEXT) | instid1(VALU_DEP_4)
	v_add_f64_e32 v[36:37], v[36:37], v[38:39]
	v_add_f64_e32 v[20:21], v[20:21], v[22:23]
	s_delay_alu instid0(VALU_DEP_4) | instskip(NEXT) | instid1(VALU_DEP_3)
	v_add_f64_e32 v[44:45], v[44:45], v[46:47]
	v_add_f64_e32 v[32:33], v[36:37], v[32:33]
	s_delay_alu instid0(VALU_DEP_3) | instskip(NEXT) | instid1(VALU_DEP_3)
	v_add_f64_e32 v[16:17], v[20:21], v[16:17]
	v_add_f64_e32 v[40:41], v[44:45], v[40:41]
	s_delay_alu instid0(VALU_DEP_3) | instskip(NEXT) | instid1(VALU_DEP_3)
	v_add_f64_e32 v[36:37], v[32:33], v[34:35]
	v_add_f64_e32 v[38:39], v[16:17], v[18:19]
	ds_load_b64 v[32:33], v95
	ds_load_b128 v[20:23], v107 offset:384
	ds_load_b128 v[16:19], v107 offset:400
	v_add_f64_e32 v[40:41], v[40:41], v[42:43]
	s_wait_loadcnt_dscnt 0x2
	v_mul_f64_e32 v[34:35], v[86:87], v[32:33]
	v_mul_f64_e32 v[42:43], v[88:89], v[32:33]
	ds_store_2addr_b64 v108, v[34:35], v[42:43] offset1:67
	v_mul_f64_e32 v[34:35], v[90:91], v[32:33]
	v_mul_f64_e32 v[32:33], v[84:85], v[32:33]
	ds_store_2addr_b64 v108, v[34:35], v[32:33] offset0:134 offset1:201
	s_wait_dscnt 0x0
	s_barrier_signal -1
	s_barrier_wait -1
	global_inv scope:SCOPE_SE
	ds_load_2addr_b64 v[32:35], v109 offset1:1
	s_wait_dscnt 0x0
	v_add_f64_e32 v[32:33], 0, v[32:33]
	s_delay_alu instid0(VALU_DEP_1)
	v_add_f64_e32 v[42:43], v[32:33], v[34:35]
	ds_load_2addr_b64 v[32:35], v109 offset0:2 offset1:3
	s_wait_loadcnt_dscnt 0x0
	s_barrier_signal -1
	s_barrier_wait -1
	global_inv scope:SCOPE_SE
	v_add_f64_e32 v[32:33], v[42:43], v[32:33]
	s_delay_alu instid0(VALU_DEP_1)
	v_add_f64_e32 v[32:33], v[32:33], v[34:35]
	ds_store_2addr_b64 v138, v[38:39], v[36:37] offset1:16
	ds_store_2addr_b64 v138, v[40:41], v[32:33] offset0:32 offset1:48
	s_wait_loadcnt_dscnt 0x0
	s_barrier_signal -1
	s_barrier_wait -1
	global_inv scope:SCOPE_SE
	s_wait_alu 0xfffe
	s_and_saveexec_b32 s18, s83
	s_cbranch_execz .LBB100_119
; %bb.118:                              ;   in Loop: Header=BB100_69 Depth=2
	ds_load_2addr_b64 v[32:35], v110 offset1:1
	ds_load_2addr_b64 v[36:39], v110 offset0:2 offset1:3
	v_ashrrev_i32_e32 v59, 31, v58
	s_wait_dscnt 0x1
	v_add_f64_e32 v[32:33], v[32:33], v[34:35]
	s_wait_dscnt 0x0
	s_delay_alu instid0(VALU_DEP_1) | instskip(NEXT) | instid1(VALU_DEP_1)
	v_add_f64_e32 v[32:33], v[32:33], v[36:37]
	v_add_f64_e32 v[40:41], v[32:33], v[38:39]
	ds_load_2addr_b64 v[32:35], v110 offset0:4 offset1:5
	ds_load_2addr_b64 v[36:39], v110 offset0:6 offset1:7
	s_wait_dscnt 0x1
	v_add_f64_e32 v[32:33], v[40:41], v[32:33]
	s_delay_alu instid0(VALU_DEP_1) | instskip(SKIP_1) | instid1(VALU_DEP_1)
	v_add_f64_e32 v[32:33], v[32:33], v[34:35]
	s_wait_dscnt 0x0
	v_add_f64_e32 v[32:33], v[32:33], v[36:37]
	s_delay_alu instid0(VALU_DEP_1) | instskip(SKIP_4) | instid1(VALU_DEP_1)
	v_add_f64_e32 v[40:41], v[32:33], v[38:39]
	ds_load_2addr_b64 v[32:35], v110 offset0:8 offset1:9
	ds_load_2addr_b64 v[36:39], v110 offset0:10 offset1:11
	s_wait_dscnt 0x1
	v_add_f64_e32 v[32:33], v[40:41], v[32:33]
	v_add_f64_e32 v[32:33], v[32:33], v[34:35]
	s_wait_dscnt 0x0
	s_delay_alu instid0(VALU_DEP_1) | instskip(NEXT) | instid1(VALU_DEP_1)
	v_add_f64_e32 v[32:33], v[32:33], v[36:37]
	v_add_f64_e32 v[36:37], v[32:33], v[38:39]
	ds_load_2addr_b64 v[32:35], v110 offset0:12 offset1:13
	ds_load_b64 v[38:39], v110 offset:112
	s_wait_dscnt 0x1
	v_add_f64_e32 v[32:33], v[36:37], v[32:33]
	s_delay_alu instid0(VALU_DEP_1) | instskip(SKIP_4) | instid1(VALU_DEP_1)
	v_add_f64_e32 v[32:33], v[32:33], v[34:35]
	ds_load_b64 v[34:35], v111
	s_wait_dscnt 0x1
	v_add_f64_e32 v[32:33], v[32:33], v[38:39]
	s_wait_dscnt 0x0
	v_add_f64_e32 v[32:33], v[32:33], v[34:35]
	v_lshlrev_b64_e32 v[34:35], 3, v[58:59]
	s_delay_alu instid0(VALU_DEP_1) | instskip(SKIP_1) | instid1(VALU_DEP_2)
	v_add_co_u32 v34, vcc_lo, s80, v34
	s_wait_alu 0xfffd
	v_add_co_ci_u32_e64 v35, null, s81, v35, vcc_lo
	global_store_b64 v[34:35], v[32:33], off
.LBB100_119:                            ;   in Loop: Header=BB100_69 Depth=2
	s_wait_alu 0xfffe
	s_or_b32 exec_lo, exec_lo, s18
	v_fma_f64 v[0:1], v[60:61], v[0:1], v[56:57]
	v_add_co_u32 v142, vcc_lo, v142, s44
	s_wait_alu 0xfffd
	v_add_co_ci_u32_e64 v143, null, s45, v143, vcc_lo
	v_add_co_u32 v144, vcc_lo, v144, s44
	s_wait_alu 0xfffd
	v_add_co_ci_u32_e64 v145, null, s45, v145, vcc_lo
	;; [unrolled: 3-line block ×9, first 2 shown]
	v_add_co_u32 v160, vcc_lo, v160, s44
	v_fma_f64 v[0:1], v[62:63], v[2:3], v[0:1]
	s_wait_alu 0xfffd
	v_add_co_ci_u32_e64 v161, null, s45, v161, vcc_lo
	v_add_co_u32 v162, vcc_lo, v162, s44
	s_wait_alu 0xfffd
	v_add_co_ci_u32_e64 v163, null, s45, v163, vcc_lo
	v_add_co_u32 v164, vcc_lo, v164, s44
	;; [unrolled: 3-line block ×9, first 2 shown]
	s_wait_alu 0xfffd
	v_add_co_ci_u32_e64 v179, null, s45, v179, vcc_lo
	v_fma_f64 v[0:1], v[64:65], v[4:5], v[0:1]
	v_add_co_u32 v180, vcc_lo, v180, s44
	s_wait_alu 0xfffd
	v_add_co_ci_u32_e64 v181, null, s45, v181, vcc_lo
	v_add_co_u32 v182, vcc_lo, v182, s44
	s_wait_alu 0xfffd
	v_add_co_ci_u32_e64 v183, null, s45, v183, vcc_lo
	;; [unrolled: 3-line block ×4, first 2 shown]
	v_add_co_u32 v188, vcc_lo, v188, s44
	v_add_nc_u32_e32 v58, 64, v58
	s_wait_alu 0xfffd
	v_add_co_ci_u32_e64 v189, null, s45, v189, vcc_lo
	s_add_co_i32 s83, s91, 2
	s_add_co_i32 s18, s91, 1
	;; [unrolled: 1-line block ×3, first 2 shown]
	s_wait_alu 0xfffe
	s_cmp_ge_u32 s83, s22
	s_wait_loadcnt 0x0
	s_wait_storecnt 0x0
	s_barrier_signal -1
	s_barrier_wait -1
	global_inv scope:SCOPE_SE
	v_fma_f64 v[0:1], v[66:67], v[6:7], v[0:1]
	s_delay_alu instid0(VALU_DEP_1) | instskip(NEXT) | instid1(VALU_DEP_1)
	v_fma_f64 v[0:1], v[68:69], v[8:9], v[0:1]
	v_fma_f64 v[0:1], v[70:71], v[10:11], v[0:1]
	s_delay_alu instid0(VALU_DEP_1) | instskip(NEXT) | instid1(VALU_DEP_1)
	v_fma_f64 v[0:1], v[72:73], v[12:13], v[0:1]
	;; [unrolled: 3-line block ×6, first 2 shown]
	v_fma_f64 v[56:57], v[84:85], v[18:19], v[0:1]
	s_cbranch_scc1 .LBB100_121
; %bb.120:                              ;   in Loop: Header=BB100_69 Depth=2
	s_mov_b32 s91, s18
	s_delay_alu instid0(SALU_CYCLE_1)
	s_cmp_eq_u32 s87, s91
	s_cselect_b32 s92, s23, 0
	s_and_saveexec_b32 s18, s0
	s_cbranch_execnz .LBB100_66
	s_branch .LBB100_69
.LBB100_121:                            ;   in Loop: Header=BB100_4 Depth=1
	ds_store_b64 v112, v[56:57]
	s_wait_loadcnt_dscnt 0x0
	s_barrier_signal -1
	s_barrier_wait -1
	global_inv scope:SCOPE_SE
	s_and_saveexec_b32 s18, s89
	s_cbranch_execz .LBB100_2
; %bb.122:                              ;   in Loop: Header=BB100_4 Depth=1
	ds_load_2addr_b64 v[0:3], v94 offset1:67
	s_wait_dscnt 0x0
	v_add_f64_e32 v[4:5], v[0:1], v[2:3]
	ds_load_2addr_b64 v[0:3], v94 offset0:134 offset1:201
	s_wait_dscnt 0x0
	v_add_f64_e32 v[0:1], v[4:5], v[0:1]
	s_delay_alu instid0(VALU_DEP_1)
	v_add_f64_e32 v[0:1], v[0:1], v[2:3]
	s_wait_alu 0xfffe
	v_add_co_u32 v2, vcc_lo, s80, v54
	s_wait_alu 0xfffd
	v_add_co_ci_u32_e64 v3, null, s81, v55, vcc_lo
	global_store_b64 v[2:3], v[0:1], off
	s_branch .LBB100_2
.LBB100_123:                            ;   in Loop: Header=BB100_4 Depth=1
	ds_load_b64 v[2:3], v136
	s_wait_dscnt 0x0
	ds_store_b64 v102, v[2:3]
	s_wait_alu 0xfffe
	s_or_b32 exec_lo, exec_lo, s18
	s_and_saveexec_b32 s18, s7
	s_cbranch_execz .LBB100_24
.LBB100_124:                            ;   in Loop: Header=BB100_4 Depth=1
	ds_load_b64 v[2:3], v137
	s_wait_dscnt 0x0
	ds_store_b64 v102, v[2:3] offset:8
	s_wait_alu 0xfffe
	s_or_b32 exec_lo, exec_lo, s18
	s_and_saveexec_b32 s18, s8
	s_cbranch_execz .LBB100_25
.LBB100_125:                            ;   in Loop: Header=BB100_4 Depth=1
	ds_load_b64 v[2:3], v137 offset:264
	s_wait_dscnt 0x0
	ds_store_b64 v102, v[2:3] offset:16
	s_wait_alu 0xfffe
	s_or_b32 exec_lo, exec_lo, s18
	s_and_saveexec_b32 s18, s9
	s_cbranch_execnz .LBB100_26
	s_branch .LBB100_27
.LBB100_126:                            ;   in Loop: Header=BB100_4 Depth=1
	ds_load_b64 v[2:3], v136
	s_wait_dscnt 0x0
	ds_store_b64 v102, v[2:3]
	s_wait_alu 0xfffe
	s_or_b32 exec_lo, exec_lo, s18
	s_and_saveexec_b32 s18, s7
	s_cbranch_execz .LBB100_43
.LBB100_127:                            ;   in Loop: Header=BB100_4 Depth=1
	ds_load_b64 v[2:3], v137
	s_wait_dscnt 0x0
	ds_store_b64 v102, v[2:3] offset:8
	s_wait_alu 0xfffe
	s_or_b32 exec_lo, exec_lo, s18
	s_and_saveexec_b32 s18, s8
	s_cbranch_execz .LBB100_44
.LBB100_128:                            ;   in Loop: Header=BB100_4 Depth=1
	ds_load_b64 v[2:3], v137 offset:264
	s_wait_dscnt 0x0
	ds_store_b64 v102, v[2:3] offset:16
	s_wait_alu 0xfffe
	s_or_b32 exec_lo, exec_lo, s18
	s_and_saveexec_b32 s18, s9
	s_cbranch_execnz .LBB100_45
	s_branch .LBB100_46
.LBB100_129:
	s_nop 0
	s_sendmsg sendmsg(MSG_DEALLOC_VGPRS)
	s_endpgm
	.section	.rodata,"a",@progbits
	.p2align	6, 0x0
	.amdhsa_kernel _ZL26rocblas_hemvn_kernel_upperILb0ELi64ELi4ELi33ELi32ELi16EidPKdPdEviT6_lT7_lT5_lS4_lS5_lS3_lT8_i
		.amdhsa_group_segment_fixed_size 9600
		.amdhsa_private_segment_fixed_size 0
		.amdhsa_kernarg_size 376
		.amdhsa_user_sgpr_count 2
		.amdhsa_user_sgpr_dispatch_ptr 0
		.amdhsa_user_sgpr_queue_ptr 0
		.amdhsa_user_sgpr_kernarg_segment_ptr 1
		.amdhsa_user_sgpr_dispatch_id 0
		.amdhsa_user_sgpr_private_segment_size 0
		.amdhsa_wavefront_size32 1
		.amdhsa_uses_dynamic_stack 0
		.amdhsa_enable_private_segment 0
		.amdhsa_system_sgpr_workgroup_id_x 1
		.amdhsa_system_sgpr_workgroup_id_y 0
		.amdhsa_system_sgpr_workgroup_id_z 1
		.amdhsa_system_sgpr_workgroup_info 0
		.amdhsa_system_vgpr_workitem_id 1
		.amdhsa_next_free_vgpr 192
		.amdhsa_next_free_sgpr 100
		.amdhsa_reserve_vcc 1
		.amdhsa_float_round_mode_32 0
		.amdhsa_float_round_mode_16_64 0
		.amdhsa_float_denorm_mode_32 3
		.amdhsa_float_denorm_mode_16_64 3
		.amdhsa_fp16_overflow 0
		.amdhsa_workgroup_processor_mode 1
		.amdhsa_memory_ordered 1
		.amdhsa_forward_progress 1
		.amdhsa_inst_pref_size 75
		.amdhsa_round_robin_scheduling 0
		.amdhsa_exception_fp_ieee_invalid_op 0
		.amdhsa_exception_fp_denorm_src 0
		.amdhsa_exception_fp_ieee_div_zero 0
		.amdhsa_exception_fp_ieee_overflow 0
		.amdhsa_exception_fp_ieee_underflow 0
		.amdhsa_exception_fp_ieee_inexact 0
		.amdhsa_exception_int_div_zero 0
	.end_amdhsa_kernel
	.section	.text._ZL26rocblas_hemvn_kernel_upperILb0ELi64ELi4ELi33ELi32ELi16EidPKdPdEviT6_lT7_lT5_lS4_lS5_lS3_lT8_i,"axG",@progbits,_ZL26rocblas_hemvn_kernel_upperILb0ELi64ELi4ELi33ELi32ELi16EidPKdPdEviT6_lT7_lT5_lS4_lS5_lS3_lT8_i,comdat
.Lfunc_end100:
	.size	_ZL26rocblas_hemvn_kernel_upperILb0ELi64ELi4ELi33ELi32ELi16EidPKdPdEviT6_lT7_lT5_lS4_lS5_lS3_lT8_i, .Lfunc_end100-_ZL26rocblas_hemvn_kernel_upperILb0ELi64ELi4ELi33ELi32ELi16EidPKdPdEviT6_lT7_lT5_lS4_lS5_lS3_lT8_i
                                        ; -- End function
	.set _ZL26rocblas_hemvn_kernel_upperILb0ELi64ELi4ELi33ELi32ELi16EidPKdPdEviT6_lT7_lT5_lS4_lS5_lS3_lT8_i.num_vgpr, 192
	.set _ZL26rocblas_hemvn_kernel_upperILb0ELi64ELi4ELi33ELi32ELi16EidPKdPdEviT6_lT7_lT5_lS4_lS5_lS3_lT8_i.num_agpr, 0
	.set _ZL26rocblas_hemvn_kernel_upperILb0ELi64ELi4ELi33ELi32ELi16EidPKdPdEviT6_lT7_lT5_lS4_lS5_lS3_lT8_i.numbered_sgpr, 100
	.set _ZL26rocblas_hemvn_kernel_upperILb0ELi64ELi4ELi33ELi32ELi16EidPKdPdEviT6_lT7_lT5_lS4_lS5_lS3_lT8_i.num_named_barrier, 0
	.set _ZL26rocblas_hemvn_kernel_upperILb0ELi64ELi4ELi33ELi32ELi16EidPKdPdEviT6_lT7_lT5_lS4_lS5_lS3_lT8_i.private_seg_size, 0
	.set _ZL26rocblas_hemvn_kernel_upperILb0ELi64ELi4ELi33ELi32ELi16EidPKdPdEviT6_lT7_lT5_lS4_lS5_lS3_lT8_i.uses_vcc, 1
	.set _ZL26rocblas_hemvn_kernel_upperILb0ELi64ELi4ELi33ELi32ELi16EidPKdPdEviT6_lT7_lT5_lS4_lS5_lS3_lT8_i.uses_flat_scratch, 0
	.set _ZL26rocblas_hemvn_kernel_upperILb0ELi64ELi4ELi33ELi32ELi16EidPKdPdEviT6_lT7_lT5_lS4_lS5_lS3_lT8_i.has_dyn_sized_stack, 0
	.set _ZL26rocblas_hemvn_kernel_upperILb0ELi64ELi4ELi33ELi32ELi16EidPKdPdEviT6_lT7_lT5_lS4_lS5_lS3_lT8_i.has_recursion, 0
	.set _ZL26rocblas_hemvn_kernel_upperILb0ELi64ELi4ELi33ELi32ELi16EidPKdPdEviT6_lT7_lT5_lS4_lS5_lS3_lT8_i.has_indirect_call, 0
	.section	.AMDGPU.csdata,"",@progbits
; Kernel info:
; codeLenInByte = 9524
; TotalNumSgprs: 102
; NumVgprs: 192
; ScratchSize: 0
; MemoryBound: 0
; FloatMode: 240
; IeeeMode: 1
; LDSByteSize: 9600 bytes/workgroup (compile time only)
; SGPRBlocks: 0
; VGPRBlocks: 23
; NumSGPRsForWavesPerEU: 102
; NumVGPRsForWavesPerEU: 192
; Occupancy: 8
; WaveLimiterHint : 0
; COMPUTE_PGM_RSRC2:SCRATCH_EN: 0
; COMPUTE_PGM_RSRC2:USER_SGPR: 2
; COMPUTE_PGM_RSRC2:TRAP_HANDLER: 0
; COMPUTE_PGM_RSRC2:TGID_X_EN: 1
; COMPUTE_PGM_RSRC2:TGID_Y_EN: 0
; COMPUTE_PGM_RSRC2:TGID_Z_EN: 1
; COMPUTE_PGM_RSRC2:TIDIG_COMP_CNT: 1
	.section	.text._ZL36rocblas_hemvn_kernel_upper_block_sumILi64EidPddEviT1_lS1_lT2_lT0_lPT3_i,"axG",@progbits,_ZL36rocblas_hemvn_kernel_upper_block_sumILi64EidPddEviT1_lS1_lT2_lT0_lPT3_i,comdat
	.globl	_ZL36rocblas_hemvn_kernel_upper_block_sumILi64EidPddEviT1_lS1_lT2_lT0_lPT3_i ; -- Begin function _ZL36rocblas_hemvn_kernel_upper_block_sumILi64EidPddEviT1_lS1_lT2_lT0_lPT3_i
	.p2align	8
	.type	_ZL36rocblas_hemvn_kernel_upper_block_sumILi64EidPddEviT1_lS1_lT2_lT0_lPT3_i,@function
_ZL36rocblas_hemvn_kernel_upper_block_sumILi64EidPddEviT1_lS1_lT2_lT0_lPT3_i: ; @_ZL36rocblas_hemvn_kernel_upper_block_sumILi64EidPddEviT1_lS1_lT2_lT0_lPT3_i
; %bb.0:
	s_load_b32 s18, s[0:1], 0x50
	s_lshr_b32 s2, ttmp7, 16
	s_wait_kmcnt 0x0
	s_cmp_ge_u32 s2, s18
	s_cbranch_scc1 .LBB101_25
; %bb.1:
	s_clause 0x5
	s_load_b64 s[8:9], s[0:1], 0x8
	s_load_b64 s[10:11], s[0:1], 0x18
	s_load_b32 s15, s[0:1], 0x38
	s_load_b128 s[24:27], s[0:1], 0x28
	s_load_b32 s14, s[0:1], 0x0
	s_load_b128 s[4:7], s[0:1], 0x40
	s_add_nc_u64 s[12:13], s[0:1], 0x58
	v_lshl_or_b32 v0, ttmp9, 6, v0
	s_delay_alu instid0(VALU_DEP_1) | instskip(NEXT) | instid1(VALU_DEP_1)
	v_ashrrev_i32_e32 v1, 31, v0
	v_lshlrev_b64_e32 v[1:2], 3, v[0:1]
	s_wait_kmcnt 0x0
	v_mul_lo_u32 v3, s15, v0
	v_cmp_neq_f64_e64 s3, s[8:9], 0
	v_cmp_neq_f64_e64 s21, s[10:11], 1.0
	v_cmp_eq_f64_e64 s19, s[10:11], 0
	v_cmp_eq_f64_e64 s1, s[8:9], 0
	v_cmp_neq_f64_e64 s20, s[10:11], 0
	v_cmp_gt_i32_e64 s0, s14, v0
	v_add_co_u32 v0, vcc_lo, s6, v1
	v_ashrrev_i32_e32 v4, 31, v3
	v_add_co_ci_u32_e64 v1, null, s7, v2, vcc_lo
	s_lshl_b64 s[16:17], s[26:27], 3
	s_ashr_i32 s15, s14, 31
	v_lshlrev_b64_e32 v[2:3], 3, v[3:4]
	s_add_nc_u64 s[6:7], s[24:25], s[16:17]
	s_or_b32 s21, s3, s21
	s_cmp_gt_i32 ttmp9, -1
	s_mov_b32 s3, 0
	s_cselect_b32 s22, -1, 0
	s_add_co_i32 s23, ttmp9, 1
	s_wait_alu 0xfffe
	s_lshl_b64 s[14:15], s[14:15], 3
	s_branch .LBB101_4
.LBB101_2:                              ;   in Loop: Header=BB101_4 Depth=1
	s_or_b32 exec_lo, exec_lo, s25
.LBB101_3:                              ;   in Loop: Header=BB101_4 Depth=1
	s_add_co_i32 s2, s2, 0x10000
	s_wait_alu 0xfffe
	s_cmp_lt_u32 s2, s18
	s_cbranch_scc0 .LBB101_25
.LBB101_4:                              ; =>This Loop Header: Depth=1
                                        ;     Child Loop BB101_16 Depth 2
	s_and_not1_b32 vcc_lo, exec_lo, s21
	s_wait_alu 0xfffe
	s_cbranch_vccnz .LBB101_3
; %bb.5:                                ;   in Loop: Header=BB101_4 Depth=1
	s_mul_u64 s[16:17], s[4:5], s[2:3]
	s_and_not1_b32 vcc_lo, exec_lo, s1
	s_wait_alu 0xfffe
	s_lshl_b64 s[16:17], s[16:17], 3
	s_wait_alu 0xfffe
	s_add_nc_u64 s[16:17], s[6:7], s[16:17]
	s_cbranch_vccnz .LBB101_9
; %bb.6:                                ;   in Loop: Header=BB101_4 Depth=1
	s_mov_b32 s25, 0
	s_mov_b32 s24, 0
                                        ; implicit-def: $vgpr4_vgpr5
	s_and_saveexec_b32 s26, s0
	s_cbranch_execz .LBB101_10
; %bb.7:                                ;   in Loop: Header=BB101_4 Depth=1
	s_and_not1_b32 vcc_lo, exec_lo, s20
	s_wait_alu 0xfffe
	s_cbranch_vccnz .LBB101_11
; %bb.8:                                ;   in Loop: Header=BB101_4 Depth=1
	v_add_co_u32 v4, vcc_lo, s16, v2
	s_wait_alu 0xfffd
	v_add_co_ci_u32_e64 v5, null, s17, v3, vcc_lo
	global_load_b64 v[4:5], v[4:5], off
	s_wait_loadcnt 0x0
	v_mul_f64_e32 v[4:5], s[10:11], v[4:5]
	s_branch .LBB101_12
.LBB101_9:                              ;   in Loop: Header=BB101_4 Depth=1
	s_mov_b32 s24, 0
                                        ; implicit-def: $vgpr4_vgpr5
	s_cbranch_execnz .LBB101_13
	s_branch .LBB101_23
.LBB101_10:                             ;   in Loop: Header=BB101_4 Depth=1
	s_wait_alu 0xfffe
	s_or_b32 exec_lo, exec_lo, s26
	s_delay_alu instid0(SALU_CYCLE_1)
	s_and_b32 vcc_lo, exec_lo, s25
	s_wait_alu 0xfffe
	s_cbranch_vccnz .LBB101_13
	s_branch .LBB101_23
.LBB101_11:                             ;   in Loop: Header=BB101_4 Depth=1
	v_mov_b32_e32 v4, 0
	v_mov_b32_e32 v5, 0
.LBB101_12:                             ;   in Loop: Header=BB101_4 Depth=1
	s_mov_b32 s24, exec_lo
	s_or_b32 exec_lo, exec_lo, s26
	s_delay_alu instid0(SALU_CYCLE_1)
	s_and_b32 vcc_lo, exec_lo, s25
	s_wait_alu 0xfffe
	s_cbranch_vccz .LBB101_23
.LBB101_13:                             ;   in Loop: Header=BB101_4 Depth=1
                                        ; implicit-def: $vgpr4_vgpr5
	s_and_saveexec_b32 s25, s0
	s_cbranch_execz .LBB101_22
; %bb.14:                               ;   in Loop: Header=BB101_4 Depth=1
	v_mov_b32_e32 v6, 0
	v_mov_b32_e32 v7, 0
	s_and_not1_b32 vcc_lo, exec_lo, s22
	s_wait_alu 0xfffe
	s_cbranch_vccnz .LBB101_17
; %bb.15:                               ;   in Loop: Header=BB101_4 Depth=1
	s_load_b32 s26, s[12:13], 0x0
	s_mov_b32 s27, s3
	s_wait_kmcnt 0x0
	s_wait_alu 0xfffe
	s_mul_u64 s[26:27], s[14:15], s[26:27]
	s_wait_alu 0xfffe
	v_mad_co_u64_u32 v[4:5], null, s26, s2, v[0:1]
	s_mov_b32 s26, s23
	v_mad_co_u64_u32 v[5:6], null, s27, s2, v[5:6]
	v_mov_b32_e32 v6, 0
	v_mov_b32_e32 v7, 0
.LBB101_16:                             ;   Parent Loop BB101_4 Depth=1
                                        ; =>  This Inner Loop Header: Depth=2
	global_load_b64 v[8:9], v[4:5], off
	v_add_co_u32 v4, vcc_lo, v4, s14
	s_wait_alu 0xfffd
	v_add_co_ci_u32_e64 v5, null, s15, v5, vcc_lo
	s_wait_alu 0xfffe
	s_add_co_i32 s26, s26, -1
	s_wait_alu 0xfffe
	s_cmp_eq_u32 s26, 0
	s_wait_loadcnt 0x0
	v_add_f64_e32 v[6:7], v[6:7], v[8:9]
	s_cbranch_scc0 .LBB101_16
.LBB101_17:                             ;   in Loop: Header=BB101_4 Depth=1
	s_and_b32 vcc_lo, exec_lo, s19
	s_mov_b32 s26, -1
                                        ; implicit-def: $vgpr4_vgpr5
	s_wait_alu 0xfffe
	s_cbranch_vccz .LBB101_19
; %bb.18:                               ;   in Loop: Header=BB101_4 Depth=1
	s_delay_alu instid0(VALU_DEP_1)
	v_mul_f64_e32 v[4:5], s[8:9], v[6:7]
	s_mov_b32 s26, 0
.LBB101_19:                             ;   in Loop: Header=BB101_4 Depth=1
	s_wait_alu 0xfffe
	s_and_not1_b32 vcc_lo, exec_lo, s26
	s_wait_alu 0xfffe
	s_cbranch_vccnz .LBB101_21
; %bb.20:                               ;   in Loop: Header=BB101_4 Depth=1
	v_add_co_u32 v4, vcc_lo, s16, v2
	s_wait_alu 0xfffd
	v_add_co_ci_u32_e64 v5, null, s17, v3, vcc_lo
	global_load_b64 v[4:5], v[4:5], off
	s_wait_loadcnt 0x0
	v_mul_f64_e32 v[4:5], s[10:11], v[4:5]
	s_delay_alu instid0(VALU_DEP_1)
	v_fma_f64 v[4:5], s[8:9], v[6:7], v[4:5]
.LBB101_21:                             ;   in Loop: Header=BB101_4 Depth=1
	s_or_b32 s24, s24, exec_lo
.LBB101_22:                             ;   in Loop: Header=BB101_4 Depth=1
	s_or_b32 exec_lo, exec_lo, s25
.LBB101_23:                             ;   in Loop: Header=BB101_4 Depth=1
	s_and_saveexec_b32 s25, s24
	s_cbranch_execz .LBB101_2
; %bb.24:                               ;   in Loop: Header=BB101_4 Depth=1
	s_wait_alu 0xfffe
	v_add_co_u32 v6, vcc_lo, s16, v2
	s_wait_alu 0xfffd
	v_add_co_ci_u32_e64 v7, null, s17, v3, vcc_lo
	global_store_b64 v[6:7], v[4:5], off
	s_branch .LBB101_2
.LBB101_25:
	s_endpgm
	.section	.rodata,"a",@progbits
	.p2align	6, 0x0
	.amdhsa_kernel _ZL36rocblas_hemvn_kernel_upper_block_sumILi64EidPddEviT1_lS1_lT2_lT0_lPT3_i
		.amdhsa_group_segment_fixed_size 0
		.amdhsa_private_segment_fixed_size 0
		.amdhsa_kernarg_size 344
		.amdhsa_user_sgpr_count 2
		.amdhsa_user_sgpr_dispatch_ptr 0
		.amdhsa_user_sgpr_queue_ptr 0
		.amdhsa_user_sgpr_kernarg_segment_ptr 1
		.amdhsa_user_sgpr_dispatch_id 0
		.amdhsa_user_sgpr_private_segment_size 0
		.amdhsa_wavefront_size32 1
		.amdhsa_uses_dynamic_stack 0
		.amdhsa_enable_private_segment 0
		.amdhsa_system_sgpr_workgroup_id_x 1
		.amdhsa_system_sgpr_workgroup_id_y 0
		.amdhsa_system_sgpr_workgroup_id_z 1
		.amdhsa_system_sgpr_workgroup_info 0
		.amdhsa_system_vgpr_workitem_id 0
		.amdhsa_next_free_vgpr 10
		.amdhsa_next_free_sgpr 28
		.amdhsa_reserve_vcc 1
		.amdhsa_float_round_mode_32 0
		.amdhsa_float_round_mode_16_64 0
		.amdhsa_float_denorm_mode_32 3
		.amdhsa_float_denorm_mode_16_64 3
		.amdhsa_fp16_overflow 0
		.amdhsa_workgroup_processor_mode 1
		.amdhsa_memory_ordered 1
		.amdhsa_forward_progress 1
		.amdhsa_inst_pref_size 6
		.amdhsa_round_robin_scheduling 0
		.amdhsa_exception_fp_ieee_invalid_op 0
		.amdhsa_exception_fp_denorm_src 0
		.amdhsa_exception_fp_ieee_div_zero 0
		.amdhsa_exception_fp_ieee_overflow 0
		.amdhsa_exception_fp_ieee_underflow 0
		.amdhsa_exception_fp_ieee_inexact 0
		.amdhsa_exception_int_div_zero 0
	.end_amdhsa_kernel
	.section	.text._ZL36rocblas_hemvn_kernel_upper_block_sumILi64EidPddEviT1_lS1_lT2_lT0_lPT3_i,"axG",@progbits,_ZL36rocblas_hemvn_kernel_upper_block_sumILi64EidPddEviT1_lS1_lT2_lT0_lPT3_i,comdat
.Lfunc_end101:
	.size	_ZL36rocblas_hemvn_kernel_upper_block_sumILi64EidPddEviT1_lS1_lT2_lT0_lPT3_i, .Lfunc_end101-_ZL36rocblas_hemvn_kernel_upper_block_sumILi64EidPddEviT1_lS1_lT2_lT0_lPT3_i
                                        ; -- End function
	.set _ZL36rocblas_hemvn_kernel_upper_block_sumILi64EidPddEviT1_lS1_lT2_lT0_lPT3_i.num_vgpr, 10
	.set _ZL36rocblas_hemvn_kernel_upper_block_sumILi64EidPddEviT1_lS1_lT2_lT0_lPT3_i.num_agpr, 0
	.set _ZL36rocblas_hemvn_kernel_upper_block_sumILi64EidPddEviT1_lS1_lT2_lT0_lPT3_i.numbered_sgpr, 28
	.set _ZL36rocblas_hemvn_kernel_upper_block_sumILi64EidPddEviT1_lS1_lT2_lT0_lPT3_i.num_named_barrier, 0
	.set _ZL36rocblas_hemvn_kernel_upper_block_sumILi64EidPddEviT1_lS1_lT2_lT0_lPT3_i.private_seg_size, 0
	.set _ZL36rocblas_hemvn_kernel_upper_block_sumILi64EidPddEviT1_lS1_lT2_lT0_lPT3_i.uses_vcc, 1
	.set _ZL36rocblas_hemvn_kernel_upper_block_sumILi64EidPddEviT1_lS1_lT2_lT0_lPT3_i.uses_flat_scratch, 0
	.set _ZL36rocblas_hemvn_kernel_upper_block_sumILi64EidPddEviT1_lS1_lT2_lT0_lPT3_i.has_dyn_sized_stack, 0
	.set _ZL36rocblas_hemvn_kernel_upper_block_sumILi64EidPddEviT1_lS1_lT2_lT0_lPT3_i.has_recursion, 0
	.set _ZL36rocblas_hemvn_kernel_upper_block_sumILi64EidPddEviT1_lS1_lT2_lT0_lPT3_i.has_indirect_call, 0
	.section	.AMDGPU.csdata,"",@progbits
; Kernel info:
; codeLenInByte = 740
; TotalNumSgprs: 30
; NumVgprs: 10
; ScratchSize: 0
; MemoryBound: 0
; FloatMode: 240
; IeeeMode: 1
; LDSByteSize: 0 bytes/workgroup (compile time only)
; SGPRBlocks: 0
; VGPRBlocks: 1
; NumSGPRsForWavesPerEU: 30
; NumVGPRsForWavesPerEU: 10
; Occupancy: 16
; WaveLimiterHint : 0
; COMPUTE_PGM_RSRC2:SCRATCH_EN: 0
; COMPUTE_PGM_RSRC2:USER_SGPR: 2
; COMPUTE_PGM_RSRC2:TRAP_HANDLER: 0
; COMPUTE_PGM_RSRC2:TGID_X_EN: 1
; COMPUTE_PGM_RSRC2:TGID_Y_EN: 0
; COMPUTE_PGM_RSRC2:TGID_Z_EN: 1
; COMPUTE_PGM_RSRC2:TIDIG_COMP_CNT: 0
	.section	.text._ZL50rocblas_symv_kernel_lower_double_buffered_diagonalILi32ELi4E24rocblas_internal_val_ptrIdEPKdPdEvbiT1_lT2_lllS6_lllS5_lT3_llli,"axG",@progbits,_ZL50rocblas_symv_kernel_lower_double_buffered_diagonalILi32ELi4E24rocblas_internal_val_ptrIdEPKdPdEvbiT1_lT2_lllS6_lllS5_lT3_llli,comdat
	.globl	_ZL50rocblas_symv_kernel_lower_double_buffered_diagonalILi32ELi4E24rocblas_internal_val_ptrIdEPKdPdEvbiT1_lT2_lllS6_lllS5_lT3_llli ; -- Begin function _ZL50rocblas_symv_kernel_lower_double_buffered_diagonalILi32ELi4E24rocblas_internal_val_ptrIdEPKdPdEvbiT1_lT2_lllS6_lllS5_lT3_llli
	.p2align	8
	.type	_ZL50rocblas_symv_kernel_lower_double_buffered_diagonalILi32ELi4E24rocblas_internal_val_ptrIdEPKdPdEvbiT1_lT2_lllS6_lllS5_lT3_llli,@function
_ZL50rocblas_symv_kernel_lower_double_buffered_diagonalILi32ELi4E24rocblas_internal_val_ptrIdEPKdPdEvbiT1_lT2_lllS6_lllS5_lT3_llli: ; @_ZL50rocblas_symv_kernel_lower_double_buffered_diagonalILi32ELi4E24rocblas_internal_val_ptrIdEPKdPdEvbiT1_lT2_lllS6_lllS5_lT3_llli
; %bb.0:
	s_clause 0x2
	s_load_b512 s[8:23], s[0:1], 0x8
	s_load_b256 s[24:31], s[0:1], 0x48
	s_load_b32 s33, s[0:1], 0x88
	s_wait_kmcnt 0x0
	v_dual_mov_b32 v1, s8 :: v_dual_mov_b32 v2, s9
	v_dual_mov_b32 v3, s28 :: v_dual_mov_b32 v4, s29
	s_lshr_b32 s28, ttmp7, 16
	s_clause 0x1
	scratch_store_b64 off, v[1:2], off
	scratch_store_b64 off, v[3:4], off offset:8
	s_wait_alu 0xfffe
	s_cmp_ge_u32 s28, s33
	s_cbranch_scc1 .LBB102_42
; %bb.1:
	s_clause 0x1
	s_load_b32 s36, s[0:1], 0x0
	s_load_b128 s[4:7], s[0:1], 0x70
	v_bfe_u32 v8, v0, 10, 10
	v_and_b32_e32 v9, 0x3ff, v0
	s_clause 0x1
	s_load_b64 s[2:3], s[0:1], 0x68
	s_load_b64 s[34:35], s[0:1], 0x80
	s_add_nc_u64 s[8:9], s[16:17], 1
	s_mov_b32 s29, 0
	v_mad_co_u64_u32 v[0:1], null, s16, v8, 0
	v_mad_co_u64_u32 v[2:3], null, s24, v9, 0
	v_lshl_add_u32 v18, v8, 5, v9
	v_cmp_eq_u32_e64 s0, 0, v8
	s_delay_alu instid0(VALU_DEP_2) | instskip(NEXT) | instid1(VALU_DEP_4)
	v_lshl_add_u32 v18, v18, 3, 0x2000
	v_mad_co_u64_u32 v[4:5], null, s17, v8, v[1:2]
	s_wait_kmcnt 0x0
	s_bitcmp1_b32 s36, 0
	v_mad_co_u64_u32 v[5:6], null, s6, v9, 0
	s_cselect_b32 s1, -1, 0
	s_lshl_b32 s38, ttmp9, 5
	s_lshl_b64 s[4:5], s[4:5], 3
	s_ashr_i32 s39, s38, 31
	s_lshl_b64 s[14:15], s[14:15], 3
	s_add_nc_u64 s[2:3], s[2:3], s[4:5]
	v_mov_b32_e32 v1, v6
	s_mul_u64 s[4:5], s[6:7], s[38:39]
	s_add_nc_u64 s[14:15], s[12:13], s[14:15]
	s_lshl_b64 s[4:5], s[4:5], 3
	s_lshl_b64 s[36:37], s[22:23], 3
	v_mad_co_u64_u32 v[6:7], null, s7, v9, v[1:2]
	v_mov_b32_e32 v1, v4
	s_wait_alu 0xfffe
	s_mul_u64 s[6:7], s[8:9], s[38:39]
	s_add_nc_u64 s[12:13], s[2:3], s[4:5]
	s_wait_alu 0xfffe
	s_lshl_b64 s[6:7], s[6:7], 3
	v_mad_co_u64_u32 v[3:4], null, s25, v9, v[3:4]
	v_lshlrev_b64_e32 v[0:1], 3, v[0:1]
	s_wait_alu 0xfffe
	s_add_nc_u64 s[2:3], s[14:15], s[6:7]
	v_lshlrev_b32_e32 v4, 3, v9
	s_add_nc_u64 s[20:21], s[20:21], s[36:37]
	s_xor_b32 s22, s1, -1
	v_cmp_lt_u32_e64 s1, 15, v9
	v_add_co_u32 v0, vcc_lo, s2, v0
	s_delay_alu instid0(VALU_DEP_1)
	v_add_co_ci_u32_e64 v1, null, s3, v1, vcc_lo
	s_mul_u64 s[2:3], s[24:25], s[38:39]
	v_add_co_u32 v10, vcc_lo, v0, v4
	s_wait_alu 0xfffd
	v_add_co_ci_u32_e64 v11, null, 0, v1, vcc_lo
	v_lshlrev_b64_e32 v[0:1], 3, v[2:3]
	s_wait_alu 0xfffe
	s_lshl_b64 s[2:3], s[2:3], 3
	v_sub_co_u32 v3, s23, v9, v8
	s_wait_alu 0xfffe
	s_add_nc_u64 s[2:3], s[20:21], s[2:3]
	v_lshlrev_b32_e32 v2, 8, v8
	s_wait_alu 0xfffe
	v_add_co_u32 v12, vcc_lo, s2, v0
	v_sub_nc_u32_e32 v0, 0, v3
	s_wait_alu 0xfffd
	v_add_co_ci_u32_e64 v13, null, s3, v1, vcc_lo
	v_mul_u32_u24_e32 v1, 0xf8, v9
	v_lshlrev_b32_e32 v8, 3, v8
	v_max_i32_e32 v0, v3, v0
	v_add_nc_u32_e32 v7, 0x400, v2
	v_add_nc_u32_e32 v21, 0x800, v2
	v_add_nc_u32_e32 v3, 0xc00, v2
	v_add_nc_u32_e32 v15, v4, v2
	v_add3_u32 v16, v4, v1, v8
	v_add_nc_u32_e32 v9, 0x1c00, v2
	v_add_nc_u32_e32 v17, 0x2800, v8
	;; [unrolled: 1-line block ×5, first 2 shown]
	v_cmp_gt_u32_e64 s2, 4, v0
	v_cmp_gt_u32_e64 s3, 8, v0
	v_cmp_gt_u32_e64 s4, 12, v0
	v_cmp_gt_u32_e64 s5, 16, v0
	v_cmp_gt_u32_e64 s6, 20, v0
	v_cmp_gt_u32_e64 s7, 24, v0
	v_cmp_gt_u32_e64 s8, 28, v0
	v_lshlrev_b64_e32 v[0:1], 3, v[5:6]
	v_add_nc_u32_e32 v14, 0x2800, v4
	v_or_b32_e32 v19, 0x2000, v4
	v_add_nc_u32_e32 v20, v4, v7
	v_add_nc_u32_e32 v21, v4, v21
	;; [unrolled: 1-line block ×7, first 2 shown]
	s_lshl_b64 s[20:21], s[16:17], 2
	s_lshl_b64 s[14:15], s[16:17], 5
	;; [unrolled: 1-line block ×3, first 2 shown]
	s_branch .LBB102_4
.LBB102_2:                              ;   in Loop: Header=BB102_4 Depth=1
	s_wait_alu 0xfffe
	s_or_b32 exec_lo, exec_lo, s24
.LBB102_3:                              ;   in Loop: Header=BB102_4 Depth=1
	s_wait_alu 0xfffe
	s_or_b32 exec_lo, exec_lo, s9
	s_add_co_i32 s28, s28, 0x10000
	s_wait_alu 0xfffe
	s_cmp_lt_u32 s28, s33
	s_cbranch_scc0 .LBB102_42
.LBB102_4:                              ; =>This Inner Loop Header: Depth=1
	s_and_b32 vcc_lo, exec_lo, s22
	s_mov_b32 s9, -1
                                        ; implicit-def: $vgpr2_vgpr3
	s_wait_alu 0xfffe
	s_cbranch_vccnz .LBB102_32
; %bb.5:                                ;   in Loop: Header=BB102_4 Depth=1
	s_and_not1_b32 vcc_lo, exec_lo, s9
	s_wait_alu 0xfffe
	s_cbranch_vccz .LBB102_33
.LBB102_6:                              ;   in Loop: Header=BB102_4 Depth=1
	s_and_b32 vcc_lo, exec_lo, s22
	s_mov_b32 s9, -1
                                        ; implicit-def: $vgpr4_vgpr5
	s_wait_alu 0xfffe
	s_cbranch_vccnz .LBB102_34
.LBB102_7:                              ;   in Loop: Header=BB102_4 Depth=1
	s_and_not1_b32 vcc_lo, exec_lo, s9
	s_wait_alu 0xfffe
	s_cbranch_vccnz .LBB102_9
.LBB102_8:                              ;   in Loop: Header=BB102_4 Depth=1
	s_wait_loadcnt_dscnt 0x0
	scratch_load_b64 v[4:5], off, off offset:8
.LBB102_9:                              ;   in Loop: Header=BB102_4 Depth=1
	s_wait_loadcnt_dscnt 0x0
	v_cmp_neq_f64_e32 vcc_lo, 0, v[2:3]
	v_cmp_neq_f64_e64 s9, 1.0, v[4:5]
	s_or_b32 s20, vcc_lo, s9
	s_wait_alu 0xfffe
	s_and_saveexec_b32 s9, s20
	s_cbranch_execz .LBB102_3
; %bb.10:                               ;   in Loop: Header=BB102_4 Depth=1
	s_mul_u64 s[20:21], s[34:35], s[28:29]
	s_mov_b32 s24, exec_lo
	s_wait_alu 0xfffe
	s_lshl_b64 s[20:21], s[20:21], 3
	s_wait_alu 0xfffe
	s_add_nc_u64 s[20:21], s[12:13], s[20:21]
	v_cmpx_eq_f64_e32 0, v[2:3]
	s_xor_b32 s24, exec_lo, s24
	s_cbranch_execz .LBB102_14
; %bb.11:                               ;   in Loop: Header=BB102_4 Depth=1
	s_and_saveexec_b32 s25, s0
	s_cbranch_execz .LBB102_13
; %bb.12:                               ;   in Loop: Header=BB102_4 Depth=1
	s_wait_alu 0xfffe
	v_add_co_u32 v2, vcc_lo, s20, v0
	s_wait_alu 0xfffd
	v_add_co_ci_u32_e64 v3, null, s21, v1, vcc_lo
	global_load_b64 v[6:7], v[2:3], off
	s_wait_loadcnt 0x0
	v_mul_f64_e32 v[4:5], v[4:5], v[6:7]
	global_store_b64 v[2:3], v[4:5], off
.LBB102_13:                             ;   in Loop: Header=BB102_4 Depth=1
	s_wait_alu 0xfffe
	s_or_b32 exec_lo, exec_lo, s25
                                        ; implicit-def: $vgpr2_vgpr3
                                        ; implicit-def: $vgpr4_vgpr5
.LBB102_14:                             ;   in Loop: Header=BB102_4 Depth=1
	s_wait_alu 0xfffe
	s_and_not1_saveexec_b32 s24, s24
	s_cbranch_execz .LBB102_3
; %bb.15:                               ;   in Loop: Header=BB102_4 Depth=1
	v_mov_b32_e32 v6, 0
	v_mov_b32_e32 v7, 0
	s_and_saveexec_b32 s24, s0
	s_cbranch_execz .LBB102_19
; %bb.16:                               ;   in Loop: Header=BB102_4 Depth=1
	v_mov_b32_e32 v6, 0
	v_mov_b32_e32 v7, 0
	s_mov_b32 s25, exec_lo
	v_cmpx_neq_f64_e32 0, v[4:5]
	s_cbranch_execz .LBB102_18
; %bb.17:                               ;   in Loop: Header=BB102_4 Depth=1
	v_add_co_u32 v6, vcc_lo, s20, v0
	s_wait_alu 0xfffd
	v_add_co_ci_u32_e64 v7, null, s21, v1, vcc_lo
	global_load_b64 v[6:7], v[6:7], off
	s_wait_loadcnt 0x0
	v_mul_f64_e32 v[6:7], v[4:5], v[6:7]
.LBB102_18:                             ;   in Loop: Header=BB102_4 Depth=1
	s_wait_alu 0xfffe
	s_or_b32 exec_lo, exec_lo, s25
	s_mul_u64 s[36:37], s[26:27], s[28:29]
	s_wait_alu 0xfffe
	s_lshl_b64 s[36:37], s[36:37], 3
	s_wait_alu 0xfffe
	v_add_co_u32 v8, vcc_lo, v12, s36
	s_wait_alu 0xfffd
	v_add_co_ci_u32_e64 v9, null, s37, v13, vcc_lo
	global_load_b64 v[8:9], v[8:9], off
	s_wait_loadcnt 0x0
	ds_store_b64 v14, v[8:9]
.LBB102_19:                             ;   in Loop: Header=BB102_4 Depth=1
	s_wait_alu 0xfffe
	s_or_b32 exec_lo, exec_lo, s24
	s_mul_u64 s[24:25], s[18:19], s[28:29]
	s_wait_alu 0xfffe
	s_lshl_b64 s[24:25], s[24:25], 3
	s_wait_alu 0xfffe
	v_add_co_u32 v27, vcc_lo, v10, s24
	s_wait_alu 0xfffd
	v_add_co_ci_u32_e64 v28, null, s25, v11, vcc_lo
	s_delay_alu instid0(VALU_DEP_2) | instskip(SKIP_1) | instid1(VALU_DEP_2)
	v_add_co_u32 v29, vcc_lo, v27, s16
	s_wait_alu 0xfffd
	v_add_co_ci_u32_e64 v30, null, s17, v28, vcc_lo
	s_delay_alu instid0(VALU_DEP_2) | instskip(SKIP_1) | instid1(VALU_DEP_2)
	;; [unrolled: 4-line block ×3, first 2 shown]
	v_add_co_u32 v8, vcc_lo, v31, s14
	s_wait_alu 0xfffd
	v_add_co_ci_u32_e64 v9, null, s15, v32, vcc_lo
	s_clause 0x3
	global_load_b64 v[27:28], v[27:28], off
	global_load_b64 v[29:30], v[29:30], off
	global_load_b64 v[31:32], v[31:32], off
	global_load_b64 v[33:34], v[8:9], off
	s_wait_loadcnt 0x3
	ds_store_b64 v15, v[27:28]
	s_wait_loadcnt 0x2
	ds_store_b64 v20, v[29:30]
	s_wait_loadcnt 0x1
	ds_store_b64 v21, v[31:32]
	s_wait_loadcnt 0x0
	ds_store_b64 v22, v[33:34]
	s_and_saveexec_b32 s24, s1
	s_cbranch_execz .LBB102_21
; %bb.20:                               ;   in Loop: Header=BB102_4 Depth=1
	v_add_co_u32 v8, vcc_lo, v8, s14
	s_wait_alu 0xfffd
	v_add_co_ci_u32_e64 v9, null, s15, v9, vcc_lo
	s_delay_alu instid0(VALU_DEP_2) | instskip(SKIP_1) | instid1(VALU_DEP_2)
	v_add_co_u32 v27, vcc_lo, v8, s16
	s_wait_alu 0xfffd
	v_add_co_ci_u32_e64 v28, null, s17, v9, vcc_lo
	s_delay_alu instid0(VALU_DEP_2) | instskip(SKIP_1) | instid1(VALU_DEP_2)
	;; [unrolled: 4-line block ×3, first 2 shown]
	v_add_co_u32 v31, vcc_lo, v29, s14
	s_wait_alu 0xfffd
	v_add_co_ci_u32_e64 v32, null, s15, v30, vcc_lo
	s_clause 0x1
	global_load_b64 v[8:9], v[8:9], off
	global_load_b64 v[27:28], v[27:28], off
	;; [unrolled: 1-line block ×4, first 2 shown]
	s_wait_loadcnt 0x2
	ds_store_2addr_stride64_b64 v15, v[8:9], v[27:28] offset0:8 offset1:10
	s_wait_loadcnt 0x0
	ds_store_2addr_stride64_b64 v15, v[29:30], v[31:32] offset0:12 offset1:14
.LBB102_21:                             ;   in Loop: Header=BB102_4 Depth=1
	s_wait_alu 0xfffe
	s_or_b32 exec_lo, exec_lo, s24
	s_wait_storecnt_dscnt 0x0
	s_barrier_signal -1
	s_barrier_wait -1
	global_inv scope:SCOPE_SE
	s_and_saveexec_b32 s24, s23
	s_cbranch_execnz .LBB102_35
; %bb.22:                               ;   in Loop: Header=BB102_4 Depth=1
	s_wait_alu 0xfffe
	s_or_b32 exec_lo, exec_lo, s24
	s_and_saveexec_b32 s24, s2
	s_cbranch_execnz .LBB102_36
.LBB102_23:                             ;   in Loop: Header=BB102_4 Depth=1
	s_wait_alu 0xfffe
	s_or_b32 exec_lo, exec_lo, s24
	s_and_saveexec_b32 s24, s3
	s_cbranch_execnz .LBB102_37
.LBB102_24:                             ;   in Loop: Header=BB102_4 Depth=1
	s_wait_alu 0xfffe
	s_or_b32 exec_lo, exec_lo, s24
	s_and_saveexec_b32 s24, s4
	s_cbranch_execnz .LBB102_38
.LBB102_25:                             ;   in Loop: Header=BB102_4 Depth=1
	s_wait_alu 0xfffe
	s_or_b32 exec_lo, exec_lo, s24
	s_and_saveexec_b32 s24, s5
	s_cbranch_execnz .LBB102_39
.LBB102_26:                             ;   in Loop: Header=BB102_4 Depth=1
	s_wait_alu 0xfffe
	s_or_b32 exec_lo, exec_lo, s24
	s_and_saveexec_b32 s24, s6
	s_cbranch_execnz .LBB102_40
.LBB102_27:                             ;   in Loop: Header=BB102_4 Depth=1
	s_wait_alu 0xfffe
	s_or_b32 exec_lo, exec_lo, s24
	s_and_saveexec_b32 s24, s7
	s_cbranch_execnz .LBB102_41
.LBB102_28:                             ;   in Loop: Header=BB102_4 Depth=1
	s_wait_alu 0xfffe
	s_or_b32 exec_lo, exec_lo, s24
	s_and_saveexec_b32 s24, s8
	s_cbranch_execz .LBB102_30
.LBB102_29:                             ;   in Loop: Header=BB102_4 Depth=1
	ds_load_b64 v[8:9], v16 offset:224
	s_wait_dscnt 0x0
	ds_store_b64 v23, v[8:9]
.LBB102_30:                             ;   in Loop: Header=BB102_4 Depth=1
	s_wait_alu 0xfffe
	s_or_b32 exec_lo, exec_lo, s24
	s_wait_loadcnt_dscnt 0x0
	s_barrier_signal -1
	s_barrier_wait -1
	global_inv scope:SCOPE_SE
	ds_load_2addr_b64 v[27:30], v17 offset1:4
	ds_load_b64 v[8:9], v15
	ds_load_b64 v[31:32], v20
	;; [unrolled: 1-line block ×4, first 2 shown]
	s_wait_dscnt 0x3
	v_fma_f64 v[8:9], v[8:9], v[27:28], 0
	s_wait_dscnt 0x2
	s_delay_alu instid0(VALU_DEP_1) | instskip(SKIP_3) | instid1(VALU_DEP_1)
	v_fma_f64 v[8:9], v[31:32], v[29:30], v[8:9]
	ds_load_2addr_b64 v[27:30], v17 offset0:8 offset1:12
	s_wait_dscnt 0x0
	v_fma_f64 v[8:9], v[33:34], v[27:28], v[8:9]
	v_fma_f64 v[8:9], v[35:36], v[29:30], v[8:9]
	ds_load_2addr_b64 v[27:30], v17 offset0:16 offset1:20
	ds_load_b64 v[31:32], v24
	ds_load_b64 v[33:34], v25
	;; [unrolled: 1-line block ×4, first 2 shown]
	s_wait_dscnt 0x3
	v_fma_f64 v[8:9], v[31:32], v[27:28], v[8:9]
	s_wait_dscnt 0x2
	s_delay_alu instid0(VALU_DEP_1) | instskip(SKIP_3) | instid1(VALU_DEP_1)
	v_fma_f64 v[8:9], v[33:34], v[29:30], v[8:9]
	ds_load_2addr_b64 v[27:30], v17 offset0:24 offset1:28
	s_wait_dscnt 0x0
	v_fma_f64 v[8:9], v[35:36], v[27:28], v[8:9]
	v_fma_f64 v[8:9], v[37:38], v[29:30], v[8:9]
	ds_store_b64 v18, v[8:9]
	s_wait_loadcnt_dscnt 0x0
	s_barrier_signal -1
	s_barrier_wait -1
	global_inv scope:SCOPE_SE
	s_and_saveexec_b32 s24, s0
	s_cbranch_execz .LBB102_2
; %bb.31:                               ;   in Loop: Header=BB102_4 Depth=1
	ds_load_2addr_b64 v[27:30], v19 offset1:32
	v_cmp_neq_f64_e32 vcc_lo, 0, v[4:5]
	s_wait_dscnt 0x0
	v_add_f64_e32 v[8:9], 0, v[27:28]
	s_delay_alu instid0(VALU_DEP_1) | instskip(SKIP_3) | instid1(VALU_DEP_1)
	v_add_f64_e32 v[8:9], v[8:9], v[29:30]
	ds_load_2addr_b64 v[27:30], v19 offset0:64 offset1:96
	s_wait_dscnt 0x0
	v_add_f64_e32 v[8:9], v[8:9], v[27:28]
	v_add_f64_e32 v[8:9], v[8:9], v[29:30]
	s_delay_alu instid0(VALU_DEP_1) | instskip(SKIP_2) | instid1(VALU_DEP_1)
	v_mul_f64_e32 v[27:28], v[2:3], v[8:9]
	v_fma_f64 v[2:3], v[2:3], v[8:9], v[6:7]
	s_wait_alu 0xfffd
	v_dual_cndmask_b32 v3, v28, v3 :: v_dual_cndmask_b32 v2, v27, v2
	v_add_co_u32 v4, vcc_lo, s20, v0
	s_wait_alu 0xfffd
	v_add_co_ci_u32_e64 v5, null, s21, v1, vcc_lo
	global_store_b64 v[4:5], v[2:3], off
	s_branch .LBB102_2
.LBB102_32:                             ;   in Loop: Header=BB102_4 Depth=1
	scratch_load_b64 v[2:3], off, off
	s_mul_u64 s[20:21], s[10:11], s[28:29]
	s_wait_alu 0xfffe
	s_lshl_b64 s[20:21], s[20:21], 3
	s_wait_loadcnt 0x0
	s_wait_alu 0xfffe
	v_add_co_u32 v2, vcc_lo, v2, s20
	s_wait_alu 0xfffd
	v_add_co_ci_u32_e64 v3, null, s21, v3, vcc_lo
	flat_load_b64 v[2:3], v[2:3]
	s_cbranch_execnz .LBB102_6
.LBB102_33:                             ;   in Loop: Header=BB102_4 Depth=1
	s_wait_loadcnt_dscnt 0x0
	scratch_load_b64 v[2:3], off, off
	s_and_b32 vcc_lo, exec_lo, s22
	s_mov_b32 s9, -1
                                        ; implicit-def: $vgpr4_vgpr5
	s_wait_alu 0xfffe
	s_cbranch_vccz .LBB102_7
.LBB102_34:                             ;   in Loop: Header=BB102_4 Depth=1
	scratch_load_b64 v[4:5], off, off offset:8
	s_mul_u64 s[20:21], s[30:31], s[28:29]
	s_wait_alu 0xfffe
	s_lshl_b64 s[20:21], s[20:21], 3
	s_wait_loadcnt 0x0
	s_wait_alu 0xfffe
	v_add_co_u32 v4, vcc_lo, v4, s20
	s_wait_alu 0xfffd
	v_add_co_ci_u32_e64 v5, null, s21, v5, vcc_lo
	flat_load_b64 v[4:5], v[4:5]
	s_cbranch_execz .LBB102_8
	s_branch .LBB102_9
.LBB102_35:                             ;   in Loop: Header=BB102_4 Depth=1
	ds_load_b64 v[8:9], v16
	s_wait_dscnt 0x0
	ds_store_b64 v15, v[8:9]
	s_wait_alu 0xfffe
	s_or_b32 exec_lo, exec_lo, s24
	s_and_saveexec_b32 s24, s2
	s_cbranch_execz .LBB102_23
.LBB102_36:                             ;   in Loop: Header=BB102_4 Depth=1
	ds_load_b64 v[8:9], v16 offset:32
	s_wait_dscnt 0x0
	ds_store_b64 v20, v[8:9]
	s_wait_alu 0xfffe
	s_or_b32 exec_lo, exec_lo, s24
	s_and_saveexec_b32 s24, s3
	s_cbranch_execz .LBB102_24
.LBB102_37:                             ;   in Loop: Header=BB102_4 Depth=1
	ds_load_b64 v[8:9], v16 offset:64
	s_wait_dscnt 0x0
	ds_store_b64 v21, v[8:9]
	s_wait_alu 0xfffe
	s_or_b32 exec_lo, exec_lo, s24
	s_and_saveexec_b32 s24, s4
	s_cbranch_execz .LBB102_25
.LBB102_38:                             ;   in Loop: Header=BB102_4 Depth=1
	ds_load_b64 v[8:9], v16 offset:96
	s_wait_dscnt 0x0
	ds_store_b64 v22, v[8:9]
	s_wait_alu 0xfffe
	s_or_b32 exec_lo, exec_lo, s24
	s_and_saveexec_b32 s24, s5
	s_cbranch_execz .LBB102_26
.LBB102_39:                             ;   in Loop: Header=BB102_4 Depth=1
	ds_load_b64 v[8:9], v16 offset:128
	s_wait_dscnt 0x0
	ds_store_b64 v15, v[8:9] offset:4096
	s_wait_alu 0xfffe
	s_or_b32 exec_lo, exec_lo, s24
	s_and_saveexec_b32 s24, s6
	s_cbranch_execz .LBB102_27
.LBB102_40:                             ;   in Loop: Header=BB102_4 Depth=1
	ds_load_b64 v[8:9], v16 offset:160
	s_wait_dscnt 0x0
	ds_store_b64 v15, v[8:9] offset:5120
	s_wait_alu 0xfffe
	s_or_b32 exec_lo, exec_lo, s24
	s_and_saveexec_b32 s24, s7
	s_cbranch_execz .LBB102_28
.LBB102_41:                             ;   in Loop: Header=BB102_4 Depth=1
	ds_load_b64 v[8:9], v16 offset:192
	s_wait_dscnt 0x0
	ds_store_b64 v15, v[8:9] offset:6144
	s_wait_alu 0xfffe
	s_or_b32 exec_lo, exec_lo, s24
	s_and_saveexec_b32 s24, s8
	s_cbranch_execnz .LBB102_29
	s_branch .LBB102_30
.LBB102_42:
	s_endpgm
	.section	.rodata,"a",@progbits
	.p2align	6, 0x0
	.amdhsa_kernel _ZL50rocblas_symv_kernel_lower_double_buffered_diagonalILi32ELi4E24rocblas_internal_val_ptrIdEPKdPdEvbiT1_lT2_lllS6_lllS5_lT3_llli
		.amdhsa_group_segment_fixed_size 10496
		.amdhsa_private_segment_fixed_size 24
		.amdhsa_kernarg_size 140
		.amdhsa_user_sgpr_count 2
		.amdhsa_user_sgpr_dispatch_ptr 0
		.amdhsa_user_sgpr_queue_ptr 0
		.amdhsa_user_sgpr_kernarg_segment_ptr 1
		.amdhsa_user_sgpr_dispatch_id 0
		.amdhsa_user_sgpr_private_segment_size 0
		.amdhsa_wavefront_size32 1
		.amdhsa_uses_dynamic_stack 0
		.amdhsa_enable_private_segment 1
		.amdhsa_system_sgpr_workgroup_id_x 1
		.amdhsa_system_sgpr_workgroup_id_y 0
		.amdhsa_system_sgpr_workgroup_id_z 1
		.amdhsa_system_sgpr_workgroup_info 0
		.amdhsa_system_vgpr_workitem_id 1
		.amdhsa_next_free_vgpr 97
		.amdhsa_next_free_sgpr 40
		.amdhsa_reserve_vcc 1
		.amdhsa_float_round_mode_32 0
		.amdhsa_float_round_mode_16_64 0
		.amdhsa_float_denorm_mode_32 3
		.amdhsa_float_denorm_mode_16_64 3
		.amdhsa_fp16_overflow 0
		.amdhsa_workgroup_processor_mode 1
		.amdhsa_memory_ordered 1
		.amdhsa_forward_progress 1
		.amdhsa_inst_pref_size 20
		.amdhsa_round_robin_scheduling 0
		.amdhsa_exception_fp_ieee_invalid_op 0
		.amdhsa_exception_fp_denorm_src 0
		.amdhsa_exception_fp_ieee_div_zero 0
		.amdhsa_exception_fp_ieee_overflow 0
		.amdhsa_exception_fp_ieee_underflow 0
		.amdhsa_exception_fp_ieee_inexact 0
		.amdhsa_exception_int_div_zero 0
	.end_amdhsa_kernel
	.section	.text._ZL50rocblas_symv_kernel_lower_double_buffered_diagonalILi32ELi4E24rocblas_internal_val_ptrIdEPKdPdEvbiT1_lT2_lllS6_lllS5_lT3_llli,"axG",@progbits,_ZL50rocblas_symv_kernel_lower_double_buffered_diagonalILi32ELi4E24rocblas_internal_val_ptrIdEPKdPdEvbiT1_lT2_lllS6_lllS5_lT3_llli,comdat
.Lfunc_end102:
	.size	_ZL50rocblas_symv_kernel_lower_double_buffered_diagonalILi32ELi4E24rocblas_internal_val_ptrIdEPKdPdEvbiT1_lT2_lllS6_lllS5_lT3_llli, .Lfunc_end102-_ZL50rocblas_symv_kernel_lower_double_buffered_diagonalILi32ELi4E24rocblas_internal_val_ptrIdEPKdPdEvbiT1_lT2_lllS6_lllS5_lT3_llli
                                        ; -- End function
	.set _ZL50rocblas_symv_kernel_lower_double_buffered_diagonalILi32ELi4E24rocblas_internal_val_ptrIdEPKdPdEvbiT1_lT2_lllS6_lllS5_lT3_llli.num_vgpr, 39
	.set _ZL50rocblas_symv_kernel_lower_double_buffered_diagonalILi32ELi4E24rocblas_internal_val_ptrIdEPKdPdEvbiT1_lT2_lllS6_lllS5_lT3_llli.num_agpr, 0
	.set _ZL50rocblas_symv_kernel_lower_double_buffered_diagonalILi32ELi4E24rocblas_internal_val_ptrIdEPKdPdEvbiT1_lT2_lllS6_lllS5_lT3_llli.numbered_sgpr, 40
	.set _ZL50rocblas_symv_kernel_lower_double_buffered_diagonalILi32ELi4E24rocblas_internal_val_ptrIdEPKdPdEvbiT1_lT2_lllS6_lllS5_lT3_llli.num_named_barrier, 0
	.set _ZL50rocblas_symv_kernel_lower_double_buffered_diagonalILi32ELi4E24rocblas_internal_val_ptrIdEPKdPdEvbiT1_lT2_lllS6_lllS5_lT3_llli.private_seg_size, 24
	.set _ZL50rocblas_symv_kernel_lower_double_buffered_diagonalILi32ELi4E24rocblas_internal_val_ptrIdEPKdPdEvbiT1_lT2_lllS6_lllS5_lT3_llli.uses_vcc, 1
	.set _ZL50rocblas_symv_kernel_lower_double_buffered_diagonalILi32ELi4E24rocblas_internal_val_ptrIdEPKdPdEvbiT1_lT2_lllS6_lllS5_lT3_llli.uses_flat_scratch, 1
	.set _ZL50rocblas_symv_kernel_lower_double_buffered_diagonalILi32ELi4E24rocblas_internal_val_ptrIdEPKdPdEvbiT1_lT2_lllS6_lllS5_lT3_llli.has_dyn_sized_stack, 0
	.set _ZL50rocblas_symv_kernel_lower_double_buffered_diagonalILi32ELi4E24rocblas_internal_val_ptrIdEPKdPdEvbiT1_lT2_lllS6_lllS5_lT3_llli.has_recursion, 0
	.set _ZL50rocblas_symv_kernel_lower_double_buffered_diagonalILi32ELi4E24rocblas_internal_val_ptrIdEPKdPdEvbiT1_lT2_lllS6_lllS5_lT3_llli.has_indirect_call, 0
	.section	.AMDGPU.csdata,"",@progbits
; Kernel info:
; codeLenInByte = 2436
; TotalNumSgprs: 42
; NumVgprs: 39
; ScratchSize: 24
; MemoryBound: 0
; FloatMode: 240
; IeeeMode: 1
; LDSByteSize: 10496 bytes/workgroup (compile time only)
; SGPRBlocks: 0
; VGPRBlocks: 12
; NumSGPRsForWavesPerEU: 42
; NumVGPRsForWavesPerEU: 97
; Occupancy: 12
; WaveLimiterHint : 1
; COMPUTE_PGM_RSRC2:SCRATCH_EN: 1
; COMPUTE_PGM_RSRC2:USER_SGPR: 2
; COMPUTE_PGM_RSRC2:TRAP_HANDLER: 0
; COMPUTE_PGM_RSRC2:TGID_X_EN: 1
; COMPUTE_PGM_RSRC2:TGID_Y_EN: 0
; COMPUTE_PGM_RSRC2:TGID_Z_EN: 1
; COMPUTE_PGM_RSRC2:TIDIG_COMP_CNT: 1
	.section	.text._ZL54rocblas_symv_kernel_lower_double_buffered_non_diagonalILi32ELi4ELi4E24rocblas_internal_val_ptrIdEPKdPdEvbiT2_lT3_lllS6_lllT4_llli,"axG",@progbits,_ZL54rocblas_symv_kernel_lower_double_buffered_non_diagonalILi32ELi4ELi4E24rocblas_internal_val_ptrIdEPKdPdEvbiT2_lT3_lllS6_lllT4_llli,comdat
	.globl	_ZL54rocblas_symv_kernel_lower_double_buffered_non_diagonalILi32ELi4ELi4E24rocblas_internal_val_ptrIdEPKdPdEvbiT2_lT3_lllS6_lllT4_llli ; -- Begin function _ZL54rocblas_symv_kernel_lower_double_buffered_non_diagonalILi32ELi4ELi4E24rocblas_internal_val_ptrIdEPKdPdEvbiT2_lT3_lllS6_lllT4_llli
	.p2align	8
	.type	_ZL54rocblas_symv_kernel_lower_double_buffered_non_diagonalILi32ELi4ELi4E24rocblas_internal_val_ptrIdEPKdPdEvbiT2_lT3_lllS6_lllT4_llli,@function
_ZL54rocblas_symv_kernel_lower_double_buffered_non_diagonalILi32ELi4ELi4E24rocblas_internal_val_ptrIdEPKdPdEvbiT2_lT3_lllS6_lllT4_llli: ; @_ZL54rocblas_symv_kernel_lower_double_buffered_non_diagonalILi32ELi4ELi4E24rocblas_internal_val_ptrIdEPKdPdEvbiT2_lT3_lllS6_lllT4_llli
; %bb.0:
	s_load_b64 s[20:21], s[0:1], 0x4
	s_clause 0x1
	s_load_b512 s[4:19], s[2:3], 0x8
	s_load_b32 s1, s[2:3], 0x78
	v_bfe_u32 v2, v0, 10, 10
	v_and_b32_e32 v1, 0x3ff, v0
	v_bfe_u32 v0, v0, 20, 10
	s_wait_kmcnt 0x0
	s_delay_alu instid0(VALU_DEP_3)
	v_mul_u32_u24_e32 v3, s21, v2
	s_lshr_b32 s0, s20, 16
	v_mov_b32_e32 v4, s5
	s_mul_i32 s0, s0, s21
	s_delay_alu instid0(VALU_DEP_2) | instid1(SALU_CYCLE_1)
	v_mad_u32_u24 v5, s0, v1, v3
	v_mov_b32_e32 v3, s4
	s_lshr_b32 s4, ttmp7, 16
	s_wait_alu 0xfffe
	s_cmp_ge_u32 s4, s1
	v_add_lshl_u32 v0, v5, v0, 3
	ds_store_b64 v0, v[3:4] offset:6400
	s_cbranch_scc1 .LBB103_32
; %bb.1:
	s_clause 0x3
	s_load_b32 s33, s[2:3], 0x0
	s_load_b128 s[20:23], s[2:3], 0x48
	s_load_b128 s[24:27], s[2:3], 0x60
	s_load_b64 s[30:31], s[2:3], 0x58
	v_add_nc_u32_e32 v58, 0x1900, v0
	v_lshl_add_u32 v0, v2, 5, v1
	v_dual_mov_b32 v4, 0 :: v_dual_and_b32 v3, 15, v1
	v_lshlrev_b32_e32 v20, 3, v1
	v_cmp_eq_u32_e64 s0, 0, v2
	s_delay_alu instid0(VALU_DEP_4)
	v_lshrrev_b32_e32 v19, 4, v0
	s_load_b64 s[28:29], s[2:3], 0x70
	s_add_nc_u64 s[34:35], s[12:13], 1
	s_add_nc_u64 s[2:3], s[2:3], 0x80
	s_mov_b32 s5, 0
	v_lshl_add_u32 v60, v19, 5, 0x1800
	v_lshlrev_b32_e32 v21, 3, v3
	v_add_nc_u32_e32 v61, 0x1000, v20
	s_wait_kmcnt 0x0
	s_bitcmp1_b32 s33, 0
	v_mad_co_u64_u32 v[5:6], null, s20, v1, 0
	v_lshlrev_b32_e32 v15, 2, v19
	v_mad_co_u64_u32 v[9:10], null, s20, v3, 0
	v_mad_co_u64_u32 v[13:14], null, s26, v1, 0
	s_cselect_b32 s37, -1, 0
	v_mov_b32_e32 v0, v6
	s_lshl_b32 s36, ttmp9, 5
	s_lshl_b64 s[10:11], s[10:11], 3
	v_mov_b32_e32 v2, v10
	s_lshl_b64 s[18:19], s[18:19], 3
	v_mad_co_u64_u32 v[6:7], null, s21, v1, v[0:1]
	v_mad_co_u64_u32 v[7:8], null, s12, v15, v[3:4]
	v_or_b32_e32 v4, 16, v3
	v_add_nc_u32_e32 v59, 0x1800, v20
	v_add_nc_u32_e32 v20, 5, v1
	s_xor_b32 s43, s37, -1
	s_ashr_i32 s37, s36, 31
	v_mad_co_u64_u32 v[11:12], null, s20, v4, 0
	v_mov_b32_e32 v0, v8
	s_add_nc_u64 s[8:9], s[8:9], s[10:11]
	s_add_nc_u64 s[10:11], s[16:17], s[18:19]
	s_mul_u64 s[18:19], s[34:35], s[36:37]
	s_lshl_b64 s[24:25], s[24:25], 3
	v_mad_co_u64_u32 v[15:16], null, s13, v15, v[0:1]
	s_delay_alu instid0(VALU_DEP_3) | instskip(SKIP_3) | instid1(VALU_DEP_4)
	v_mov_b32_e32 v0, v12
	v_mad_co_u64_u32 v[16:17], null, s21, v3, v[2:3]
	v_xor_b32_e32 v3, 8, v3
	v_or_b32_e32 v2, 0x1000, v21
	v_mad_co_u64_u32 v[17:18], null, s21, v4, v[0:1]
	v_mov_b32_e32 v8, v15
	v_lshlrev_b32_e32 v4, 7, v1
	v_mov_b32_e32 v10, v16
	v_add_nc_u32_e32 v16, 1, v1
	v_add_nc_u32_e32 v18, 3, v1
	v_mov_b32_e32 v0, v14
	v_dual_mov_b32 v12, v17 :: v_dual_add_nc_u32 v17, 2, v1
	s_delay_alu instid0(VALU_DEP_4) | instskip(NEXT) | instid1(VALU_DEP_4)
	v_and_b32_e32 v16, 15, v16
	v_and_b32_e32 v18, 15, v18
	s_delay_alu instid0(VALU_DEP_4) | instskip(NEXT) | instid1(VALU_DEP_4)
	v_mad_co_u64_u32 v[14:15], null, s27, v1, v[0:1]
	v_and_b32_e32 v17, 15, v17
	s_delay_alu instid0(VALU_DEP_4)
	v_lshl_or_b32 v63, v16, 3, v4
	v_and_b32_e32 v16, 15, v20
	v_lshlrev_b32_e32 v0, 8, v19
	v_lshlrev_b32_e32 v15, 9, v19
	v_add_nc_u32_e32 v19, 4, v1
	v_lshl_or_b32 v64, v17, 3, v4
	v_lshl_or_b32 v65, v18, 3, v4
	v_add_nc_u32_e32 v17, 6, v1
	v_add_nc_u32_e32 v18, 7, v1
	v_lshl_or_b32 v67, v16, 3, v4
	v_add_nc_u32_e32 v16, 9, v1
	v_and_b32_e32 v19, 15, v19
	v_and_b32_e32 v17, 15, v17
	;; [unrolled: 1-line block ×3, first 2 shown]
	v_lshl_or_b32 v70, v3, 3, v4
	v_and_b32_e32 v16, 15, v16
	v_lshl_or_b32 v66, v19, 3, v4
	v_add_nc_u32_e32 v19, 10, v1
	v_lshl_or_b32 v68, v17, 3, v4
	v_lshl_or_b32 v69, v18, 3, v4
	;; [unrolled: 1-line block ×3, first 2 shown]
	v_add_nc_u32_e32 v3, 11, v1
	v_add_nc_u32_e32 v16, 12, v1
	;; [unrolled: 1-line block ×4, first 2 shown]
	v_add_nc_u32_e32 v1, -1, v1
	v_and_b32_e32 v19, 15, v19
	v_and_b32_e32 v3, 15, v3
	;; [unrolled: 1-line block ×6, first 2 shown]
	s_lshl_b64 s[18:19], s[18:19], 3
	s_add_nc_u64 s[16:17], s[30:31], s[24:25]
	s_mul_u64 s[24:25], s[20:21], s[36:37]
	s_add_nc_u64 s[8:9], s[8:9], s[18:19]
	s_mul_u64 s[18:19], s[26:27], s[36:37]
	v_or_b32_e32 v62, v4, v21
	v_lshl_or_b32 v72, v19, 3, v4
	v_lshl_or_b32 v73, v3, 3, v4
	;; [unrolled: 1-line block ×6, first 2 shown]
	v_lshlrev_b64_e32 v[4:5], 3, v[5:6]
	v_lshlrev_b64_e32 v[6:7], 3, v[7:8]
	;; [unrolled: 1-line block ×5, first 2 shown]
	v_add_nc_u32_e32 v78, v2, v0
	v_add_nc_u32_e32 v79, v21, v15
	s_and_b32 s33, ttmp7, 0xffff
	s_lshl_b64 s[24:25], s[24:25], 3
	s_lshl_b64 s[18:19], s[18:19], 3
	;; [unrolled: 1-line block ×3, first 2 shown]
	s_not_b32 s42, ttmp9
	s_lshl_b32 s44, s33, 5
	s_add_nc_u64 s[10:11], s[10:11], s[24:25]
	s_add_nc_u64 s[16:17], s[16:17], s[18:19]
	s_lshl_b64 s[18:19], s[20:21], 8
	s_lshl_b64 s[24:25], s[26:27], 8
	s_lshl_b64 s[12:13], s[12:13], 3
	s_sub_nc_u64 s[30:31], 0, s[30:31]
	s_branch .LBB103_3
.LBB103_2:                              ;   in Loop: Header=BB103_3 Depth=1
	s_or_b32 exec_lo, exec_lo, s45
	s_add_co_i32 s4, s4, 0x10000
	s_wait_alu 0xfffe
	s_cmp_lt_u32 s4, s1
	s_cbranch_scc0 .LBB103_32
.LBB103_3:                              ; =>This Loop Header: Depth=1
                                        ;     Child Loop BB103_17 Depth 2
                                        ;       Child Loop BB103_19 Depth 3
                                        ;     Child Loop BB103_27 Depth 2
                                        ;     Child Loop BB103_31 Depth 2
	s_and_b32 vcc_lo, exec_lo, s43
	s_mov_b32 s34, -1
                                        ; implicit-def: $vgpr14_vgpr15
	s_wait_alu 0xfffe
	s_cbranch_vccz .LBB103_5
; %bb.4:                                ;   in Loop: Header=BB103_3 Depth=1
	ds_load_b64 v[0:1], v58
	s_mul_u64 s[34:35], s[6:7], s[4:5]
	s_wait_alu 0xfffe
	s_lshl_b64 s[34:35], s[34:35], 3
	s_wait_dscnt 0x0
	s_wait_alu 0xfffe
	v_add_co_u32 v0, vcc_lo, v0, s34
	s_wait_alu 0xfffd
	v_add_co_ci_u32_e64 v1, null, s35, v1, vcc_lo
	s_mov_b32 s34, 0
	flat_load_b64 v[14:15], v[0:1]
.LBB103_5:                              ;   in Loop: Header=BB103_3 Depth=1
	s_wait_alu 0xfffe
	s_and_not1_b32 vcc_lo, exec_lo, s34
	s_wait_alu 0xfffe
	s_cbranch_vccnz .LBB103_7
; %bb.6:                                ;   in Loop: Header=BB103_3 Depth=1
	s_wait_loadcnt_dscnt 0x0
	ds_load_b64 v[14:15], v58
.LBB103_7:                              ;   in Loop: Header=BB103_3 Depth=1
	s_mov_b32 s45, exec_lo
	s_wait_loadcnt_dscnt 0x0
	v_cmpx_neq_f64_e32 0, v[14:15]
	s_cbranch_execz .LBB103_2
; %bb.8:                                ;   in Loop: Header=BB103_3 Depth=1
	s_load_b64 s[34:35], s[2:3], 0x0
	s_wait_kmcnt 0x0
	s_add_co_i32 s36, s34, -1
	s_wait_alu 0xfffe
	s_cmp_eq_u32 ttmp9, s36
	s_cbranch_scc1 .LBB103_2
; %bb.9:                                ;   in Loop: Header=BB103_3 Depth=1
	s_mul_u64 s[36:37], s[22:23], s[4:5]
	s_wait_alu 0xfffe
	s_lshl_b64 s[36:37], s[36:37], 3
	s_wait_alu 0xfffe
	s_add_nc_u64 s[38:39], s[10:11], s[36:37]
	s_and_saveexec_b32 s36, s0
	s_cbranch_execz .LBB103_11
; %bb.10:                               ;   in Loop: Header=BB103_3 Depth=1
	s_wait_alu 0xfffe
	v_add_co_u32 v0, vcc_lo, s38, v4
	s_wait_alu 0xfffd
	v_add_co_ci_u32_e64 v1, null, s39, v5, vcc_lo
	global_load_b64 v[0:1], v[0:1], off
	s_wait_loadcnt 0x0
	ds_store_b64 v59, v[0:1]
.LBB103_11:                             ;   in Loop: Header=BB103_3 Depth=1
	s_wait_alu 0xfffe
	s_or_b32 exec_lo, exec_lo, s36
	s_cvt_f32_u32 s36, s35
	s_sub_co_i32 s37, 0, s35
	s_add_co_i32 s34, s34, s42
	s_wait_alu 0xfffe
	v_rcp_iflag_f32_e32 v0, s36
	s_delay_alu instid0(TRANS32_DEP_1) | instskip(SKIP_2) | instid1(SALU_CYCLE_2)
	v_readfirstlane_b32 s36, v0
	s_mul_f32 s36, s36, 0x4f7ffffe
	s_wait_alu 0xfffe
	s_cvt_u32_f32 s36, s36
	s_wait_alu 0xfffe
	s_delay_alu instid0(SALU_CYCLE_2)
	s_mul_i32 s37, s37, s36
	s_wait_alu 0xfffe
	s_mul_hi_u32 s37, s36, s37
	s_wait_alu 0xfffe
	s_add_co_i32 s36, s36, s37
	s_wait_alu 0xfffe
	s_mul_hi_u32 s36, s34, s36
	s_wait_alu 0xfffe
	s_mul_i32 s37, s36, s35
	s_add_co_i32 s40, s36, 1
	s_wait_alu 0xfffe
	s_sub_co_i32 s37, s34, s37
	s_wait_alu 0xfffe
	s_sub_co_i32 s41, s37, s35
	s_cmp_ge_u32 s37, s35
	s_cselect_b32 s36, s40, s36
	s_wait_alu 0xfffe
	s_cselect_b32 s37, s41, s37
	s_add_co_i32 s40, s36, 1
	s_wait_alu 0xfffe
	s_cmp_ge_u32 s37, s35
	s_cselect_b32 s36, s40, s36
	s_add_co_i32 s37, s35, -1
	s_wait_alu 0xfffe
	s_mov_b32 s46, s36
	s_cmp_lg_u32 s33, s37
	s_cbranch_scc1 .LBB103_13
; %bb.12:                               ;   in Loop: Header=BB103_3 Depth=1
	s_mul_i32 s35, s36, s35
	s_wait_alu 0xfffe
	s_sub_co_i32 s34, s34, s35
	s_wait_alu 0xfffe
	s_add_co_i32 s46, s34, s36
.LBB103_13:                             ;   in Loop: Header=BB103_3 Depth=1
	s_delay_alu instid0(SALU_CYCLE_1)
	s_cmp_eq_u32 s46, 0
	s_cbranch_scc1 .LBB103_2
; %bb.14:                               ;   in Loop: Header=BB103_3 Depth=1
	s_mul_u64 s[34:35], s[28:29], s[4:5]
	s_wait_dscnt 0x0
	s_wait_alu 0xfffe
	s_lshl_b64 s[34:35], s[34:35], 3
	s_cmp_lt_i32 s46, 1
	s_wait_alu 0xfffe
	s_add_nc_u64 s[34:35], s[16:17], s[34:35]
	s_barrier_signal -1
	s_barrier_wait -1
	global_inv scope:SCOPE_SE
	s_cbranch_scc1 .LBB103_23
; %bb.15:                               ;   in Loop: Header=BB103_3 Depth=1
	s_mul_u64 s[40:41], s[14:15], s[4:5]
	s_mul_i32 s48, s44, s36
	s_wait_alu 0xfffe
	s_lshl_b64 s[36:37], s[40:41], 3
	s_ashr_i32 s49, s48, 31
	s_wait_alu 0xfffe
	s_add_nc_u64 s[36:37], s[8:9], s[36:37]
	s_lshl_b64 s[40:41], s[48:49], 3
	s_wait_alu 0xfffe
	s_add_nc_u64 s[36:37], s[36:37], s[40:41]
	s_mul_u64 s[40:41], s[26:27], s[48:49]
	s_wait_alu 0xfffe
	v_add_co_u32 v0, vcc_lo, s36, v6
	s_wait_alu 0xfffd
	v_add_co_ci_u32_e64 v1, null, s37, v7, vcc_lo
	s_mul_u64 s[48:49], s[20:21], s[48:49]
	v_add_co_u32 v2, vcc_lo, v0, s12
	s_wait_alu 0xfffd
	v_add_co_ci_u32_e64 v3, null, s13, v1, vcc_lo
	s_lshl_b64 s[40:41], s[40:41], 3
	v_add_co_u32 v16, vcc_lo, v2, s12
	s_wait_alu 0xfffd
	v_add_co_ci_u32_e64 v17, null, s13, v3, vcc_lo
	s_lshl_b64 s[48:49], s[48:49], 3
	v_add_co_u32 v18, vcc_lo, v16, s12
	s_wait_alu 0xfffd
	v_add_co_ci_u32_e64 v19, null, s13, v17, vcc_lo
	s_clause 0x3
	global_load_b64 v[34:35], v[0:1], off offset:256
	global_load_b64 v[36:37], v[2:3], off offset:256
	;; [unrolled: 1-line block ×4, first 2 shown]
	v_mov_b32_e32 v16, 0
	v_mov_b32_e32 v17, 0
	s_wait_alu 0xfffe
	s_add_nc_u64 s[40:41], s[34:35], s[40:41]
	s_cmp_eq_u32 s46, 1
	s_add_nc_u64 s[38:39], s[38:39], s[48:49]
	s_cbranch_scc1 .LBB103_24
; %bb.16:                               ;   in Loop: Header=BB103_3 Depth=1
	v_mov_b32_e32 v18, 0
	v_dual_mov_b32 v20, 0 :: v_dual_mov_b32 v19, 0
	v_dual_mov_b32 v22, 0 :: v_dual_mov_b32 v21, 0
	;; [unrolled: 1-line block ×3, first 2 shown]
	s_wait_alu 0xfffe
	v_dual_mov_b32 v17, 0 :: v_dual_mov_b32 v24, s40
	v_mov_b32_e32 v25, s41
	s_add_nc_u64 s[36:37], s[36:37], 0x100
	s_add_co_i32 s46, s46, -2
	s_mov_b32 s47, 0
.LBB103_17:                             ;   Parent Loop BB103_3 Depth=1
                                        ; =>  This Loop Header: Depth=2
                                        ;       Child Loop BB103_19 Depth 3
	s_wait_alu 0xfffe
	v_add_co_u32 v0, vcc_lo, s36, v6
	s_wait_alu 0xfffd
	v_add_co_ci_u32_e64 v1, null, s37, v7, vcc_lo
	s_add_nc_u64 s[38:39], s[38:39], s[18:19]
	v_add_co_u32 v2, vcc_lo, v0, s12
	global_load_b64 v[42:43], v[0:1], off offset:128
	s_wait_alu 0xfffd
	v_add_co_ci_u32_e64 v3, null, s13, v1, vcc_lo
	global_load_b64 v[44:45], v[2:3], off offset:128
	v_add_co_u32 v2, vcc_lo, v2, s12
	s_wait_alu 0xfffd
	v_add_co_ci_u32_e64 v3, null, s13, v3, vcc_lo
	global_load_b64 v[46:47], v[2:3], off offset:128
	v_add_co_u32 v2, vcc_lo, v2, s12
	;; [unrolled: 4-line block ×3, first 2 shown]
	s_wait_alu 0xfffd
	v_add_co_ci_u32_e64 v3, null, s31, v3, vcc_lo
	s_wait_alu 0xfffe
	v_add_co_u32 v26, vcc_lo, s38, v8
	s_wait_alu 0xfffd
	v_add_co_ci_u32_e64 v27, null, s39, v9, vcc_lo
	v_add_co_u32 v28, vcc_lo, v2, s12
	s_wait_alu 0xfffd
	v_add_co_ci_u32_e64 v29, null, s13, v3, vcc_lo
	;; [unrolled: 3-line block ×4, first 2 shown]
	s_clause 0x1
	global_load_b64 v[52:53], v[26:27], off
	global_load_b64 v[50:51], v[30:31], off
	s_clause 0x3
	global_load_b64 v[32:33], v[0:1], off offset:256
	global_load_b64 v[30:31], v[2:3], off offset:256
	;; [unrolled: 1-line block ×4, first 2 shown]
	ds_load_b128 v[0:3], v60
	ds_load_b128 v[54:57], v60 offset:16
	s_wait_loadcnt_dscnt 0x0
	s_barrier_signal -1
	s_barrier_wait -1
	global_inv scope:SCOPE_SE
	v_fma_f64 v[80:81], v[34:35], v[0:1], 0
	s_delay_alu instid0(VALU_DEP_1) | instskip(SKIP_1) | instid1(VALU_DEP_1)
	v_fma_f64 v[80:81], v[36:37], v[2:3], v[80:81]
	v_fma_f64 v[0:1], v[42:43], v[0:1], 0
	;; [unrolled: 1-line block ×3, first 2 shown]
	s_delay_alu instid0(VALU_DEP_3) | instskip(NEXT) | instid1(VALU_DEP_2)
	v_fma_f64 v[2:3], v[38:39], v[54:55], v[80:81]
	v_fma_f64 v[0:1], v[46:47], v[54:55], v[0:1]
	s_delay_alu instid0(VALU_DEP_2) | instskip(NEXT) | instid1(VALU_DEP_2)
	v_fma_f64 v[2:3], v[40:41], v[56:57], v[2:3]
	v_fma_f64 v[0:1], v[48:49], v[56:57], v[0:1]
	ds_store_2addr_b64 v78, v[2:3], v[0:1] offset1:16
	s_wait_loadcnt_dscnt 0x0
	s_barrier_signal -1
	s_barrier_wait -1
	global_inv scope:SCOPE_SE
	s_and_saveexec_b32 s40, s0
	s_cbranch_execz .LBB103_21
; %bb.18:                               ;   in Loop: Header=BB103_17 Depth=2
	ds_load_2addr_b64 v[54:57], v61 offset1:32
	v_add_co_u32 v24, vcc_lo, v24, s24
	s_wait_alu 0xfffd
	v_add_co_ci_u32_e64 v25, null, s25, v25, vcc_lo
	ds_load_2addr_b64 v[80:83], v61 offset0:64 offset1:96
	s_mov_b32 s41, 0
	s_wait_dscnt 0x1
	v_add_f64_e32 v[0:1], 0, v[54:55]
	v_add_co_u32 v54, vcc_lo, v24, v12
	s_wait_alu 0xfffd
	v_add_co_ci_u32_e64 v55, null, v25, v13, vcc_lo
	global_load_b64 v[2:3], v[54:55], off
	v_add_f64_e32 v[0:1], v[0:1], v[56:57]
	s_wait_dscnt 0x0
	s_delay_alu instid0(VALU_DEP_1) | instskip(NEXT) | instid1(VALU_DEP_1)
	v_add_f64_e32 v[0:1], v[0:1], v[80:81]
	v_add_f64_e32 v[0:1], v[0:1], v[82:83]
	ds_load_2addr_b64 v[80:83], v61 offset0:128 offset1:160
	s_wait_dscnt 0x0
	v_add_f64_e32 v[0:1], v[0:1], v[80:81]
	s_delay_alu instid0(VALU_DEP_1) | instskip(SKIP_3) | instid1(VALU_DEP_1)
	v_add_f64_e32 v[0:1], v[0:1], v[82:83]
	ds_load_2addr_b64 v[80:83], v61 offset0:192 offset1:224
	s_wait_dscnt 0x0
	v_add_f64_e32 v[0:1], v[0:1], v[80:81]
	v_add_f64_e32 v[0:1], v[0:1], v[82:83]
	s_delay_alu instid0(VALU_DEP_1)
	v_mul_f64_e32 v[56:57], v[14:15], v[0:1]
.LBB103_19:                             ;   Parent Loop BB103_3 Depth=1
                                        ;     Parent Loop BB103_17 Depth=2
                                        ; =>    This Inner Loop Header: Depth=3
	s_wait_loadcnt 0x0
	s_delay_alu instid0(VALU_DEP_1)
	v_add_f64_e32 v[0:1], v[2:3], v[56:57]
	global_atomic_cmpswap_b64 v[0:1], v[54:55], v[0:3], off th:TH_ATOMIC_RETURN scope:SCOPE_DEV
	s_wait_loadcnt 0x0
	v_cmp_eq_u64_e32 vcc_lo, v[0:1], v[2:3]
	v_dual_mov_b32 v3, v1 :: v_dual_mov_b32 v2, v0
	s_wait_alu 0xfffe
	s_or_b32 s41, vcc_lo, s41
	s_wait_alu 0xfffe
	s_and_not1_b32 exec_lo, exec_lo, s41
	s_cbranch_execnz .LBB103_19
; %bb.20:                               ;   in Loop: Header=BB103_17 Depth=2
	s_or_b32 exec_lo, exec_lo, s41
.LBB103_21:                             ;   in Loop: Header=BB103_17 Depth=2
	s_wait_alu 0xfffe
	s_or_b32 exec_lo, exec_lo, s40
	v_fma_f64 v[0:1], v[52:53], v[34:35], v[18:19]
	v_fma_f64 v[2:3], v[52:53], v[36:37], v[22:23]
	;; [unrolled: 1-line block ×4, first 2 shown]
	s_add_co_i32 s48, s47, 1
	s_cmp_eq_u32 s47, s46
	s_add_nc_u64 s[40:41], s[36:37], 0x100
	s_delay_alu instid0(VALU_DEP_4) | instskip(NEXT) | instid1(VALU_DEP_4)
	v_fma_f64 v[18:19], v[50:51], v[42:43], v[0:1]
	v_fma_f64 v[22:23], v[50:51], v[44:45], v[2:3]
	s_delay_alu instid0(VALU_DEP_4) | instskip(NEXT) | instid1(VALU_DEP_4)
	v_fma_f64 v[20:21], v[50:51], v[46:47], v[20:21]
	v_fma_f64 v[16:17], v[50:51], v[48:49], v[16:17]
	s_cbranch_scc1 .LBB103_25
; %bb.22:                               ;   in Loop: Header=BB103_17 Depth=2
	v_dual_mov_b32 v35, v33 :: v_dual_mov_b32 v34, v32
	v_dual_mov_b32 v37, v31 :: v_dual_mov_b32 v36, v30
	;; [unrolled: 1-line block ×4, first 2 shown]
	s_mov_b32 s47, s48
	s_wait_alu 0xfffe
	s_mov_b64 s[36:37], s[40:41]
	s_branch .LBB103_17
.LBB103_23:                             ;   in Loop: Header=BB103_3 Depth=1
	v_mov_b32_e32 v0, 0
	v_dual_mov_b32 v16, 0 :: v_dual_mov_b32 v1, 0
	v_dual_mov_b32 v2, 0 :: v_dual_mov_b32 v17, 0
	;; [unrolled: 1-line block ×3, first 2 shown]
	v_mov_b32_e32 v19, 0
	s_branch .LBB103_29
.LBB103_24:                             ;   in Loop: Header=BB103_3 Depth=1
	v_mov_b32_e32 v20, 0
	v_dual_mov_b32 v18, 0 :: v_dual_mov_b32 v21, 0
	v_dual_mov_b32 v22, 0 :: v_dual_mov_b32 v19, 0
	s_wait_loadcnt 0x3
	v_mov_b32_e32 v32, v34
	s_wait_alu 0xfffe
	v_dual_mov_b32 v24, s40 :: v_dual_mov_b32 v25, s41
	s_wait_loadcnt 0x0
	v_dual_mov_b32 v26, v40 :: v_dual_mov_b32 v27, v41
	v_dual_mov_b32 v28, v38 :: v_dual_mov_b32 v29, v39
	;; [unrolled: 1-line block ×3, first 2 shown]
	v_mov_b32_e32 v23, 0
	v_mov_b32_e32 v33, v35
.LBB103_25:                             ;   in Loop: Header=BB103_3 Depth=1
	v_add_co_u32 v0, vcc_lo, s36, v6
	s_wait_alu 0xfffd
	v_add_co_ci_u32_e64 v1, null, s37, v7, vcc_lo
	s_wait_alu 0xfffe
	s_add_nc_u64 s[36:37], s[38:39], s[18:19]
	global_load_b64 v[34:35], v[0:1], off offset:384
	v_add_co_u32 v0, vcc_lo, v0, s12
	s_wait_alu 0xfffd
	v_add_co_ci_u32_e64 v1, null, s13, v1, vcc_lo
	global_load_b64 v[36:37], v[0:1], off offset:384
	v_add_co_u32 v0, vcc_lo, v0, s12
	s_wait_alu 0xfffd
	v_add_co_ci_u32_e64 v1, null, s13, v1, vcc_lo
	;; [unrolled: 4-line block ×3, first 2 shown]
	global_load_b64 v[40:41], v[0:1], off offset:384
	s_wait_alu 0xfffe
	v_add_co_u32 v0, vcc_lo, s36, v8
	s_wait_alu 0xfffd
	v_add_co_ci_u32_e64 v1, null, s37, v9, vcc_lo
	v_add_co_u32 v2, vcc_lo, s36, v10
	s_wait_alu 0xfffd
	v_add_co_ci_u32_e64 v3, null, s37, v11, vcc_lo
	s_clause 0x1
	global_load_b64 v[44:45], v[0:1], off
	global_load_b64 v[42:43], v[2:3], off
	ds_load_b128 v[0:3], v60
	ds_load_b128 v[46:49], v60 offset:16
	s_wait_loadcnt_dscnt 0x0
	s_barrier_signal -1
	s_barrier_wait -1
	global_inv scope:SCOPE_SE
	v_fma_f64 v[50:51], v[32:33], v[0:1], 0
	s_delay_alu instid0(VALU_DEP_1) | instskip(SKIP_1) | instid1(VALU_DEP_1)
	v_fma_f64 v[50:51], v[30:31], v[2:3], v[50:51]
	v_fma_f64 v[0:1], v[34:35], v[0:1], 0
	;; [unrolled: 1-line block ×3, first 2 shown]
	s_delay_alu instid0(VALU_DEP_3) | instskip(NEXT) | instid1(VALU_DEP_2)
	v_fma_f64 v[2:3], v[28:29], v[46:47], v[50:51]
	v_fma_f64 v[0:1], v[38:39], v[46:47], v[0:1]
	s_delay_alu instid0(VALU_DEP_2) | instskip(NEXT) | instid1(VALU_DEP_2)
	v_fma_f64 v[2:3], v[26:27], v[48:49], v[2:3]
	v_fma_f64 v[0:1], v[40:41], v[48:49], v[0:1]
	ds_store_2addr_b64 v78, v[2:3], v[0:1] offset1:16
	s_wait_loadcnt_dscnt 0x0
	s_barrier_signal -1
	s_barrier_wait -1
	global_inv scope:SCOPE_SE
	s_and_saveexec_b32 s36, s0
	s_cbranch_execz .LBB103_28
; %bb.26:                               ;   in Loop: Header=BB103_3 Depth=1
	ds_load_2addr_b64 v[46:49], v61 offset1:32
	v_add_co_u32 v2, vcc_lo, v24, s24
	s_wait_alu 0xfffd
	v_add_co_ci_u32_e64 v3, null, s25, v25, vcc_lo
	s_mov_b32 s37, 0
	v_add_co_u32 v24, vcc_lo, v2, v12
	s_wait_alu 0xfffd
	v_add_co_ci_u32_e64 v25, null, v3, v13, vcc_lo
	global_load_b64 v[2:3], v[24:25], off
	s_wait_dscnt 0x0
	v_add_f64_e32 v[0:1], 0, v[46:47]
	s_delay_alu instid0(VALU_DEP_1) | instskip(SKIP_3) | instid1(VALU_DEP_1)
	v_add_f64_e32 v[0:1], v[0:1], v[48:49]
	ds_load_2addr_b64 v[46:49], v61 offset0:64 offset1:96
	s_wait_dscnt 0x0
	v_add_f64_e32 v[0:1], v[0:1], v[46:47]
	v_add_f64_e32 v[0:1], v[0:1], v[48:49]
	ds_load_2addr_b64 v[46:49], v61 offset0:128 offset1:160
	s_wait_dscnt 0x0
	v_add_f64_e32 v[0:1], v[0:1], v[46:47]
	s_delay_alu instid0(VALU_DEP_1) | instskip(SKIP_3) | instid1(VALU_DEP_1)
	v_add_f64_e32 v[0:1], v[0:1], v[48:49]
	ds_load_2addr_b64 v[46:49], v61 offset0:192 offset1:224
	s_wait_dscnt 0x0
	v_add_f64_e32 v[0:1], v[0:1], v[46:47]
	v_add_f64_e32 v[0:1], v[0:1], v[48:49]
	s_delay_alu instid0(VALU_DEP_1)
	v_mul_f64_e32 v[46:47], v[14:15], v[0:1]
.LBB103_27:                             ;   Parent Loop BB103_3 Depth=1
                                        ; =>  This Inner Loop Header: Depth=2
	s_wait_loadcnt 0x0
	s_delay_alu instid0(VALU_DEP_1)
	v_add_f64_e32 v[0:1], v[2:3], v[46:47]
	global_atomic_cmpswap_b64 v[0:1], v[24:25], v[0:3], off th:TH_ATOMIC_RETURN scope:SCOPE_DEV
	s_wait_loadcnt 0x0
	v_cmp_eq_u64_e32 vcc_lo, v[0:1], v[2:3]
	v_dual_mov_b32 v3, v1 :: v_dual_mov_b32 v2, v0
	s_wait_alu 0xfffe
	s_or_b32 s37, vcc_lo, s37
	s_wait_alu 0xfffe
	s_and_not1_b32 exec_lo, exec_lo, s37
	s_cbranch_execnz .LBB103_27
.LBB103_28:                             ;   in Loop: Header=BB103_3 Depth=1
	s_wait_alu 0xfffe
	s_or_b32 exec_lo, exec_lo, s36
	v_fma_f64 v[0:1], v[44:45], v[32:33], v[18:19]
	v_fma_f64 v[2:3], v[44:45], v[30:31], v[22:23]
	;; [unrolled: 1-line block ×4, first 2 shown]
	s_delay_alu instid0(VALU_DEP_4) | instskip(NEXT) | instid1(VALU_DEP_4)
	v_fma_f64 v[18:19], v[42:43], v[34:35], v[0:1]
	v_fma_f64 v[16:17], v[42:43], v[36:37], v[2:3]
	s_delay_alu instid0(VALU_DEP_4) | instskip(NEXT) | instid1(VALU_DEP_4)
	v_fma_f64 v[2:3], v[42:43], v[38:39], v[20:21]
	v_fma_f64 v[0:1], v[42:43], v[40:41], v[22:23]
.LBB103_29:                             ;   in Loop: Header=BB103_3 Depth=1
	ds_store_2addr_b64 v79, v[18:19], v[16:17] offset1:16
	ds_store_2addr_b64 v79, v[2:3], v[0:1] offset0:32 offset1:48
	s_wait_loadcnt_dscnt 0x0
	s_barrier_signal -1
	s_barrier_wait -1
	global_inv scope:SCOPE_SE
	s_and_b32 exec_lo, exec_lo, s0
	s_cbranch_execz .LBB103_2
; %bb.30:                               ;   in Loop: Header=BB103_3 Depth=1
	ds_load_b64 v[0:1], v62
	ds_load_b64 v[2:3], v63
	;; [unrolled: 1-line block ×4, first 2 shown]
	s_wait_dscnt 0x3
	v_add_f64_e32 v[0:1], 0, v[0:1]
	s_wait_dscnt 0x2
	s_delay_alu instid0(VALU_DEP_1) | instskip(SKIP_1) | instid1(VALU_DEP_1)
	v_add_f64_e32 v[0:1], v[0:1], v[2:3]
	s_wait_dscnt 0x1
	v_add_f64_e32 v[0:1], v[0:1], v[16:17]
	s_wait_dscnt 0x0
	s_delay_alu instid0(VALU_DEP_1)
	v_add_f64_e32 v[0:1], v[0:1], v[18:19]
	ds_load_b64 v[2:3], v66
	ds_load_b64 v[16:17], v67
	ds_load_b64 v[18:19], v68
	ds_load_b64 v[20:21], v69
	s_wait_dscnt 0x3
	v_add_f64_e32 v[0:1], v[0:1], v[2:3]
	s_wait_dscnt 0x2
	s_delay_alu instid0(VALU_DEP_1)
	v_add_f64_e32 v[0:1], v[0:1], v[16:17]
	s_wait_alu 0xfffe
	v_add_co_u32 v16, vcc_lo, s34, v12
	s_wait_alu 0xfffd
	v_add_co_ci_u32_e64 v17, null, s35, v13, vcc_lo
	s_mov_b32 s34, 0
	s_wait_dscnt 0x1
	v_add_f64_e32 v[0:1], v[0:1], v[18:19]
	s_wait_dscnt 0x0
	s_delay_alu instid0(VALU_DEP_1)
	v_add_f64_e32 v[0:1], v[0:1], v[20:21]
	ds_load_b64 v[2:3], v70
	ds_load_b64 v[18:19], v71
	ds_load_b64 v[20:21], v72
	ds_load_b64 v[22:23], v73
	s_wait_dscnt 0x3
	v_add_f64_e32 v[0:1], v[0:1], v[2:3]
	global_load_b64 v[2:3], v[16:17], off
	s_wait_dscnt 0x2
	v_add_f64_e32 v[0:1], v[0:1], v[18:19]
	s_wait_dscnt 0x1
	s_delay_alu instid0(VALU_DEP_1) | instskip(SKIP_1) | instid1(VALU_DEP_1)
	v_add_f64_e32 v[0:1], v[0:1], v[20:21]
	s_wait_dscnt 0x0
	v_add_f64_e32 v[0:1], v[0:1], v[22:23]
	ds_load_b64 v[18:19], v74
	ds_load_b64 v[20:21], v75
	;; [unrolled: 1-line block ×4, first 2 shown]
	s_wait_dscnt 0x3
	v_add_f64_e32 v[0:1], v[0:1], v[18:19]
	s_wait_dscnt 0x2
	s_delay_alu instid0(VALU_DEP_1) | instskip(SKIP_1) | instid1(VALU_DEP_1)
	v_add_f64_e32 v[0:1], v[0:1], v[20:21]
	s_wait_dscnt 0x1
	v_add_f64_e32 v[0:1], v[0:1], v[22:23]
	s_wait_dscnt 0x0
	s_delay_alu instid0(VALU_DEP_1) | instskip(NEXT) | instid1(VALU_DEP_1)
	v_add_f64_e32 v[0:1], v[0:1], v[24:25]
	v_mul_f64_e32 v[14:15], v[14:15], v[0:1]
.LBB103_31:                             ;   Parent Loop BB103_3 Depth=1
                                        ; =>  This Inner Loop Header: Depth=2
	s_wait_loadcnt 0x0
	s_delay_alu instid0(VALU_DEP_1)
	v_add_f64_e32 v[0:1], v[2:3], v[14:15]
	global_atomic_cmpswap_b64 v[0:1], v[16:17], v[0:3], off th:TH_ATOMIC_RETURN scope:SCOPE_DEV
	s_wait_loadcnt 0x0
	v_cmp_eq_u64_e32 vcc_lo, v[0:1], v[2:3]
	v_dual_mov_b32 v3, v1 :: v_dual_mov_b32 v2, v0
	s_wait_alu 0xfffe
	s_or_b32 s34, vcc_lo, s34
	s_wait_alu 0xfffe
	s_and_not1_b32 exec_lo, exec_lo, s34
	s_cbranch_execnz .LBB103_31
	s_branch .LBB103_2
.LBB103_32:
	s_endpgm
	.section	.rodata,"a",@progbits
	.p2align	6, 0x0
	.amdhsa_kernel _ZL54rocblas_symv_kernel_lower_double_buffered_non_diagonalILi32ELi4ELi4E24rocblas_internal_val_ptrIdEPKdPdEvbiT2_lT3_lllS6_lllT4_llli
		.amdhsa_group_segment_fixed_size 7424
		.amdhsa_private_segment_fixed_size 0
		.amdhsa_kernarg_size 384
		.amdhsa_user_sgpr_count 4
		.amdhsa_user_sgpr_dispatch_ptr 1
		.amdhsa_user_sgpr_queue_ptr 0
		.amdhsa_user_sgpr_kernarg_segment_ptr 1
		.amdhsa_user_sgpr_dispatch_id 0
		.amdhsa_user_sgpr_private_segment_size 0
		.amdhsa_wavefront_size32 1
		.amdhsa_uses_dynamic_stack 0
		.amdhsa_enable_private_segment 0
		.amdhsa_system_sgpr_workgroup_id_x 1
		.amdhsa_system_sgpr_workgroup_id_y 1
		.amdhsa_system_sgpr_workgroup_id_z 1
		.amdhsa_system_sgpr_workgroup_info 0
		.amdhsa_system_vgpr_workitem_id 2
		.amdhsa_next_free_vgpr 84
		.amdhsa_next_free_sgpr 50
		.amdhsa_reserve_vcc 1
		.amdhsa_float_round_mode_32 0
		.amdhsa_float_round_mode_16_64 0
		.amdhsa_float_denorm_mode_32 3
		.amdhsa_float_denorm_mode_16_64 3
		.amdhsa_fp16_overflow 0
		.amdhsa_workgroup_processor_mode 1
		.amdhsa_memory_ordered 1
		.amdhsa_forward_progress 1
		.amdhsa_inst_pref_size 29
		.amdhsa_round_robin_scheduling 0
		.amdhsa_exception_fp_ieee_invalid_op 0
		.amdhsa_exception_fp_denorm_src 0
		.amdhsa_exception_fp_ieee_div_zero 0
		.amdhsa_exception_fp_ieee_overflow 0
		.amdhsa_exception_fp_ieee_underflow 0
		.amdhsa_exception_fp_ieee_inexact 0
		.amdhsa_exception_int_div_zero 0
	.end_amdhsa_kernel
	.section	.text._ZL54rocblas_symv_kernel_lower_double_buffered_non_diagonalILi32ELi4ELi4E24rocblas_internal_val_ptrIdEPKdPdEvbiT2_lT3_lllS6_lllT4_llli,"axG",@progbits,_ZL54rocblas_symv_kernel_lower_double_buffered_non_diagonalILi32ELi4ELi4E24rocblas_internal_val_ptrIdEPKdPdEvbiT2_lT3_lllS6_lllT4_llli,comdat
.Lfunc_end103:
	.size	_ZL54rocblas_symv_kernel_lower_double_buffered_non_diagonalILi32ELi4ELi4E24rocblas_internal_val_ptrIdEPKdPdEvbiT2_lT3_lllS6_lllT4_llli, .Lfunc_end103-_ZL54rocblas_symv_kernel_lower_double_buffered_non_diagonalILi32ELi4ELi4E24rocblas_internal_val_ptrIdEPKdPdEvbiT2_lT3_lllS6_lllT4_llli
                                        ; -- End function
	.set _ZL54rocblas_symv_kernel_lower_double_buffered_non_diagonalILi32ELi4ELi4E24rocblas_internal_val_ptrIdEPKdPdEvbiT2_lT3_lllS6_lllT4_llli.num_vgpr, 84
	.set _ZL54rocblas_symv_kernel_lower_double_buffered_non_diagonalILi32ELi4ELi4E24rocblas_internal_val_ptrIdEPKdPdEvbiT2_lT3_lllS6_lllT4_llli.num_agpr, 0
	.set _ZL54rocblas_symv_kernel_lower_double_buffered_non_diagonalILi32ELi4ELi4E24rocblas_internal_val_ptrIdEPKdPdEvbiT2_lT3_lllS6_lllT4_llli.numbered_sgpr, 50
	.set _ZL54rocblas_symv_kernel_lower_double_buffered_non_diagonalILi32ELi4ELi4E24rocblas_internal_val_ptrIdEPKdPdEvbiT2_lT3_lllS6_lllT4_llli.num_named_barrier, 0
	.set _ZL54rocblas_symv_kernel_lower_double_buffered_non_diagonalILi32ELi4ELi4E24rocblas_internal_val_ptrIdEPKdPdEvbiT2_lT3_lllS6_lllT4_llli.private_seg_size, 0
	.set _ZL54rocblas_symv_kernel_lower_double_buffered_non_diagonalILi32ELi4ELi4E24rocblas_internal_val_ptrIdEPKdPdEvbiT2_lT3_lllS6_lllT4_llli.uses_vcc, 1
	.set _ZL54rocblas_symv_kernel_lower_double_buffered_non_diagonalILi32ELi4ELi4E24rocblas_internal_val_ptrIdEPKdPdEvbiT2_lT3_lllS6_lllT4_llli.uses_flat_scratch, 0
	.set _ZL54rocblas_symv_kernel_lower_double_buffered_non_diagonalILi32ELi4ELi4E24rocblas_internal_val_ptrIdEPKdPdEvbiT2_lT3_lllS6_lllT4_llli.has_dyn_sized_stack, 0
	.set _ZL54rocblas_symv_kernel_lower_double_buffered_non_diagonalILi32ELi4ELi4E24rocblas_internal_val_ptrIdEPKdPdEvbiT2_lT3_lllS6_lllT4_llli.has_recursion, 0
	.set _ZL54rocblas_symv_kernel_lower_double_buffered_non_diagonalILi32ELi4ELi4E24rocblas_internal_val_ptrIdEPKdPdEvbiT2_lT3_lllS6_lllT4_llli.has_indirect_call, 0
	.section	.AMDGPU.csdata,"",@progbits
; Kernel info:
; codeLenInByte = 3644
; TotalNumSgprs: 52
; NumVgprs: 84
; ScratchSize: 0
; MemoryBound: 0
; FloatMode: 240
; IeeeMode: 1
; LDSByteSize: 7424 bytes/workgroup (compile time only)
; SGPRBlocks: 0
; VGPRBlocks: 10
; NumSGPRsForWavesPerEU: 52
; NumVGPRsForWavesPerEU: 84
; Occupancy: 16
; WaveLimiterHint : 1
; COMPUTE_PGM_RSRC2:SCRATCH_EN: 0
; COMPUTE_PGM_RSRC2:USER_SGPR: 4
; COMPUTE_PGM_RSRC2:TRAP_HANDLER: 0
; COMPUTE_PGM_RSRC2:TGID_X_EN: 1
; COMPUTE_PGM_RSRC2:TGID_Y_EN: 1
; COMPUTE_PGM_RSRC2:TGID_Z_EN: 1
; COMPUTE_PGM_RSRC2:TIDIG_COMP_CNT: 2
	.section	.text._ZL58rocblas_symv_kernel_lower_double_buffered_diagonal_genericILi32ELi4E24rocblas_internal_val_ptrIdEPKdPdEvbiT1_lT2_lllS6_lllS5_lT3_lllii,"axG",@progbits,_ZL58rocblas_symv_kernel_lower_double_buffered_diagonal_genericILi32ELi4E24rocblas_internal_val_ptrIdEPKdPdEvbiT1_lT2_lllS6_lllS5_lT3_lllii,comdat
	.globl	_ZL58rocblas_symv_kernel_lower_double_buffered_diagonal_genericILi32ELi4E24rocblas_internal_val_ptrIdEPKdPdEvbiT1_lT2_lllS6_lllS5_lT3_lllii ; -- Begin function _ZL58rocblas_symv_kernel_lower_double_buffered_diagonal_genericILi32ELi4E24rocblas_internal_val_ptrIdEPKdPdEvbiT1_lT2_lllS6_lllS5_lT3_lllii
	.p2align	8
	.type	_ZL58rocblas_symv_kernel_lower_double_buffered_diagonal_genericILi32ELi4E24rocblas_internal_val_ptrIdEPKdPdEvbiT1_lT2_lllS6_lllS5_lT3_lllii,@function
_ZL58rocblas_symv_kernel_lower_double_buffered_diagonal_genericILi32ELi4E24rocblas_internal_val_ptrIdEPKdPdEvbiT1_lT2_lllS6_lllS5_lT3_lllii: ; @_ZL58rocblas_symv_kernel_lower_double_buffered_diagonal_genericILi32ELi4E24rocblas_internal_val_ptrIdEPKdPdEvbiT1_lT2_lllS6_lllS5_lT3_lllii
; %bb.0:
	s_clause 0x2
	s_load_b512 s[12:27], s[0:1], 0x8
	s_load_b256 s[36:43], s[0:1], 0x48
	s_load_b64 s[28:29], s[0:1], 0x88
	s_wait_kmcnt 0x0
	v_dual_mov_b32 v1, s12 :: v_dual_mov_b32 v2, s13
	v_dual_mov_b32 v3, s40 :: v_dual_mov_b32 v4, s41
	s_lshr_b32 s12, ttmp7, 16
	s_clause 0x1
	scratch_store_b64 off, v[1:2], off
	scratch_store_b64 off, v[3:4], off offset:8
	s_wait_alu 0xfffe
	s_cmp_ge_u32 s12, s29
	s_cbranch_scc1 .LBB104_69
; %bb.1:
	s_clause 0x2
	s_load_b32 s34, s[0:1], 0x0
	s_load_b128 s[4:7], s[0:1], 0x70
	s_load_b64 s[8:9], s[0:1], 0x68
	v_bfe_u32 v9, v0, 10, 10
	v_and_b32_e32 v10, 0x3ff, v0
	s_add_nc_u64 s[10:11], s[20:21], 1
	s_load_b64 s[30:31], s[0:1], 0x80
	s_mov_b32 s13, 0
	v_mad_co_u64_u32 v[0:1], null, s20, v9, 0
	v_lshlrev_b32_e32 v13, 3, v9
	v_cmp_eq_u32_e64 s2, 0, v9
	v_lshlrev_b32_e32 v12, 8, v9
	s_delay_alu instid0(VALU_DEP_3) | instskip(NEXT) | instid1(VALU_DEP_2)
	v_add_nc_u32_e32 v23, 0x2800, v13
	v_add_nc_u32_e32 v14, 0x1400, v12
	s_wait_kmcnt 0x0
	s_bitcmp1_b32 s34, 0
	v_mad_co_u64_u32 v[2:3], null, s6, v10, 0
	s_cselect_b32 s40, -1, 0
	s_lshl_b64 s[34:35], s[18:19], 3
	s_lshl_b64 s[18:19], s[26:27], 3
	s_lshl_b32 s26, ttmp9, 5
	s_lshl_b64 s[4:5], s[4:5], 3
	s_ashr_i32 s27, s26, 31
	v_mad_co_u64_u32 v[6:7], null, s21, v9, v[1:2]
	v_mov_b32_e32 v1, v3
	v_mad_co_u64_u32 v[4:5], null, s36, v10, 0
	s_add_nc_u64 s[4:5], s[8:9], s[4:5]
	s_mul_u64 s[8:9], s[10:11], s[26:27]
	v_mad_co_u64_u32 v[7:8], null, s7, v10, v[1:2]
	s_mul_u64 s[6:7], s[6:7], s[26:27]
	s_add_nc_u64 s[44:45], s[16:17], s[34:35]
	s_wait_alu 0xfffe
	s_lshl_b64 s[6:7], s[6:7], 3
	s_lshl_b64 s[48:49], s[8:9], 3
	s_add_nc_u64 s[46:47], s[24:25], s[18:19]
	s_wait_alu 0xfffe
	s_add_nc_u64 s[18:19], s[4:5], s[6:7]
	v_mov_b32_e32 v3, v7
	v_lshlrev_b32_e32 v7, 3, v10
	v_mov_b32_e32 v1, v6
	s_add_nc_u64 s[4:5], s[44:45], s[48:49]
	v_mad_co_u64_u32 v[5:6], null, s37, v10, v[5:6]
	s_delay_alu instid0(VALU_DEP_3) | instskip(NEXT) | instid1(VALU_DEP_3)
	v_add_nc_u32_e32 v20, 0x2800, v7
	v_lshlrev_b64_e32 v[0:1], 3, v[0:1]
	s_add_nc_u64 s[34:35], s[34:35], s[48:49]
	v_lshl_add_u32 v11, v9, 5, v10
	v_cmp_gt_i32_e64 s33, s28, v10
	v_cmp_le_i32_e64 s3, s28, v10
	s_xor_b32 s40, s40, -1
	v_add_co_u32 v6, vcc_lo, s4, v0
	s_delay_alu instid0(VALU_DEP_1)
	v_add_co_ci_u32_e64 v8, null, s5, v1, vcc_lo
	s_mul_u64 s[4:5], s[36:37], s[26:27]
	v_add_co_u32 v18, vcc_lo, v6, v7
	v_sub_co_u32 v6, s41, v10, v9
	s_wait_alu 0xfffd
	v_add_co_ci_u32_e64 v19, null, 0, v8, vcc_lo
	s_wait_alu 0xfffe
	s_lshl_b64 s[26:27], s[4:5], 3
	v_sub_nc_u32_e32 v8, 0, v6
	v_add_co_u32 v0, vcc_lo, s34, v0
	s_lshl_b64 s[24:25], s[20:21], 5
	s_lshr_b32 s44, s28, 2
	v_max_i32_e32 v6, v6, v8
	v_mul_u32_u24_e32 v10, 0xf8, v10
	s_wait_alu 0xfffd
	v_add_co_ci_u32_e64 v1, null, s35, v1, vcc_lo
	s_cmp_gt_u32 s28, 3
	v_cmp_gt_u32_e64 s5, 4, v6
	v_cmp_gt_u32_e64 s6, 8, v6
	;; [unrolled: 1-line block ×7, first 2 shown]
	v_add_nc_u32_e32 v6, 0x1c00, v12
	s_cselect_b32 s45, -1, 0
	s_and_b32 s4, s28, 3
	v_add_nc_u32_e32 v8, 0x400, v12
	s_wait_alu 0xfffe
	v_cmp_gt_u32_e64 s4, s4, v9
	v_dual_mov_b32 v6, 0 :: v_dual_add_nc_u32 v29, v7, v6
	v_add_co_u32 v0, vcc_lo, v0, v7
	v_add_nc_u32_e32 v21, v7, v12
	v_add3_u32 v22, v7, v10, v13
	v_add_nc_u32_e32 v9, 0x800, v12
	v_add_nc_u32_e32 v10, 0xc00, v12
	;; [unrolled: 1-line block ×4, first 2 shown]
	s_wait_alu 0xfffd
	v_add_co_ci_u32_e64 v1, null, 0, v1, vcc_lo
	v_add_co_u32 v0, vcc_lo, s16, v0
	v_lshlrev_b64_e32 v[2:3], 3, v[2:3]
	v_lshlrev_b64_e32 v[4:5], 3, v[4:5]
	v_lshl_add_u32 v24, v11, 3, 0x2000
	v_or_b32_e32 v25, 0x2000, v7
	s_wait_alu 0xfffd
	v_add_co_ci_u32_e64 v1, null, s17, v1, vcc_lo
	v_add_nc_u32_e32 v26, v7, v8
	v_add_nc_u32_e32 v27, v7, v9
	;; [unrolled: 1-line block ×6, first 2 shown]
	s_add_nc_u64 s[16:17], s[0:1], 0x90
	s_add_nc_u64 s[26:27], s[46:47], s[26:27]
	s_lshl_b64 s[34:35], s[22:23], 3
	s_branch .LBB104_4
.LBB104_2:                              ;   in Loop: Header=BB104_4 Depth=1
	s_wait_alu 0xfffe
	s_or_b32 exec_lo, exec_lo, s36
.LBB104_3:                              ;   in Loop: Header=BB104_4 Depth=1
	s_wait_alu 0xfffe
	s_or_b32 exec_lo, exec_lo, s28
	s_add_co_i32 s12, s12, 0x10000
	s_wait_alu 0xfffe
	s_cmp_lt_u32 s12, s29
	s_cbranch_scc0 .LBB104_69
.LBB104_4:                              ; =>This Loop Header: Depth=1
                                        ;     Child Loop BB104_40 Depth 2
	s_and_b32 vcc_lo, exec_lo, s40
	s_mov_b32 s0, -1
                                        ; implicit-def: $vgpr8_vgpr9
	s_wait_alu 0xfffe
	s_cbranch_vccnz .LBB104_59
; %bb.5:                                ;   in Loop: Header=BB104_4 Depth=1
	s_and_not1_b32 vcc_lo, exec_lo, s0
	s_wait_alu 0xfffe
	s_cbranch_vccz .LBB104_60
.LBB104_6:                              ;   in Loop: Header=BB104_4 Depth=1
	s_and_b32 vcc_lo, exec_lo, s40
	s_mov_b32 s0, -1
                                        ; implicit-def: $vgpr10_vgpr11
	s_wait_alu 0xfffe
	s_cbranch_vccnz .LBB104_61
.LBB104_7:                              ;   in Loop: Header=BB104_4 Depth=1
	s_and_not1_b32 vcc_lo, exec_lo, s0
	s_wait_alu 0xfffe
	s_cbranch_vccnz .LBB104_9
.LBB104_8:                              ;   in Loop: Header=BB104_4 Depth=1
	s_wait_loadcnt_dscnt 0x0
	scratch_load_b64 v[10:11], off, off offset:8
.LBB104_9:                              ;   in Loop: Header=BB104_4 Depth=1
	s_wait_loadcnt_dscnt 0x0
	v_cmp_neq_f64_e32 vcc_lo, 0, v[8:9]
	v_cmp_neq_f64_e64 s0, 1.0, v[10:11]
	s_or_b32 s0, vcc_lo, s0
	s_wait_alu 0xfffe
	s_and_saveexec_b32 s28, s0
	s_cbranch_execz .LBB104_3
; %bb.10:                               ;   in Loop: Header=BB104_4 Depth=1
	s_mul_u64 s[0:1], s[30:31], s[12:13]
	s_mov_b32 s36, exec_lo
	s_wait_alu 0xfffe
	s_lshl_b64 s[0:1], s[0:1], 3
	s_wait_alu 0xfffe
	s_add_nc_u64 s[0:1], s[18:19], s[0:1]
	v_cmpx_eq_f64_e32 0, v[8:9]
	s_xor_b32 s36, exec_lo, s36
	s_cbranch_execz .LBB104_17
; %bb.11:                               ;   in Loop: Header=BB104_4 Depth=1
	s_and_saveexec_b32 s37, s2
	s_cbranch_execz .LBB104_16
; %bb.12:                               ;   in Loop: Header=BB104_4 Depth=1
	s_mov_b32 s47, s33
	s_and_saveexec_b32 s46, s3
	s_cbranch_execz .LBB104_14
; %bb.13:                               ;   in Loop: Header=BB104_4 Depth=1
	s_load_b32 s47, s[16:17], 0x0
	s_wait_kmcnt 0x0
	s_add_co_i32 s47, s47, -1
	s_delay_alu instid0(SALU_CYCLE_1)
	s_cmp_lt_u32 ttmp9, s47
	s_cselect_b32 s47, -1, 0
	s_and_not1_b32 s48, s33, exec_lo
	s_and_b32 s47, s47, exec_lo
	s_wait_alu 0xfffe
	s_or_b32 s47, s48, s47
.LBB104_14:                             ;   in Loop: Header=BB104_4 Depth=1
	s_or_b32 exec_lo, exec_lo, s46
	s_delay_alu instid0(SALU_CYCLE_1)
	s_and_b32 exec_lo, exec_lo, s47
	s_cbranch_execz .LBB104_16
; %bb.15:                               ;   in Loop: Header=BB104_4 Depth=1
	s_wait_alu 0xfffe
	v_add_co_u32 v7, vcc_lo, s0, v2
	s_wait_alu 0xfffd
	v_add_co_ci_u32_e64 v8, null, s1, v3, vcc_lo
	global_load_b64 v[12:13], v[7:8], off
	s_wait_loadcnt 0x0
	v_mul_f64_e32 v[9:10], v[10:11], v[12:13]
	global_store_b64 v[7:8], v[9:10], off
.LBB104_16:                             ;   in Loop: Header=BB104_4 Depth=1
	s_wait_alu 0xfffe
	s_or_b32 exec_lo, exec_lo, s37
                                        ; implicit-def: $vgpr8_vgpr9
                                        ; implicit-def: $vgpr10_vgpr11
.LBB104_17:                             ;   in Loop: Header=BB104_4 Depth=1
	s_wait_alu 0xfffe
	s_and_not1_saveexec_b32 s36, s36
	s_cbranch_execz .LBB104_3
; %bb.18:                               ;   in Loop: Header=BB104_4 Depth=1
	s_load_b32 s46, s[16:17], 0x0
	s_mul_u64 s[36:37], s[38:39], s[12:13]
	s_mov_b32 s47, -1
	s_wait_alu 0xfffe
	s_lshl_b64 s[36:37], s[36:37], 3
                                        ; implicit-def: $vgpr12_vgpr13
	s_wait_alu 0xfffe
	s_add_nc_u64 s[36:37], s[26:27], s[36:37]
	s_wait_kmcnt 0x0
	s_add_co_i32 s46, s46, -1
	s_delay_alu instid0(SALU_CYCLE_1) | instskip(SKIP_1) | instid1(SALU_CYCLE_1)
	s_cmp_lg_u32 ttmp9, s46
	s_cselect_b32 s46, -1, 0
	s_and_b32 vcc_lo, exec_lo, s46
	s_wait_alu 0xfffe
	s_cbranch_vccz .LBB104_24
; %bb.19:                               ;   in Loop: Header=BB104_4 Depth=1
	v_mov_b32_e32 v12, 0
	v_mov_b32_e32 v13, 0
	s_and_saveexec_b32 s47, s2
	s_cbranch_execz .LBB104_23
; %bb.20:                               ;   in Loop: Header=BB104_4 Depth=1
	v_add_co_u32 v12, vcc_lo, s36, v4
	s_wait_alu 0xfffd
	v_add_co_ci_u32_e64 v13, null, s37, v5, vcc_lo
	s_mov_b32 s48, exec_lo
	global_load_b64 v[14:15], v[12:13], off
	v_mov_b32_e32 v12, 0
	v_mov_b32_e32 v13, 0
	s_wait_loadcnt 0x0
	ds_store_b64 v20, v[14:15]
	v_cmpx_neq_f64_e32 0, v[10:11]
	s_cbranch_execz .LBB104_22
; %bb.21:                               ;   in Loop: Header=BB104_4 Depth=1
	v_add_co_u32 v12, vcc_lo, s0, v2
	s_wait_alu 0xfffd
	v_add_co_ci_u32_e64 v13, null, s1, v3, vcc_lo
	global_load_b64 v[12:13], v[12:13], off
	s_wait_loadcnt 0x0
	v_mul_f64_e32 v[12:13], v[10:11], v[12:13]
.LBB104_22:                             ;   in Loop: Header=BB104_4 Depth=1
	s_wait_alu 0xfffe
	s_or_b32 exec_lo, exec_lo, s48
.LBB104_23:                             ;   in Loop: Header=BB104_4 Depth=1
	s_delay_alu instid0(SALU_CYCLE_1)
	s_or_b32 exec_lo, exec_lo, s47
	s_mov_b32 s47, 0
.LBB104_24:                             ;   in Loop: Header=BB104_4 Depth=1
	s_delay_alu instid0(SALU_CYCLE_1)
	s_and_not1_b32 vcc_lo, exec_lo, s47
	s_wait_alu 0xfffe
	s_cbranch_vccnz .LBB104_34
; %bb.25:                               ;   in Loop: Header=BB104_4 Depth=1
	v_mov_b32_e32 v12, 0
	v_mov_b32_e32 v13, 0
	s_and_saveexec_b32 s47, s2
	s_cbranch_execz .LBB104_33
; %bb.26:                               ;   in Loop: Header=BB104_4 Depth=1
	s_and_saveexec_b32 s48, s3
	s_wait_alu 0xfffe
	s_xor_b32 s48, exec_lo, s48
; %bb.27:                               ;   in Loop: Header=BB104_4 Depth=1
	v_mov_b32_e32 v7, v6
	ds_store_b64 v20, v[6:7]
; %bb.28:                               ;   in Loop: Header=BB104_4 Depth=1
	s_wait_alu 0xfffe
	s_or_saveexec_b32 s48, s48
	v_mov_b32_e32 v12, 0
	v_mov_b32_e32 v13, 0
	s_wait_alu 0xfffe
	s_xor_b32 exec_lo, exec_lo, s48
	s_cbranch_execz .LBB104_32
; %bb.29:                               ;   in Loop: Header=BB104_4 Depth=1
	v_add_co_u32 v12, vcc_lo, s36, v4
	s_wait_alu 0xfffd
	v_add_co_ci_u32_e64 v13, null, s37, v5, vcc_lo
	s_mov_b32 s36, exec_lo
	global_load_b64 v[14:15], v[12:13], off
	v_mov_b32_e32 v12, 0
	v_mov_b32_e32 v13, 0
	s_wait_loadcnt 0x0
	ds_store_b64 v20, v[14:15]
	v_cmpx_neq_f64_e32 0, v[10:11]
	s_cbranch_execz .LBB104_31
; %bb.30:                               ;   in Loop: Header=BB104_4 Depth=1
	v_add_co_u32 v12, vcc_lo, s0, v2
	s_wait_alu 0xfffd
	v_add_co_ci_u32_e64 v13, null, s1, v3, vcc_lo
	global_load_b64 v[12:13], v[12:13], off
	s_wait_loadcnt 0x0
	v_mul_f64_e32 v[12:13], v[10:11], v[12:13]
.LBB104_31:                             ;   in Loop: Header=BB104_4 Depth=1
	s_wait_alu 0xfffe
	s_or_b32 exec_lo, exec_lo, s36
.LBB104_32:                             ;   in Loop: Header=BB104_4 Depth=1
	s_delay_alu instid0(SALU_CYCLE_1)
	s_or_b32 exec_lo, exec_lo, s48
.LBB104_33:                             ;   in Loop: Header=BB104_4 Depth=1
	s_delay_alu instid0(SALU_CYCLE_1)
	s_or_b32 exec_lo, exec_lo, s47
.LBB104_34:                             ;   in Loop: Header=BB104_4 Depth=1
	s_mul_u64 s[36:37], s[22:23], s[12:13]
	s_wait_alu 0xfffe
	s_lshl_b64 s[36:37], s[36:37], 3
	s_wait_alu 0xfffe
	v_add_co_u32 v14, vcc_lo, v18, s36
	s_wait_alu 0xfffd
	v_add_co_ci_u32_e64 v15, null, s37, v19, vcc_lo
	s_and_not1_b32 vcc_lo, exec_lo, s46
	s_mov_b32 s36, -1
	s_wait_alu 0xfffe
	s_cbranch_vccnz .LBB104_36
; %bb.35:                               ;   in Loop: Header=BB104_4 Depth=1
	v_add_co_u32 v16, vcc_lo, v14, s24
	s_wait_alu 0xfffd
	v_add_co_ci_u32_e64 v17, null, s25, v15, vcc_lo
	s_mov_b32 s36, 0
	v_add_co_u32 v33, vcc_lo, v16, s24
	s_wait_alu 0xfffd
	v_add_co_ci_u32_e64 v34, null, s25, v17, vcc_lo
	s_delay_alu instid0(VALU_DEP_2) | instskip(SKIP_1) | instid1(VALU_DEP_2)
	v_add_co_u32 v35, vcc_lo, v33, s24
	s_wait_alu 0xfffd
	v_add_co_ci_u32_e64 v36, null, s25, v34, vcc_lo
	s_delay_alu instid0(VALU_DEP_2) | instskip(SKIP_1) | instid1(VALU_DEP_2)
	;; [unrolled: 4-line block ×5, first 2 shown]
	v_add_co_u32 v43, vcc_lo, v41, s24
	s_wait_alu 0xfffd
	v_add_co_ci_u32_e64 v44, null, s25, v42, vcc_lo
	s_clause 0x5
	global_load_b64 v[45:46], v[14:15], off
	global_load_b64 v[16:17], v[16:17], off
	;; [unrolled: 1-line block ×8, first 2 shown]
	s_wait_loadcnt 0x6
	ds_store_2addr_stride64_b64 v21, v[45:46], v[16:17] offset1:2
	s_wait_loadcnt 0x4
	ds_store_2addr_stride64_b64 v21, v[33:34], v[35:36] offset0:4 offset1:6
	s_wait_loadcnt 0x2
	ds_store_2addr_stride64_b64 v21, v[37:38], v[39:40] offset0:8 offset1:10
	;; [unrolled: 2-line block ×3, first 2 shown]
.LBB104_36:                             ;   in Loop: Header=BB104_4 Depth=1
	s_wait_alu 0xfffe
	s_and_not1_b32 vcc_lo, exec_lo, s36
	s_wait_alu 0xfffe
	s_cbranch_vccnz .LBB104_44
; %bb.37:                               ;   in Loop: Header=BB104_4 Depth=1
	s_mov_b32 s36, s13
	s_mov_b32 s37, s13
	s_wait_alu 0xfffe
	v_dual_mov_b32 v16, s36 :: v_dual_mov_b32 v17, s37
	ds_store_2addr_stride64_b64 v21, v[16:17], v[16:17] offset1:2
	ds_store_2addr_stride64_b64 v21, v[16:17], v[16:17] offset0:4 offset1:6
	ds_store_2addr_stride64_b64 v21, v[16:17], v[16:17] offset0:8 offset1:10
	;; [unrolled: 1-line block ×3, first 2 shown]
	s_and_saveexec_b32 s36, s33
	s_cbranch_execz .LBB104_43
; %bb.38:                               ;   in Loop: Header=BB104_4 Depth=1
	s_and_not1_b32 vcc_lo, exec_lo, s45
	s_mov_b32 s37, 0
	s_wait_alu 0xfffe
	s_cbranch_vccnz .LBB104_41
; %bb.39:                               ;   in Loop: Header=BB104_4 Depth=1
	v_mad_co_u64_u32 v[16:17], null, s34, s12, v[0:1]
	s_mov_b32 s47, s44
	v_mov_b32_e32 v7, v17
	s_delay_alu instid0(VALU_DEP_1) | instskip(SKIP_1) | instid1(VALU_DEP_2)
	v_mad_co_u64_u32 v[33:34], null, s35, s12, v[7:8]
	v_mov_b32_e32 v7, v21
	v_mov_b32_e32 v17, v33
.LBB104_40:                             ;   Parent Loop BB104_4 Depth=1
                                        ; =>  This Inner Loop Header: Depth=2
	global_load_b64 v[33:34], v[16:17], off
	v_add_co_u32 v16, vcc_lo, v16, s24
	s_wait_alu 0xfffd
	v_add_co_ci_u32_e64 v17, null, s25, v17, vcc_lo
	s_add_co_i32 s47, s47, -1
	s_mov_b32 s37, s44
	s_cmp_lg_u32 s47, 0
	s_wait_loadcnt 0x0
	ds_store_b64 v7, v[33:34]
	v_add_nc_u32_e32 v7, 0x400, v7
	s_cbranch_scc1 .LBB104_40
.LBB104_41:                             ;   in Loop: Header=BB104_4 Depth=1
	s_and_b32 exec_lo, exec_lo, s4
	s_cbranch_execz .LBB104_43
; %bb.42:                               ;   in Loop: Header=BB104_4 Depth=1
	s_wait_alu 0xfffe
	s_lshl_b32 s48, s37, 2
	s_mov_b32 s49, s13
	v_lshl_add_u32 v7, s37, 10, v21
	s_wait_alu 0xfffe
	s_mul_u64 s[48:49], s[20:21], s[48:49]
	s_wait_alu 0xfffe
	s_lshl_b64 s[48:49], s[48:49], 3
	s_wait_alu 0xfffe
	v_add_co_u32 v14, vcc_lo, v14, s48
	s_wait_alu 0xfffd
	v_add_co_ci_u32_e64 v15, null, s49, v15, vcc_lo
	global_load_b64 v[14:15], v[14:15], off
	s_wait_loadcnt 0x0
	ds_store_b64 v7, v[14:15]
.LBB104_43:                             ;   in Loop: Header=BB104_4 Depth=1
	s_wait_alu 0xfffe
	s_or_b32 exec_lo, exec_lo, s36
.LBB104_44:                             ;   in Loop: Header=BB104_4 Depth=1
	s_wait_storecnt_dscnt 0x0
	s_barrier_signal -1
	s_barrier_wait -1
	global_inv scope:SCOPE_SE
	s_and_saveexec_b32 s36, s41
	s_cbranch_execnz .LBB104_62
; %bb.45:                               ;   in Loop: Header=BB104_4 Depth=1
	s_wait_alu 0xfffe
	s_or_b32 exec_lo, exec_lo, s36
	s_and_saveexec_b32 s36, s5
	s_cbranch_execnz .LBB104_63
.LBB104_46:                             ;   in Loop: Header=BB104_4 Depth=1
	s_wait_alu 0xfffe
	s_or_b32 exec_lo, exec_lo, s36
	s_and_saveexec_b32 s36, s6
	s_cbranch_execnz .LBB104_64
.LBB104_47:                             ;   in Loop: Header=BB104_4 Depth=1
	s_wait_alu 0xfffe
	s_or_b32 exec_lo, exec_lo, s36
	s_and_saveexec_b32 s36, s7
	s_cbranch_execnz .LBB104_65
.LBB104_48:                             ;   in Loop: Header=BB104_4 Depth=1
	s_wait_alu 0xfffe
	s_or_b32 exec_lo, exec_lo, s36
	s_and_saveexec_b32 s36, s8
	s_cbranch_execnz .LBB104_66
.LBB104_49:                             ;   in Loop: Header=BB104_4 Depth=1
	s_wait_alu 0xfffe
	s_or_b32 exec_lo, exec_lo, s36
	s_and_saveexec_b32 s36, s9
	s_cbranch_execnz .LBB104_67
.LBB104_50:                             ;   in Loop: Header=BB104_4 Depth=1
	s_wait_alu 0xfffe
	s_or_b32 exec_lo, exec_lo, s36
	s_and_saveexec_b32 s36, s10
	s_cbranch_execnz .LBB104_68
.LBB104_51:                             ;   in Loop: Header=BB104_4 Depth=1
	s_wait_alu 0xfffe
	s_or_b32 exec_lo, exec_lo, s36
	s_and_saveexec_b32 s36, s11
	s_cbranch_execz .LBB104_53
.LBB104_52:                             ;   in Loop: Header=BB104_4 Depth=1
	ds_load_b64 v[14:15], v22 offset:224
	s_wait_dscnt 0x0
	ds_store_b64 v29, v[14:15]
.LBB104_53:                             ;   in Loop: Header=BB104_4 Depth=1
	s_wait_alu 0xfffe
	s_or_b32 exec_lo, exec_lo, s36
	s_wait_loadcnt_dscnt 0x0
	s_barrier_signal -1
	s_barrier_wait -1
	global_inv scope:SCOPE_SE
	ds_load_2addr_b64 v[14:17], v23 offset1:4
	ds_load_b64 v[33:34], v21
	ds_load_b64 v[35:36], v26
	;; [unrolled: 1-line block ×4, first 2 shown]
	s_wait_dscnt 0x3
	v_fma_f64 v[14:15], v[33:34], v[14:15], 0
	s_wait_dscnt 0x2
	s_delay_alu instid0(VALU_DEP_1) | instskip(SKIP_3) | instid1(VALU_DEP_1)
	v_fma_f64 v[33:34], v[35:36], v[16:17], v[14:15]
	ds_load_2addr_b64 v[14:17], v23 offset0:8 offset1:12
	s_wait_dscnt 0x0
	v_fma_f64 v[14:15], v[37:38], v[14:15], v[33:34]
	v_fma_f64 v[33:34], v[39:40], v[16:17], v[14:15]
	ds_load_2addr_b64 v[14:17], v23 offset0:16 offset1:20
	ds_load_b64 v[35:36], v30
	ds_load_b64 v[37:38], v31
	;; [unrolled: 1-line block ×4, first 2 shown]
	s_wait_dscnt 0x3
	v_fma_f64 v[14:15], v[35:36], v[14:15], v[33:34]
	s_wait_dscnt 0x2
	s_delay_alu instid0(VALU_DEP_1) | instskip(SKIP_3) | instid1(VALU_DEP_1)
	v_fma_f64 v[33:34], v[37:38], v[16:17], v[14:15]
	ds_load_2addr_b64 v[14:17], v23 offset0:24 offset1:28
	s_wait_dscnt 0x0
	v_fma_f64 v[14:15], v[39:40], v[14:15], v[33:34]
	v_fma_f64 v[14:15], v[41:42], v[16:17], v[14:15]
	ds_store_b64 v24, v[14:15]
	s_wait_loadcnt_dscnt 0x0
	s_barrier_signal -1
	s_barrier_wait -1
	global_inv scope:SCOPE_SE
	s_and_saveexec_b32 s36, s2
	s_cbranch_execz .LBB104_2
; %bb.54:                               ;   in Loop: Header=BB104_4 Depth=1
	ds_load_2addr_b64 v[14:17], v25 offset1:32
	v_cmp_neq_f64_e32 vcc_lo, 0, v[10:11]
	s_mov_b32 s37, -1
	s_wait_dscnt 0x0
	v_add_f64_e32 v[14:15], 0, v[14:15]
	s_delay_alu instid0(VALU_DEP_1) | instskip(SKIP_3) | instid1(VALU_DEP_1)
	v_add_f64_e32 v[33:34], v[14:15], v[16:17]
	ds_load_2addr_b64 v[14:17], v25 offset0:64 offset1:96
	s_wait_dscnt 0x0
	v_add_f64_e32 v[14:15], v[33:34], v[14:15]
	v_add_f64_e32 v[14:15], v[14:15], v[16:17]
	s_delay_alu instid0(VALU_DEP_1) | instskip(SKIP_2) | instid1(VALU_DEP_1)
	v_mul_f64_e32 v[16:17], v[8:9], v[14:15]
	v_fma_f64 v[7:8], v[8:9], v[14:15], v[12:13]
	s_wait_alu 0xfffd
	v_dual_cndmask_b32 v8, v17, v8 :: v_dual_cndmask_b32 v7, v16, v7
	s_and_b32 vcc_lo, exec_lo, s46
	s_wait_alu 0xfffe
	s_cbranch_vccz .LBB104_56
; %bb.55:                               ;   in Loop: Header=BB104_4 Depth=1
	v_add_co_u32 v9, vcc_lo, s0, v2
	s_wait_alu 0xfffd
	v_add_co_ci_u32_e64 v10, null, s1, v3, vcc_lo
	s_mov_b32 s37, 0
	global_store_b64 v[9:10], v[7:8], off
.LBB104_56:                             ;   in Loop: Header=BB104_4 Depth=1
	s_wait_alu 0xfffe
	s_and_not1_b32 vcc_lo, exec_lo, s37
	s_wait_alu 0xfffe
	s_cbranch_vccnz .LBB104_2
; %bb.57:                               ;   in Loop: Header=BB104_4 Depth=1
	s_and_b32 exec_lo, exec_lo, s33
	s_cbranch_execz .LBB104_2
; %bb.58:                               ;   in Loop: Header=BB104_4 Depth=1
	v_add_co_u32 v9, vcc_lo, s0, v2
	s_wait_alu 0xfffd
	v_add_co_ci_u32_e64 v10, null, s1, v3, vcc_lo
	global_store_b64 v[9:10], v[7:8], off
	s_branch .LBB104_2
.LBB104_59:                             ;   in Loop: Header=BB104_4 Depth=1
	scratch_load_b64 v[7:8], off, off
	s_mul_u64 s[0:1], s[14:15], s[12:13]
	s_wait_alu 0xfffe
	s_lshl_b64 s[0:1], s[0:1], 3
	s_wait_loadcnt 0x0
	s_wait_alu 0xfffe
	v_add_co_u32 v7, vcc_lo, v7, s0
	s_wait_alu 0xfffd
	v_add_co_ci_u32_e64 v8, null, s1, v8, vcc_lo
	flat_load_b64 v[8:9], v[7:8]
	s_cbranch_execnz .LBB104_6
.LBB104_60:                             ;   in Loop: Header=BB104_4 Depth=1
	s_wait_loadcnt_dscnt 0x0
	scratch_load_b64 v[8:9], off, off
	s_and_b32 vcc_lo, exec_lo, s40
	s_mov_b32 s0, -1
                                        ; implicit-def: $vgpr10_vgpr11
	s_wait_alu 0xfffe
	s_cbranch_vccz .LBB104_7
.LBB104_61:                             ;   in Loop: Header=BB104_4 Depth=1
	scratch_load_b64 v[10:11], off, off offset:8
	s_mul_u64 s[0:1], s[42:43], s[12:13]
	s_wait_alu 0xfffe
	s_lshl_b64 s[0:1], s[0:1], 3
	s_wait_loadcnt 0x0
	s_wait_alu 0xfffe
	v_add_co_u32 v10, vcc_lo, v10, s0
	s_wait_alu 0xfffd
	v_add_co_ci_u32_e64 v11, null, s1, v11, vcc_lo
	flat_load_b64 v[10:11], v[10:11]
	s_cbranch_execz .LBB104_8
	s_branch .LBB104_9
.LBB104_62:                             ;   in Loop: Header=BB104_4 Depth=1
	ds_load_b64 v[14:15], v22
	s_wait_dscnt 0x0
	ds_store_b64 v21, v[14:15]
	s_wait_alu 0xfffe
	s_or_b32 exec_lo, exec_lo, s36
	s_and_saveexec_b32 s36, s5
	s_cbranch_execz .LBB104_46
.LBB104_63:                             ;   in Loop: Header=BB104_4 Depth=1
	ds_load_b64 v[14:15], v22 offset:32
	s_wait_dscnt 0x0
	ds_store_b64 v26, v[14:15]
	s_wait_alu 0xfffe
	s_or_b32 exec_lo, exec_lo, s36
	s_and_saveexec_b32 s36, s6
	s_cbranch_execz .LBB104_47
.LBB104_64:                             ;   in Loop: Header=BB104_4 Depth=1
	ds_load_b64 v[14:15], v22 offset:64
	s_wait_dscnt 0x0
	ds_store_b64 v27, v[14:15]
	s_wait_alu 0xfffe
	s_or_b32 exec_lo, exec_lo, s36
	s_and_saveexec_b32 s36, s7
	s_cbranch_execz .LBB104_48
.LBB104_65:                             ;   in Loop: Header=BB104_4 Depth=1
	ds_load_b64 v[14:15], v22 offset:96
	s_wait_dscnt 0x0
	ds_store_b64 v28, v[14:15]
	s_wait_alu 0xfffe
	s_or_b32 exec_lo, exec_lo, s36
	s_and_saveexec_b32 s36, s8
	s_cbranch_execz .LBB104_49
.LBB104_66:                             ;   in Loop: Header=BB104_4 Depth=1
	ds_load_b64 v[14:15], v22 offset:128
	s_wait_dscnt 0x0
	ds_store_b64 v21, v[14:15] offset:4096
	s_wait_alu 0xfffe
	s_or_b32 exec_lo, exec_lo, s36
	s_and_saveexec_b32 s36, s9
	s_cbranch_execz .LBB104_50
.LBB104_67:                             ;   in Loop: Header=BB104_4 Depth=1
	ds_load_b64 v[14:15], v22 offset:160
	s_wait_dscnt 0x0
	ds_store_b64 v21, v[14:15] offset:5120
	s_wait_alu 0xfffe
	s_or_b32 exec_lo, exec_lo, s36
	s_and_saveexec_b32 s36, s10
	s_cbranch_execz .LBB104_51
.LBB104_68:                             ;   in Loop: Header=BB104_4 Depth=1
	ds_load_b64 v[14:15], v22 offset:192
	s_wait_dscnt 0x0
	ds_store_b64 v21, v[14:15] offset:6144
	s_wait_alu 0xfffe
	s_or_b32 exec_lo, exec_lo, s36
	s_and_saveexec_b32 s36, s11
	s_cbranch_execnz .LBB104_52
	s_branch .LBB104_53
.LBB104_69:
	s_endpgm
	.section	.rodata,"a",@progbits
	.p2align	6, 0x0
	.amdhsa_kernel _ZL58rocblas_symv_kernel_lower_double_buffered_diagonal_genericILi32ELi4E24rocblas_internal_val_ptrIdEPKdPdEvbiT1_lT2_lllS6_lllS5_lT3_lllii
		.amdhsa_group_segment_fixed_size 10496
		.amdhsa_private_segment_fixed_size 24
		.amdhsa_kernarg_size 400
		.amdhsa_user_sgpr_count 2
		.amdhsa_user_sgpr_dispatch_ptr 0
		.amdhsa_user_sgpr_queue_ptr 0
		.amdhsa_user_sgpr_kernarg_segment_ptr 1
		.amdhsa_user_sgpr_dispatch_id 0
		.amdhsa_user_sgpr_private_segment_size 0
		.amdhsa_wavefront_size32 1
		.amdhsa_uses_dynamic_stack 0
		.amdhsa_enable_private_segment 1
		.amdhsa_system_sgpr_workgroup_id_x 1
		.amdhsa_system_sgpr_workgroup_id_y 0
		.amdhsa_system_sgpr_workgroup_id_z 1
		.amdhsa_system_sgpr_workgroup_info 0
		.amdhsa_system_vgpr_workitem_id 1
		.amdhsa_next_free_vgpr 97
		.amdhsa_next_free_sgpr 50
		.amdhsa_reserve_vcc 1
		.amdhsa_float_round_mode_32 0
		.amdhsa_float_round_mode_16_64 0
		.amdhsa_float_denorm_mode_32 3
		.amdhsa_float_denorm_mode_16_64 3
		.amdhsa_fp16_overflow 0
		.amdhsa_workgroup_processor_mode 1
		.amdhsa_memory_ordered 1
		.amdhsa_forward_progress 1
		.amdhsa_inst_pref_size 25
		.amdhsa_round_robin_scheduling 0
		.amdhsa_exception_fp_ieee_invalid_op 0
		.amdhsa_exception_fp_denorm_src 0
		.amdhsa_exception_fp_ieee_div_zero 0
		.amdhsa_exception_fp_ieee_overflow 0
		.amdhsa_exception_fp_ieee_underflow 0
		.amdhsa_exception_fp_ieee_inexact 0
		.amdhsa_exception_int_div_zero 0
	.end_amdhsa_kernel
	.section	.text._ZL58rocblas_symv_kernel_lower_double_buffered_diagonal_genericILi32ELi4E24rocblas_internal_val_ptrIdEPKdPdEvbiT1_lT2_lllS6_lllS5_lT3_lllii,"axG",@progbits,_ZL58rocblas_symv_kernel_lower_double_buffered_diagonal_genericILi32ELi4E24rocblas_internal_val_ptrIdEPKdPdEvbiT1_lT2_lllS6_lllS5_lT3_lllii,comdat
.Lfunc_end104:
	.size	_ZL58rocblas_symv_kernel_lower_double_buffered_diagonal_genericILi32ELi4E24rocblas_internal_val_ptrIdEPKdPdEvbiT1_lT2_lllS6_lllS5_lT3_lllii, .Lfunc_end104-_ZL58rocblas_symv_kernel_lower_double_buffered_diagonal_genericILi32ELi4E24rocblas_internal_val_ptrIdEPKdPdEvbiT1_lT2_lllS6_lllS5_lT3_lllii
                                        ; -- End function
	.set _ZL58rocblas_symv_kernel_lower_double_buffered_diagonal_genericILi32ELi4E24rocblas_internal_val_ptrIdEPKdPdEvbiT1_lT2_lllS6_lllS5_lT3_lllii.num_vgpr, 47
	.set _ZL58rocblas_symv_kernel_lower_double_buffered_diagonal_genericILi32ELi4E24rocblas_internal_val_ptrIdEPKdPdEvbiT1_lT2_lllS6_lllS5_lT3_lllii.num_agpr, 0
	.set _ZL58rocblas_symv_kernel_lower_double_buffered_diagonal_genericILi32ELi4E24rocblas_internal_val_ptrIdEPKdPdEvbiT1_lT2_lllS6_lllS5_lT3_lllii.numbered_sgpr, 50
	.set _ZL58rocblas_symv_kernel_lower_double_buffered_diagonal_genericILi32ELi4E24rocblas_internal_val_ptrIdEPKdPdEvbiT1_lT2_lllS6_lllS5_lT3_lllii.num_named_barrier, 0
	.set _ZL58rocblas_symv_kernel_lower_double_buffered_diagonal_genericILi32ELi4E24rocblas_internal_val_ptrIdEPKdPdEvbiT1_lT2_lllS6_lllS5_lT3_lllii.private_seg_size, 24
	.set _ZL58rocblas_symv_kernel_lower_double_buffered_diagonal_genericILi32ELi4E24rocblas_internal_val_ptrIdEPKdPdEvbiT1_lT2_lllS6_lllS5_lT3_lllii.uses_vcc, 1
	.set _ZL58rocblas_symv_kernel_lower_double_buffered_diagonal_genericILi32ELi4E24rocblas_internal_val_ptrIdEPKdPdEvbiT1_lT2_lllS6_lllS5_lT3_lllii.uses_flat_scratch, 1
	.set _ZL58rocblas_symv_kernel_lower_double_buffered_diagonal_genericILi32ELi4E24rocblas_internal_val_ptrIdEPKdPdEvbiT1_lT2_lllS6_lllS5_lT3_lllii.has_dyn_sized_stack, 0
	.set _ZL58rocblas_symv_kernel_lower_double_buffered_diagonal_genericILi32ELi4E24rocblas_internal_val_ptrIdEPKdPdEvbiT1_lT2_lllS6_lllS5_lT3_lllii.has_recursion, 0
	.set _ZL58rocblas_symv_kernel_lower_double_buffered_diagonal_genericILi32ELi4E24rocblas_internal_val_ptrIdEPKdPdEvbiT1_lT2_lllS6_lllS5_lT3_lllii.has_indirect_call, 0
	.section	.AMDGPU.csdata,"",@progbits
; Kernel info:
; codeLenInByte = 3196
; TotalNumSgprs: 52
; NumVgprs: 47
; ScratchSize: 24
; MemoryBound: 0
; FloatMode: 240
; IeeeMode: 1
; LDSByteSize: 10496 bytes/workgroup (compile time only)
; SGPRBlocks: 0
; VGPRBlocks: 12
; NumSGPRsForWavesPerEU: 52
; NumVGPRsForWavesPerEU: 97
; Occupancy: 12
; WaveLimiterHint : 1
; COMPUTE_PGM_RSRC2:SCRATCH_EN: 1
; COMPUTE_PGM_RSRC2:USER_SGPR: 2
; COMPUTE_PGM_RSRC2:TRAP_HANDLER: 0
; COMPUTE_PGM_RSRC2:TGID_X_EN: 1
; COMPUTE_PGM_RSRC2:TGID_Y_EN: 0
; COMPUTE_PGM_RSRC2:TGID_Z_EN: 1
; COMPUTE_PGM_RSRC2:TIDIG_COMP_CNT: 1
	.section	.text._ZL62rocblas_symv_kernel_lower_double_buffered_non_diagonal_genericILi32ELi4ELi4E24rocblas_internal_val_ptrIdEPKdPdEvbiT2_lT3_lllS6_lllT4_lllii,"axG",@progbits,_ZL62rocblas_symv_kernel_lower_double_buffered_non_diagonal_genericILi32ELi4ELi4E24rocblas_internal_val_ptrIdEPKdPdEvbiT2_lT3_lllS6_lllT4_lllii,comdat
	.globl	_ZL62rocblas_symv_kernel_lower_double_buffered_non_diagonal_genericILi32ELi4ELi4E24rocblas_internal_val_ptrIdEPKdPdEvbiT2_lT3_lllS6_lllT4_lllii ; -- Begin function _ZL62rocblas_symv_kernel_lower_double_buffered_non_diagonal_genericILi32ELi4ELi4E24rocblas_internal_val_ptrIdEPKdPdEvbiT2_lT3_lllS6_lllT4_lllii
	.p2align	8
	.type	_ZL62rocblas_symv_kernel_lower_double_buffered_non_diagonal_genericILi32ELi4ELi4E24rocblas_internal_val_ptrIdEPKdPdEvbiT2_lT3_lllS6_lllT4_lllii,@function
_ZL62rocblas_symv_kernel_lower_double_buffered_non_diagonal_genericILi32ELi4ELi4E24rocblas_internal_val_ptrIdEPKdPdEvbiT2_lT3_lllS6_lllT4_lllii: ; @_ZL62rocblas_symv_kernel_lower_double_buffered_non_diagonal_genericILi32ELi4ELi4E24rocblas_internal_val_ptrIdEPKdPdEvbiT2_lT3_lllS6_lllT4_lllii
; %bb.0:
	s_load_b64 s[0:1], s[0:1], 0x4
	s_clause 0x1
	s_load_b512 s[4:19], s[2:3], 0x8
	s_load_b64 s[28:29], s[2:3], 0x78
	v_bfe_u32 v2, v0, 10, 10
	v_and_b32_e32 v1, 0x3ff, v0
	v_bfe_u32 v0, v0, 20, 10
	s_wait_kmcnt 0x0
	s_delay_alu instid0(VALU_DEP_3)
	v_mul_u32_u24_e32 v3, s1, v2
	s_lshr_b32 s0, s0, 16
	v_mov_b32_e32 v4, s5
	s_wait_alu 0xfffe
	s_mul_i32 s0, s0, s1
	s_wait_alu 0xfffe
	v_mad_u32_u24 v5, s0, v1, v3
	v_mov_b32_e32 v3, s4
	s_lshr_b32 s4, ttmp7, 16
	s_wait_alu 0xfffe
	s_cmp_ge_u32 s4, s29
	v_add_lshl_u32 v0, v5, v0, 3
	ds_store_b64 v0, v[3:4] offset:6400
	s_cbranch_scc1 .LBB105_43
; %bb.1:
	s_clause 0x3
	s_load_b32 s5, s[2:3], 0x0
	s_load_b128 s[20:23], s[2:3], 0x48
	s_load_b128 s[24:27], s[2:3], 0x60
	s_load_b64 s[0:1], s[2:3], 0x58
	v_add_nc_u32_e32 v60, 0x1900, v0
	v_lshl_add_u32 v0, v2, 5, v1
	s_load_b64 s[30:31], s[2:3], 0x70
	s_add_nc_u64 s[34:35], s[2:3], 0x80
	s_add_nc_u64 s[36:37], s[12:13], 1
	v_cmp_gt_i32_e32 vcc_lo, s28, v1
	v_lshrrev_b32_e32 v19, 4, v0
	s_mul_u64 s[42:43], s[12:13], 3
	s_delay_alu instid0(VALU_DEP_1)
	v_dual_mov_b32 v4, 0 :: v_dual_lshlrev_b32 v11, 2, v19
	v_lshl_add_u32 v62, v19, 5, 0x1800
	s_wait_kmcnt 0x0
	s_bitcmp1_b32 s5, 0
	v_mad_co_u64_u32 v[5:6], null, s20, v1, 0
	v_and_b32_e32 v3, 15, v1
	s_cselect_b32 s2, -1, 0
	s_lshl_b32 s38, ttmp9, 5
	s_lshl_b64 s[10:11], s[10:11], 3
	s_lshl_b64 s[18:19], s[18:19], 3
	;; [unrolled: 1-line block ×3, first 2 shown]
	s_delay_alu instid0(VALU_DEP_2)
	v_mov_b32_e32 v0, v6
	v_or_b32_e32 v20, 16, v3
	v_mad_co_u64_u32 v[9:10], null, s20, v3, 0
	s_ashr_i32 s39, s38, 31
	v_mad_co_u64_u32 v[6:7], null, s21, v1, v[0:1]
	v_mad_co_u64_u32 v[7:8], null, s12, v11, v[3:4]
	;; [unrolled: 1-line block ×3, first 2 shown]
	s_add_nc_u64 s[8:9], s[8:9], s[10:11]
	s_add_nc_u64 s[10:11], s[16:17], s[18:19]
	s_add_nc_u64 s[16:17], s[0:1], s[24:25]
	s_mul_u64 s[0:1], s[36:37], s[38:39]
	v_mov_b32_e32 v0, v8
	s_mul_u64 s[18:19], s[20:21], s[38:39]
	s_wait_alu 0xfffe
	s_lshl_b64 s[0:1], s[0:1], 3
	s_xor_b32 s52, s2, -1
	s_wait_alu 0xfffe
	s_add_nc_u64 s[8:9], s[8:9], s[0:1]
	v_mad_co_u64_u32 v[11:12], null, s13, v11, v[0:1]
	v_mad_co_u64_u32 v[12:13], null, s20, v20, 0
	v_mov_b32_e32 v0, v10
	s_lshl_b64 s[0:1], s[18:19], 3
	s_mul_u64 s[18:19], s[26:27], s[38:39]
	s_wait_alu 0xfffe
	s_add_nc_u64 s[10:11], s[10:11], s[0:1]
	v_cmp_eq_u32_e64 s0, 0, v2
	v_mov_b32_e32 v8, v11
	v_mov_b32_e32 v2, v13
	v_mad_co_u64_u32 v[10:11], null, s21, v3, v[0:1]
	v_dual_mov_b32 v0, v15 :: v_dual_lshlrev_b32 v11, 8, v19
	s_delay_alu instid0(VALU_DEP_3) | instskip(SKIP_1) | instid1(VALU_DEP_3)
	v_mad_co_u64_u32 v[16:17], null, s21, v20, v[2:3]
	v_lshlrev_b32_e32 v2, 3, v3
	v_mad_co_u64_u32 v[17:18], null, s27, v1, v[0:1]
	v_lshlrev_b32_e32 v4, 3, v1
	v_add_nc_u32_e32 v18, 4, v1
	s_delay_alu instid0(VALU_DEP_4)
	v_or_b32_e32 v0, 0x1000, v2
	v_dual_mov_b32 v13, v16 :: v_dual_lshlrev_b32 v16, 9, v19
	v_add_nc_u32_e32 v19, 5, v1
	v_mov_b32_e32 v15, v17
	v_add_nc_u32_e32 v61, 0x1800, v4
	v_add_nc_u32_e32 v63, 0x1000, v4
	;; [unrolled: 1-line block ×4, first 2 shown]
	v_lshlrev_b32_e32 v0, 7, v1
	v_add_nc_u32_e32 v11, 2, v1
	v_add_nc_u32_e32 v17, 3, v1
	v_and_b32_e32 v4, 15, v4
	v_cmp_gt_i32_e64 s1, s28, v3
	v_and_b32_e32 v18, 15, v18
	v_and_b32_e32 v11, 15, v11
	v_and_b32_e32 v17, 15, v17
	v_lshl_or_b32 v66, v4, 3, v0
	v_and_b32_e32 v4, 15, v19
	v_xor_b32_e32 v3, 8, v3
	v_lshl_or_b32 v67, v11, 3, v0
	v_add_nc_u32_e32 v11, 6, v1
	v_lshl_or_b32 v68, v17, 3, v0
	v_lshl_or_b32 v70, v4, 3, v0
	v_add_nc_u32_e32 v4, 9, v1
	v_add_nc_u32_e32 v17, 7, v1
	v_and_b32_e32 v11, 15, v11
	v_lshl_or_b32 v69, v18, 3, v0
	v_add_nc_u32_e32 v18, 10, v1
	v_and_b32_e32 v4, 15, v4
	v_and_b32_e32 v17, 15, v17
	v_lshl_or_b32 v71, v11, 3, v0
	v_add_nc_u32_e32 v11, 13, v1
	v_lshl_or_b32 v73, v3, 3, v0
	v_lshl_or_b32 v74, v4, 3, v0
	v_add_nc_u32_e32 v4, 12, v1
	v_lshl_or_b32 v72, v17, 3, v0
	v_add_nc_u32_e32 v3, 11, v1
	v_add_nc_u32_e32 v17, 14, v1
	v_add_nc_u32_e32 v1, -1, v1
	v_and_b32_e32 v4, 15, v4
	v_and_b32_e32 v11, 15, v11
	;; [unrolled: 1-line block ×6, first 2 shown]
	v_lshl_or_b32 v77, v4, 3, v0
	v_lshl_or_b32 v78, v11, 3, v0
	v_lshlrev_b64_e32 v[4:5], 3, v[5:6]
	v_lshlrev_b64_e32 v[6:7], 3, v[7:8]
	;; [unrolled: 1-line block ×5, first 2 shown]
	v_cmp_gt_i32_e64 s2, s28, v20
	v_or_b32_e32 v65, v0, v2
	v_lshl_or_b32 v75, v18, 3, v0
	v_lshl_or_b32 v76, v3, 3, v0
	;; [unrolled: 1-line block ×4, first 2 shown]
	v_add_nc_u32_e32 v81, v2, v16
	s_and_b32 s3, ttmp7, 0xffff
	s_lshl_b64 s[18:19], s[18:19], 3
	s_lshl_b64 s[24:25], s[12:13], 4
	s_not_b32 s33, ttmp9
	s_lshl_b32 s53, s3, 5
	s_mov_b32 s5, 0
	s_add_nc_u64 s[16:17], s[16:17], s[18:19]
	s_lshl_b64 s[18:19], s[20:21], 5
	s_mul_u64 s[36:37], s[12:13], 24
	s_lshl_b64 s[38:39], s[26:27], 8
	s_and_b32 s28, s0, vcc_lo
	s_lshl_b64 s[12:13], s[12:13], 3
	s_sub_nc_u64 s[40:41], 0, s[24:25]
	s_lshl_b64 s[42:43], s[42:43], 3
	s_branch .LBB105_3
.LBB105_2:                              ;   in Loop: Header=BB105_3 Depth=1
	s_or_b32 exec_lo, exec_lo, s54
	s_add_co_i32 s4, s4, 0x10000
	s_wait_alu 0xfffe
	s_cmp_lt_u32 s4, s29
	s_cbranch_scc0 .LBB105_43
.LBB105_3:                              ; =>This Loop Header: Depth=1
                                        ;     Child Loop BB105_19 Depth 2
                                        ;       Child Loop BB105_21 Depth 3
                                        ;     Child Loop BB105_29 Depth 2
                                        ;     Child Loop BB105_38 Depth 2
	;; [unrolled: 1-line block ×3, first 2 shown]
	s_and_b32 vcc_lo, exec_lo, s52
	s_mov_b32 s44, -1
                                        ; implicit-def: $vgpr14_vgpr15
	s_wait_alu 0xfffe
	s_cbranch_vccz .LBB105_5
; %bb.4:                                ;   in Loop: Header=BB105_3 Depth=1
	ds_load_b64 v[0:1], v60
	s_mul_u64 s[44:45], s[6:7], s[4:5]
	s_wait_alu 0xfffe
	s_lshl_b64 s[44:45], s[44:45], 3
	s_wait_dscnt 0x0
	s_wait_alu 0xfffe
	v_add_co_u32 v0, vcc_lo, v0, s44
	s_wait_alu 0xfffd
	v_add_co_ci_u32_e64 v1, null, s45, v1, vcc_lo
	s_mov_b32 s44, 0
	flat_load_b64 v[14:15], v[0:1]
.LBB105_5:                              ;   in Loop: Header=BB105_3 Depth=1
	s_wait_alu 0xfffe
	s_and_not1_b32 vcc_lo, exec_lo, s44
	s_wait_alu 0xfffe
	s_cbranch_vccnz .LBB105_7
; %bb.6:                                ;   in Loop: Header=BB105_3 Depth=1
	s_wait_loadcnt_dscnt 0x0
	ds_load_b64 v[14:15], v60
.LBB105_7:                              ;   in Loop: Header=BB105_3 Depth=1
	s_mov_b32 s54, exec_lo
	s_wait_loadcnt_dscnt 0x0
	v_cmpx_neq_f64_e32 0, v[14:15]
	s_cbranch_execz .LBB105_2
; %bb.8:                                ;   in Loop: Header=BB105_3 Depth=1
	s_load_b64 s[44:45], s[34:35], 0x0
	s_wait_kmcnt 0x0
	s_add_co_i32 s46, s44, -1
	s_wait_alu 0xfffe
	s_cmp_eq_u32 ttmp9, s46
	s_cbranch_scc1 .LBB105_2
; %bb.9:                                ;   in Loop: Header=BB105_3 Depth=1
	s_mul_u64 s[48:49], s[22:23], s[4:5]
	s_wait_alu 0xfffe
	s_lshl_b64 s[48:49], s[48:49], 3
	s_wait_alu 0xfffe
	s_add_nc_u64 s[48:49], s[10:11], s[48:49]
	s_and_saveexec_b32 s47, s0
	s_cbranch_execz .LBB105_11
; %bb.10:                               ;   in Loop: Header=BB105_3 Depth=1
	s_wait_alu 0xfffe
	v_add_co_u32 v0, vcc_lo, s48, v4
	s_wait_alu 0xfffd
	v_add_co_ci_u32_e64 v1, null, s49, v5, vcc_lo
	global_load_b64 v[0:1], v[0:1], off
	s_wait_loadcnt 0x0
	ds_store_b64 v61, v[0:1]
.LBB105_11:                             ;   in Loop: Header=BB105_3 Depth=1
	s_wait_alu 0xfffe
	s_or_b32 exec_lo, exec_lo, s47
	s_cvt_f32_u32 s47, s45
	s_wait_alu 0xfffe
	s_delay_alu instid0(SALU_CYCLE_2) | instskip(NEXT) | instid1(TRANS32_DEP_1)
	v_rcp_iflag_f32_e32 v0, s47
	v_readfirstlane_b32 s47, v0
	s_mul_f32 s47, s47, 0x4f7ffffe
	s_wait_alu 0xfffe
	s_delay_alu instid0(SALU_CYCLE_2) | instskip(SKIP_2) | instid1(SALU_CYCLE_1)
	s_cvt_u32_f32 s50, s47
	s_sub_co_i32 s47, 0, s45
	s_wait_alu 0xfffe
	s_mul_i32 s47, s47, s50
	s_wait_alu 0xfffe
	s_mul_hi_u32 s51, s50, s47
	s_add_co_i32 s47, s46, s33
	s_wait_alu 0xfffe
	s_add_co_i32 s50, s50, s51
	s_wait_alu 0xfffe
	s_mul_hi_u32 s46, s47, s50
	s_wait_alu 0xfffe
	s_mul_i32 s50, s46, s45
	s_add_co_i32 s51, s46, 1
	s_wait_alu 0xfffe
	s_sub_co_i32 s50, s47, s50
	s_wait_alu 0xfffe
	s_sub_co_i32 s55, s50, s45
	s_cmp_ge_u32 s50, s45
	s_cselect_b32 s46, s51, s46
	s_cselect_b32 s50, s55, s50
	s_wait_alu 0xfffe
	s_add_co_i32 s51, s46, 1
	s_cmp_ge_u32 s50, s45
	s_wait_alu 0xfffe
	s_cselect_b32 s46, s51, s46
	s_add_co_i32 s50, s45, -1
	s_wait_alu 0xfffe
	s_mov_b32 s56, s46
	s_cmp_eq_u32 s3, s50
	s_cselect_b32 s55, -1, 0
	s_cmp_lg_u32 s3, s50
	s_cbranch_scc1 .LBB105_13
; %bb.12:                               ;   in Loop: Header=BB105_3 Depth=1
	s_mul_i32 s45, s46, s45
	s_wait_alu 0xfffe
	s_sub_co_i32 s45, s47, s45
	s_wait_alu 0xfffe
	s_add_co_i32 s56, s45, s46
.LBB105_13:                             ;   in Loop: Header=BB105_3 Depth=1
	s_cmp_lg_u32 s3, s50
	s_cselect_b32 s45, -1, 0
	s_wait_alu 0xfffe
	s_cmp_eq_u32 s56, 0
	s_cselect_b32 s47, -1, 0
	s_wait_alu 0xfffe
	s_and_b32 s45, s45, s47
	s_wait_alu 0xfffe
	s_and_b32 vcc_lo, exec_lo, s45
	s_wait_alu 0xfffe
	s_cbranch_vccnz .LBB105_2
; %bb.14:                               ;   in Loop: Header=BB105_3 Depth=1
	s_mul_i32 s50, s53, s46
	s_mul_u64 s[58:59], s[14:15], s[4:5]
	s_wait_alu 0xfffe
	s_ashr_i32 s51, s50, 31
	v_mov_b32_e32 v20, 0
	v_mov_b32_e32 v28, 0
	;; [unrolled: 1-line block ×3, first 2 shown]
	s_lshl_b64 s[46:47], s[58:59], 3
	s_wait_alu 0xfffe
	s_mul_u64 s[58:59], s[20:21], s[50:51]
	v_dual_mov_b32 v21, 0 :: v_dual_mov_b32 v38, 0
	v_dual_mov_b32 v29, 0 :: v_dual_mov_b32 v40, 0
	;; [unrolled: 1-line block ×3, first 2 shown]
	v_mov_b32_e32 v39, 0
	v_mov_b32_e32 v41, 0
	;; [unrolled: 1-line block ×3, first 2 shown]
	s_add_nc_u64 s[46:47], s[8:9], s[46:47]
	s_lshl_b64 s[60:61], s[50:51], 3
	s_lshl_b64 s[58:59], s[58:59], 3
	s_add_co_i32 s44, s44, -2
	s_wait_alu 0xfffe
	s_add_nc_u64 s[46:47], s[46:47], s[60:61]
	s_add_nc_u64 s[48:49], s[48:49], s[58:59]
	s_cmp_ge_u32 ttmp9, s44
	s_wait_dscnt 0x0
	s_barrier_signal -1
	s_barrier_wait -1
	global_inv scope:SCOPE_SE
	s_cbranch_scc1 .LBB105_16
; %bb.15:                               ;   in Loop: Header=BB105_3 Depth=1
	s_wait_alu 0xfffe
	v_add_co_u32 v0, vcc_lo, s46, v6
	s_wait_alu 0xfffd
	v_add_co_ci_u32_e64 v1, null, s47, v7, vcc_lo
	s_lshl_b64 s[44:45], s[18:19], 3
	v_add_co_u32 v2, vcc_lo, v0, s12
	s_wait_alu 0xfffd
	v_add_co_ci_u32_e64 v3, null, s13, v1, vcc_lo
	v_add_co_u32 v16, vcc_lo, v0, s24
	s_wait_alu 0xfffe
	s_add_nc_u64 s[44:45], s[48:49], s[44:45]
	s_wait_alu 0xfffd
	v_add_co_ci_u32_e64 v17, null, s25, v1, vcc_lo
	v_add_co_u32 v18, vcc_lo, v0, s36
	s_wait_alu 0xfffd
	v_add_co_ci_u32_e64 v19, null, s37, v1, vcc_lo
	s_wait_alu 0xfffe
	v_add_co_u32 v22, vcc_lo, s44, v8
	s_wait_alu 0xfffd
	v_add_co_ci_u32_e64 v23, null, s45, v9, vcc_lo
	s_clause 0x3
	global_load_b64 v[28:29], v[0:1], off offset:256
	global_load_b64 v[40:41], v[2:3], off offset:256
	;; [unrolled: 1-line block ×4, first 2 shown]
	global_load_b64 v[38:39], v[22:23], off
.LBB105_16:                             ;   in Loop: Header=BB105_3 Depth=1
	s_mul_u64 s[44:45], s[30:31], s[4:5]
	s_mul_u64 s[50:51], s[26:27], s[50:51]
	s_wait_alu 0xfffe
	s_lshl_b64 s[44:45], s[44:45], 3
	s_lshl_b64 s[50:51], s[50:51], 3
	s_wait_alu 0xfffe
	s_add_nc_u64 s[44:45], s[16:17], s[44:45]
	s_cmp_lt_i32 s56, 1
	s_wait_alu 0xfffe
	s_add_nc_u64 s[50:51], s[44:45], s[50:51]
	s_cbranch_scc1 .LBB105_25
; %bb.17:                               ;   in Loop: Header=BB105_3 Depth=1
	v_mov_b32_e32 v20, 0
	v_mov_b32_e32 v21, 0
	s_cmp_eq_u32 s56, 1
	s_cbranch_scc1 .LBB105_26
; %bb.18:                               ;   in Loop: Header=BB105_3 Depth=1
	v_mov_b32_e32 v22, 0
	v_dual_mov_b32 v24, 0 :: v_dual_mov_b32 v23, 0
	v_dual_mov_b32 v26, 0 :: v_dual_mov_b32 v25, 0
	;; [unrolled: 1-line block ×3, first 2 shown]
	s_wait_alu 0xfffe
	v_dual_mov_b32 v21, 0 :: v_dual_mov_b32 v16, s50
	v_mov_b32_e32 v17, s51
	s_add_co_i32 s50, s56, -2
	s_mov_b32 s51, 0
.LBB105_19:                             ;   Parent Loop BB105_3 Depth=1
                                        ; =>  This Loop Header: Depth=2
                                        ;       Child Loop BB105_21 Depth 3
	v_add_co_u32 v0, vcc_lo, s46, v6
	s_wait_alu 0xfffd
	v_add_co_ci_u32_e64 v1, null, s47, v7, vcc_lo
	s_lshl_b64 s[56:57], s[18:19], 3
	v_add_co_u32 v2, vcc_lo, v0, s12
	global_load_b64 v[46:47], v[0:1], off offset:384
	s_wait_alu 0xfffd
	v_add_co_ci_u32_e64 v3, null, s13, v1, vcc_lo
	s_wait_alu 0xfffe
	s_add_nc_u64 s[48:49], s[48:49], s[56:57]
	s_wait_alu 0xfffe
	s_add_nc_u64 s[56:57], s[48:49], s[56:57]
	global_load_b64 v[48:49], v[2:3], off offset:384
	v_add_co_u32 v2, vcc_lo, v2, s12
	s_wait_alu 0xfffd
	v_add_co_ci_u32_e64 v3, null, s13, v3, vcc_lo
	global_load_b64 v[50:51], v[2:3], off offset:384
	v_add_co_u32 v2, vcc_lo, v2, s12
	s_wait_alu 0xfffd
	v_add_co_ci_u32_e64 v3, null, s13, v3, vcc_lo
	v_add_co_u32 v18, vcc_lo, s48, v10
	s_wait_alu 0xfffd
	v_add_co_ci_u32_e64 v19, null, s49, v11, vcc_lo
	global_load_b64 v[52:53], v[2:3], off offset:384
	v_add_co_u32 v2, vcc_lo, v2, s40
	s_wait_alu 0xfffd
	v_add_co_ci_u32_e64 v3, null, s41, v3, vcc_lo
	s_wait_alu 0xfffe
	v_add_co_u32 v30, vcc_lo, s56, v8
	s_wait_alu 0xfffd
	v_add_co_ci_u32_e64 v31, null, s57, v9, vcc_lo
	v_add_co_u32 v32, vcc_lo, v2, s12
	s_wait_alu 0xfffd
	v_add_co_ci_u32_e64 v33, null, s13, v3, vcc_lo
	global_load_b64 v[54:55], v[18:19], off
	v_add_co_u32 v56, vcc_lo, v32, s12
	s_wait_alu 0xfffd
	v_add_co_ci_u32_e64 v57, null, s13, v33, vcc_lo
	global_load_b64 v[18:19], v[30:31], off
	s_clause 0x3
	global_load_b64 v[36:37], v[0:1], off offset:512
	global_load_b64 v[34:35], v[2:3], off offset:512
	;; [unrolled: 1-line block ×4, first 2 shown]
	ds_load_b128 v[0:3], v62
	ds_load_b128 v[56:59], v62 offset:16
	s_wait_loadcnt_dscnt 0x0
	s_barrier_signal -1
	s_barrier_wait -1
	global_inv scope:SCOPE_SE
	v_fma_f64 v[82:83], v[28:29], v[0:1], 0
	s_delay_alu instid0(VALU_DEP_1) | instskip(SKIP_1) | instid1(VALU_DEP_1)
	v_fma_f64 v[82:83], v[40:41], v[2:3], v[82:83]
	v_fma_f64 v[0:1], v[46:47], v[0:1], 0
	;; [unrolled: 1-line block ×3, first 2 shown]
	s_delay_alu instid0(VALU_DEP_3) | instskip(NEXT) | instid1(VALU_DEP_2)
	v_fma_f64 v[2:3], v[42:43], v[56:57], v[82:83]
	v_fma_f64 v[0:1], v[50:51], v[56:57], v[0:1]
	s_delay_alu instid0(VALU_DEP_2) | instskip(NEXT) | instid1(VALU_DEP_2)
	v_fma_f64 v[2:3], v[44:45], v[58:59], v[2:3]
	v_fma_f64 v[0:1], v[52:53], v[58:59], v[0:1]
	ds_store_2addr_b64 v64, v[2:3], v[0:1] offset1:16
	s_wait_loadcnt_dscnt 0x0
	s_barrier_signal -1
	s_barrier_wait -1
	global_inv scope:SCOPE_SE
	s_and_saveexec_b32 s56, s0
	s_cbranch_execz .LBB105_23
; %bb.20:                               ;   in Loop: Header=BB105_19 Depth=2
	ds_load_2addr_b64 v[56:59], v63 offset1:32
	v_add_co_u32 v16, vcc_lo, v16, s38
	s_wait_alu 0xfffd
	v_add_co_ci_u32_e64 v17, null, s39, v17, vcc_lo
	ds_load_2addr_b64 v[82:85], v63 offset0:64 offset1:96
	s_mov_b32 s57, 0
	s_wait_dscnt 0x1
	v_add_f64_e32 v[0:1], 0, v[56:57]
	v_add_co_u32 v56, vcc_lo, v16, v12
	s_wait_alu 0xfffd
	v_add_co_ci_u32_e64 v57, null, v17, v13, vcc_lo
	global_load_b64 v[2:3], v[56:57], off
	v_add_f64_e32 v[0:1], v[0:1], v[58:59]
	s_wait_dscnt 0x0
	s_delay_alu instid0(VALU_DEP_1) | instskip(NEXT) | instid1(VALU_DEP_1)
	v_add_f64_e32 v[0:1], v[0:1], v[82:83]
	v_add_f64_e32 v[0:1], v[0:1], v[84:85]
	ds_load_2addr_b64 v[82:85], v63 offset0:128 offset1:160
	s_wait_dscnt 0x0
	v_add_f64_e32 v[0:1], v[0:1], v[82:83]
	s_delay_alu instid0(VALU_DEP_1) | instskip(SKIP_3) | instid1(VALU_DEP_1)
	v_add_f64_e32 v[0:1], v[0:1], v[84:85]
	ds_load_2addr_b64 v[82:85], v63 offset0:192 offset1:224
	s_wait_dscnt 0x0
	v_add_f64_e32 v[0:1], v[0:1], v[82:83]
	v_add_f64_e32 v[0:1], v[0:1], v[84:85]
	s_delay_alu instid0(VALU_DEP_1)
	v_mul_f64_e32 v[58:59], v[14:15], v[0:1]
.LBB105_21:                             ;   Parent Loop BB105_3 Depth=1
                                        ;     Parent Loop BB105_19 Depth=2
                                        ; =>    This Inner Loop Header: Depth=3
	s_wait_loadcnt 0x0
	s_delay_alu instid0(VALU_DEP_1)
	v_add_f64_e32 v[0:1], v[2:3], v[58:59]
	global_atomic_cmpswap_b64 v[0:1], v[56:57], v[0:3], off th:TH_ATOMIC_RETURN scope:SCOPE_DEV
	s_wait_loadcnt 0x0
	v_cmp_eq_u64_e32 vcc_lo, v[0:1], v[2:3]
	v_dual_mov_b32 v3, v1 :: v_dual_mov_b32 v2, v0
	s_wait_alu 0xfffe
	s_or_b32 s57, vcc_lo, s57
	s_wait_alu 0xfffe
	s_and_not1_b32 exec_lo, exec_lo, s57
	s_cbranch_execnz .LBB105_21
; %bb.22:                               ;   in Loop: Header=BB105_19 Depth=2
	s_or_b32 exec_lo, exec_lo, s57
.LBB105_23:                             ;   in Loop: Header=BB105_19 Depth=2
	s_wait_alu 0xfffe
	s_or_b32 exec_lo, exec_lo, s56
	v_fma_f64 v[0:1], v[38:39], v[28:29], v[22:23]
	v_fma_f64 v[2:3], v[38:39], v[40:41], v[26:27]
	v_fma_f64 v[24:25], v[38:39], v[42:43], v[24:25]
	v_fma_f64 v[20:21], v[38:39], v[44:45], v[20:21]
	s_add_co_i32 s56, s51, 1
	s_cmp_eq_u32 s51, s50
	s_add_nc_u64 s[46:47], s[46:47], 0x100
	s_delay_alu instid0(VALU_DEP_4) | instskip(NEXT) | instid1(VALU_DEP_4)
	v_fma_f64 v[22:23], v[54:55], v[46:47], v[0:1]
	v_fma_f64 v[26:27], v[54:55], v[48:49], v[2:3]
	s_delay_alu instid0(VALU_DEP_4) | instskip(NEXT) | instid1(VALU_DEP_4)
	v_fma_f64 v[24:25], v[54:55], v[50:51], v[24:25]
	v_fma_f64 v[20:21], v[54:55], v[52:53], v[20:21]
	s_cbranch_scc1 .LBB105_27
; %bb.24:                               ;   in Loop: Header=BB105_19 Depth=2
	v_dual_mov_b32 v39, v19 :: v_dual_mov_b32 v38, v18
	v_dual_mov_b32 v28, v36 :: v_dual_mov_b32 v29, v37
	;; [unrolled: 1-line block ×5, first 2 shown]
	s_wait_alu 0xfffe
	s_mov_b32 s51, s56
	s_branch .LBB105_19
.LBB105_25:                             ;   in Loop: Header=BB105_3 Depth=1
	v_mov_b32_e32 v22, 0
	v_dual_mov_b32 v26, 0 :: v_dual_mov_b32 v23, 0
	v_dual_mov_b32 v24, 0 :: v_dual_mov_b32 v27, 0
	s_wait_loadcnt 0x4
	v_mov_b32_e32 v28, 0
	s_wait_alu 0xfffe
	v_dual_mov_b32 v16, s50 :: v_dual_mov_b32 v17, s51
	v_mov_b32_e32 v25, 0
	s_wait_loadcnt 0x0
	v_dual_mov_b32 v29, 0 :: v_dual_mov_b32 v18, v38
	v_mov_b32_e32 v19, v39
	s_and_b32 vcc_lo, exec_lo, s55
	s_wait_alu 0xfffe
	s_cbranch_vccnz .LBB105_32
	s_branch .LBB105_40
.LBB105_26:                             ;   in Loop: Header=BB105_3 Depth=1
	v_mov_b32_e32 v24, 0
	v_dual_mov_b32 v22, 0 :: v_dual_mov_b32 v25, 0
	v_dual_mov_b32 v26, 0 :: v_dual_mov_b32 v23, 0
	s_wait_loadcnt 0x0
	v_mov_b32_e32 v18, v38
	s_wait_alu 0xfffe
	v_dual_mov_b32 v16, s50 :: v_dual_mov_b32 v17, s51
	v_dual_mov_b32 v30, v44 :: v_dual_mov_b32 v31, v45
	;; [unrolled: 1-line block ×5, first 2 shown]
	v_mov_b32_e32 v27, 0
	v_mov_b32_e32 v19, v39
.LBB105_27:                             ;   in Loop: Header=BB105_3 Depth=1
	s_wait_alu 0xfffe
	v_add_co_u32 v0, vcc_lo, s46, v6
	s_wait_alu 0xfffd
	v_add_co_ci_u32_e64 v1, null, s47, v7, vcc_lo
	s_sub_nc_u64 s[50:51], 0, s[12:13]
	v_add_co_u32 v2, vcc_lo, v0, s42
	s_wait_alu 0xfffd
	v_add_co_ci_u32_e64 v3, null, s43, v1, vcc_lo
	s_wait_alu 0xfffe
	s_delay_alu instid0(VALU_DEP_2) | instskip(SKIP_1) | instid1(VALU_DEP_2)
	v_add_co_u32 v28, vcc_lo, v2, s50
	s_wait_alu 0xfffd
	v_add_co_ci_u32_e64 v29, null, s51, v3, vcc_lo
	s_delay_alu instid0(VALU_DEP_2) | instskip(SKIP_1) | instid1(VALU_DEP_2)
	v_add_co_u32 v40, vcc_lo, v28, s50
	s_wait_alu 0xfffd
	v_add_co_ci_u32_e64 v41, null, s51, v29, vcc_lo
	s_lshl_b64 s[50:51], s[18:19], 3
	s_clause 0x3
	global_load_b64 v[38:39], v[28:29], off offset:384
	global_load_b64 v[42:43], v[40:41], off offset:384
	global_load_b64 v[44:45], v[0:1], off offset:384
	global_load_b64 v[40:41], v[2:3], off offset:384
	s_wait_alu 0xfffe
	s_add_nc_u64 s[48:49], s[48:49], s[50:51]
	s_wait_alu 0xfffe
	v_add_co_u32 v0, vcc_lo, s48, v10
	s_wait_alu 0xfffd
	v_add_co_ci_u32_e64 v1, null, s49, v11, vcc_lo
	global_load_b64 v[28:29], v[0:1], off
	ds_load_b128 v[0:3], v62
	ds_load_b128 v[46:49], v62 offset:16
	s_wait_loadcnt_dscnt 0x0
	s_barrier_signal -1
	s_barrier_wait -1
	global_inv scope:SCOPE_SE
	v_fma_f64 v[50:51], v[36:37], v[0:1], 0
	s_delay_alu instid0(VALU_DEP_1) | instskip(SKIP_1) | instid1(VALU_DEP_1)
	v_fma_f64 v[50:51], v[34:35], v[2:3], v[50:51]
	v_fma_f64 v[0:1], v[44:45], v[0:1], 0
	;; [unrolled: 1-line block ×3, first 2 shown]
	s_delay_alu instid0(VALU_DEP_3) | instskip(NEXT) | instid1(VALU_DEP_2)
	v_fma_f64 v[2:3], v[32:33], v[46:47], v[50:51]
	v_fma_f64 v[0:1], v[38:39], v[46:47], v[0:1]
	s_delay_alu instid0(VALU_DEP_2) | instskip(NEXT) | instid1(VALU_DEP_2)
	v_fma_f64 v[2:3], v[30:31], v[48:49], v[2:3]
	v_fma_f64 v[0:1], v[40:41], v[48:49], v[0:1]
	ds_store_2addr_b64 v64, v[2:3], v[0:1] offset1:16
	s_wait_loadcnt_dscnt 0x0
	s_barrier_signal -1
	s_barrier_wait -1
	global_inv scope:SCOPE_SE
	s_and_saveexec_b32 s50, s0
	s_cbranch_execz .LBB105_31
; %bb.28:                               ;   in Loop: Header=BB105_3 Depth=1
	ds_load_2addr_b64 v[46:49], v63 offset1:32
	v_add_co_u32 v16, vcc_lo, v16, s38
	s_wait_alu 0xfffd
	v_add_co_ci_u32_e64 v17, null, s39, v17, vcc_lo
	s_mov_b32 s51, 0
	s_wait_dscnt 0x0
	v_add_f64_e32 v[0:1], 0, v[46:47]
	v_add_co_u32 v46, vcc_lo, v16, v12
	s_wait_alu 0xfffd
	v_add_co_ci_u32_e64 v47, null, v17, v13, vcc_lo
	global_load_b64 v[2:3], v[46:47], off
	v_add_f64_e32 v[0:1], v[0:1], v[48:49]
	ds_load_2addr_b64 v[48:51], v63 offset0:64 offset1:96
	s_wait_dscnt 0x0
	v_add_f64_e32 v[0:1], v[0:1], v[48:49]
	s_delay_alu instid0(VALU_DEP_1) | instskip(SKIP_3) | instid1(VALU_DEP_1)
	v_add_f64_e32 v[0:1], v[0:1], v[50:51]
	ds_load_2addr_b64 v[48:51], v63 offset0:128 offset1:160
	s_wait_dscnt 0x0
	v_add_f64_e32 v[0:1], v[0:1], v[48:49]
	v_add_f64_e32 v[0:1], v[0:1], v[50:51]
	ds_load_2addr_b64 v[48:51], v63 offset0:192 offset1:224
	s_wait_dscnt 0x0
	v_add_f64_e32 v[0:1], v[0:1], v[48:49]
	s_delay_alu instid0(VALU_DEP_1) | instskip(NEXT) | instid1(VALU_DEP_1)
	v_add_f64_e32 v[0:1], v[0:1], v[50:51]
	v_mul_f64_e32 v[48:49], v[14:15], v[0:1]
.LBB105_29:                             ;   Parent Loop BB105_3 Depth=1
                                        ; =>  This Inner Loop Header: Depth=2
	s_wait_loadcnt 0x0
	s_delay_alu instid0(VALU_DEP_1)
	v_add_f64_e32 v[0:1], v[2:3], v[48:49]
	global_atomic_cmpswap_b64 v[0:1], v[46:47], v[0:3], off th:TH_ATOMIC_RETURN scope:SCOPE_DEV
	s_wait_loadcnt 0x0
	v_cmp_eq_u64_e32 vcc_lo, v[0:1], v[2:3]
	v_dual_mov_b32 v3, v1 :: v_dual_mov_b32 v2, v0
	s_wait_alu 0xfffe
	s_or_b32 s51, vcc_lo, s51
	s_wait_alu 0xfffe
	s_and_not1_b32 exec_lo, exec_lo, s51
	s_cbranch_execnz .LBB105_29
; %bb.30:                               ;   in Loop: Header=BB105_3 Depth=1
	s_or_b32 exec_lo, exec_lo, s51
.LBB105_31:                             ;   in Loop: Header=BB105_3 Depth=1
	s_wait_alu 0xfffe
	s_or_b32 exec_lo, exec_lo, s50
	v_fma_f64 v[0:1], v[18:19], v[36:37], v[22:23]
	v_fma_f64 v[2:3], v[18:19], v[34:35], v[26:27]
	;; [unrolled: 1-line block ×4, first 2 shown]
	s_add_nc_u64 s[46:47], s[46:47], 0x100
	s_delay_alu instid0(VALU_DEP_4) | instskip(NEXT) | instid1(VALU_DEP_4)
	v_fma_f64 v[26:27], v[28:29], v[44:45], v[0:1]
	v_fma_f64 v[24:25], v[28:29], v[42:43], v[2:3]
	s_delay_alu instid0(VALU_DEP_4) | instskip(NEXT) | instid1(VALU_DEP_4)
	v_fma_f64 v[22:23], v[28:29], v[38:39], v[22:23]
	v_fma_f64 v[20:21], v[28:29], v[40:41], v[20:21]
	s_and_b32 vcc_lo, exec_lo, s55
	s_wait_alu 0xfffe
	s_cbranch_vccz .LBB105_40
.LBB105_32:                             ;   in Loop: Header=BB105_3 Depth=1
	v_mov_b32_e32 v30, 0
	v_dual_mov_b32 v34, 0 :: v_dual_mov_b32 v31, 0
	v_dual_mov_b32 v32, 0 :: v_dual_mov_b32 v35, 0
	v_mov_b32_e32 v36, 0
	v_dual_mov_b32 v38, 0 :: v_dual_mov_b32 v33, 0
	v_mov_b32_e32 v37, 0
	v_mov_b32_e32 v39, 0
	s_lshl_b64 s[50:51], s[18:19], 3
	s_wait_alu 0xfffe
	s_add_nc_u64 s[48:49], s[48:49], s[50:51]
	s_and_saveexec_b32 s50, s1
	s_cbranch_execz .LBB105_34
; %bb.33:                               ;   in Loop: Header=BB105_3 Depth=1
	v_add_co_u32 v0, vcc_lo, s46, v6
	s_wait_alu 0xfffd
	v_add_co_ci_u32_e64 v1, null, s47, v7, vcc_lo
	s_delay_alu instid0(VALU_DEP_2) | instskip(SKIP_1) | instid1(VALU_DEP_2)
	v_add_co_u32 v2, vcc_lo, v0, s12
	s_wait_alu 0xfffd
	v_add_co_ci_u32_e64 v3, null, s13, v1, vcc_lo
	v_add_co_u32 v18, vcc_lo, v0, s24
	s_wait_alu 0xfffd
	v_add_co_ci_u32_e64 v19, null, s25, v1, vcc_lo
	;; [unrolled: 3-line block ×3, first 2 shown]
	s_wait_alu 0xfffe
	v_add_co_u32 v40, vcc_lo, s48, v8
	s_wait_alu 0xfffd
	v_add_co_ci_u32_e64 v41, null, s49, v9, vcc_lo
	s_clause 0x3
	global_load_b64 v[32:33], v[0:1], off offset:256
	global_load_b64 v[34:35], v[2:3], off offset:256
	;; [unrolled: 1-line block ×4, first 2 shown]
	global_load_b64 v[18:19], v[40:41], off
.LBB105_34:                             ;   in Loop: Header=BB105_3 Depth=1
	s_wait_alu 0xfffe
	s_or_b32 exec_lo, exec_lo, s50
	v_mov_b32_e32 v40, 0
	v_dual_mov_b32 v41, 0 :: v_dual_mov_b32 v42, 0
	v_dual_mov_b32 v44, 0 :: v_dual_mov_b32 v43, 0
	v_mov_b32_e32 v45, 0
	s_and_saveexec_b32 s50, s2
	s_cbranch_execz .LBB105_36
; %bb.35:                               ;   in Loop: Header=BB105_3 Depth=1
	v_add_co_u32 v0, vcc_lo, s46, v6
	s_wait_alu 0xfffd
	v_add_co_ci_u32_e64 v1, null, s47, v7, vcc_lo
	s_delay_alu instid0(VALU_DEP_2) | instskip(SKIP_1) | instid1(VALU_DEP_2)
	v_add_co_u32 v2, vcc_lo, v0, s12
	s_wait_alu 0xfffd
	v_add_co_ci_u32_e64 v3, null, s13, v1, vcc_lo
	v_add_co_u32 v28, vcc_lo, v0, s24
	s_wait_alu 0xfffd
	v_add_co_ci_u32_e64 v29, null, s25, v1, vcc_lo
	v_add_co_u32 v44, vcc_lo, v0, s36
	s_wait_alu 0xfffd
	v_add_co_ci_u32_e64 v45, null, s37, v1, vcc_lo
	v_add_co_u32 v46, vcc_lo, s48, v10
	s_wait_alu 0xfffd
	v_add_co_ci_u32_e64 v47, null, s49, v11, vcc_lo
	s_clause 0x3
	global_load_b64 v[30:31], v[0:1], off offset:384
	global_load_b64 v[40:41], v[2:3], off offset:384
	;; [unrolled: 1-line block ×4, first 2 shown]
	global_load_b64 v[28:29], v[46:47], off
.LBB105_36:                             ;   in Loop: Header=BB105_3 Depth=1
	s_wait_alu 0xfffe
	s_or_b32 exec_lo, exec_lo, s50
	ds_load_b128 v[0:3], v62
	ds_load_b128 v[46:49], v62 offset:16
	s_wait_loadcnt_dscnt 0x0
	s_barrier_signal -1
	s_barrier_wait -1
	global_inv scope:SCOPE_SE
	v_fma_f64 v[50:51], v[30:31], v[0:1], 0
	v_fma_f64 v[0:1], v[32:33], v[0:1], 0
	s_delay_alu instid0(VALU_DEP_2) | instskip(NEXT) | instid1(VALU_DEP_2)
	v_fma_f64 v[50:51], v[40:41], v[2:3], v[50:51]
	v_fma_f64 v[0:1], v[34:35], v[2:3], v[0:1]
	s_delay_alu instid0(VALU_DEP_2) | instskip(NEXT) | instid1(VALU_DEP_2)
	;; [unrolled: 3-line block ×3, first 2 shown]
	v_fma_f64 v[2:3], v[44:45], v[48:49], v[2:3]
	v_fma_f64 v[0:1], v[38:39], v[48:49], v[0:1]
	ds_store_2addr_b64 v64, v[0:1], v[2:3] offset1:16
	s_wait_loadcnt_dscnt 0x0
	s_barrier_signal -1
	s_barrier_wait -1
	global_inv scope:SCOPE_SE
	s_and_saveexec_b32 s46, s28
	s_cbranch_execz .LBB105_39
; %bb.37:                               ;   in Loop: Header=BB105_3 Depth=1
	ds_load_2addr_b64 v[46:49], v63 offset1:32
	v_add_co_u32 v2, vcc_lo, v16, s38
	s_wait_alu 0xfffd
	v_add_co_ci_u32_e64 v3, null, s39, v17, vcc_lo
	s_mov_b32 s47, 0
	v_add_co_u32 v16, vcc_lo, v2, v12
	s_wait_alu 0xfffd
	v_add_co_ci_u32_e64 v17, null, v3, v13, vcc_lo
	global_load_b64 v[2:3], v[16:17], off
	s_wait_dscnt 0x0
	v_add_f64_e32 v[0:1], 0, v[46:47]
	s_delay_alu instid0(VALU_DEP_1) | instskip(SKIP_3) | instid1(VALU_DEP_1)
	v_add_f64_e32 v[0:1], v[0:1], v[48:49]
	ds_load_2addr_b64 v[46:49], v63 offset0:64 offset1:96
	s_wait_dscnt 0x0
	v_add_f64_e32 v[0:1], v[0:1], v[46:47]
	v_add_f64_e32 v[0:1], v[0:1], v[48:49]
	ds_load_2addr_b64 v[46:49], v63 offset0:128 offset1:160
	s_wait_dscnt 0x0
	v_add_f64_e32 v[0:1], v[0:1], v[46:47]
	s_delay_alu instid0(VALU_DEP_1) | instskip(SKIP_3) | instid1(VALU_DEP_1)
	v_add_f64_e32 v[0:1], v[0:1], v[48:49]
	ds_load_2addr_b64 v[46:49], v63 offset0:192 offset1:224
	s_wait_dscnt 0x0
	v_add_f64_e32 v[0:1], v[0:1], v[46:47]
	v_add_f64_e32 v[0:1], v[0:1], v[48:49]
	s_delay_alu instid0(VALU_DEP_1)
	v_mul_f64_e32 v[46:47], v[14:15], v[0:1]
.LBB105_38:                             ;   Parent Loop BB105_3 Depth=1
                                        ; =>  This Inner Loop Header: Depth=2
	s_wait_loadcnt 0x0
	s_delay_alu instid0(VALU_DEP_1)
	v_add_f64_e32 v[0:1], v[2:3], v[46:47]
	global_atomic_cmpswap_b64 v[0:1], v[16:17], v[0:3], off th:TH_ATOMIC_RETURN scope:SCOPE_DEV
	s_wait_loadcnt 0x0
	v_cmp_eq_u64_e32 vcc_lo, v[0:1], v[2:3]
	v_dual_mov_b32 v3, v1 :: v_dual_mov_b32 v2, v0
	s_wait_alu 0xfffe
	s_or_b32 s47, vcc_lo, s47
	s_wait_alu 0xfffe
	s_and_not1_b32 exec_lo, exec_lo, s47
	s_cbranch_execnz .LBB105_38
.LBB105_39:                             ;   in Loop: Header=BB105_3 Depth=1
	s_wait_alu 0xfffe
	s_or_b32 exec_lo, exec_lo, s46
	v_fma_f64 v[0:1], v[18:19], v[32:33], v[26:27]
	v_fma_f64 v[2:3], v[18:19], v[34:35], v[24:25]
	;; [unrolled: 1-line block ×4, first 2 shown]
	s_delay_alu instid0(VALU_DEP_4) | instskip(NEXT) | instid1(VALU_DEP_4)
	v_fma_f64 v[26:27], v[28:29], v[30:31], v[0:1]
	v_fma_f64 v[24:25], v[28:29], v[40:41], v[2:3]
	s_delay_alu instid0(VALU_DEP_4) | instskip(NEXT) | instid1(VALU_DEP_4)
	v_fma_f64 v[22:23], v[28:29], v[42:43], v[16:17]
	v_fma_f64 v[20:21], v[28:29], v[44:45], v[18:19]
.LBB105_40:                             ;   in Loop: Header=BB105_3 Depth=1
	ds_store_2addr_b64 v81, v[26:27], v[24:25] offset1:16
	ds_store_2addr_b64 v81, v[22:23], v[20:21] offset0:32 offset1:48
	s_wait_loadcnt_dscnt 0x0
	s_barrier_signal -1
	s_barrier_wait -1
	global_inv scope:SCOPE_SE
	s_and_b32 exec_lo, exec_lo, s0
	s_cbranch_execz .LBB105_2
; %bb.41:                               ;   in Loop: Header=BB105_3 Depth=1
	ds_load_b64 v[0:1], v65
	ds_load_b64 v[2:3], v66
	ds_load_b64 v[16:17], v67
	ds_load_b64 v[18:19], v68
	s_wait_dscnt 0x3
	v_add_f64_e32 v[0:1], 0, v[0:1]
	s_wait_dscnt 0x2
	s_delay_alu instid0(VALU_DEP_1) | instskip(SKIP_1) | instid1(VALU_DEP_1)
	v_add_f64_e32 v[0:1], v[0:1], v[2:3]
	s_wait_dscnt 0x1
	v_add_f64_e32 v[0:1], v[0:1], v[16:17]
	s_wait_dscnt 0x0
	s_delay_alu instid0(VALU_DEP_1)
	v_add_f64_e32 v[0:1], v[0:1], v[18:19]
	ds_load_b64 v[2:3], v69
	ds_load_b64 v[16:17], v70
	;; [unrolled: 1-line block ×4, first 2 shown]
	s_wait_dscnt 0x3
	v_add_f64_e32 v[0:1], v[0:1], v[2:3]
	s_wait_dscnt 0x2
	s_delay_alu instid0(VALU_DEP_1)
	v_add_f64_e32 v[0:1], v[0:1], v[16:17]
	v_add_co_u32 v16, vcc_lo, s44, v12
	s_wait_alu 0xfffd
	v_add_co_ci_u32_e64 v17, null, s45, v13, vcc_lo
	s_mov_b32 s44, 0
	s_wait_dscnt 0x1
	v_add_f64_e32 v[0:1], v[0:1], v[18:19]
	s_wait_dscnt 0x0
	s_delay_alu instid0(VALU_DEP_1)
	v_add_f64_e32 v[0:1], v[0:1], v[20:21]
	ds_load_b64 v[2:3], v73
	ds_load_b64 v[18:19], v74
	ds_load_b64 v[20:21], v75
	ds_load_b64 v[22:23], v76
	s_wait_dscnt 0x3
	v_add_f64_e32 v[0:1], v[0:1], v[2:3]
	global_load_b64 v[2:3], v[16:17], off
	s_wait_dscnt 0x2
	v_add_f64_e32 v[0:1], v[0:1], v[18:19]
	s_wait_dscnt 0x1
	s_delay_alu instid0(VALU_DEP_1) | instskip(SKIP_1) | instid1(VALU_DEP_1)
	v_add_f64_e32 v[0:1], v[0:1], v[20:21]
	s_wait_dscnt 0x0
	v_add_f64_e32 v[0:1], v[0:1], v[22:23]
	ds_load_b64 v[18:19], v77
	ds_load_b64 v[20:21], v78
	ds_load_b64 v[22:23], v79
	ds_load_b64 v[24:25], v80
	s_wait_dscnt 0x3
	v_add_f64_e32 v[0:1], v[0:1], v[18:19]
	s_wait_dscnt 0x2
	s_delay_alu instid0(VALU_DEP_1) | instskip(SKIP_1) | instid1(VALU_DEP_1)
	v_add_f64_e32 v[0:1], v[0:1], v[20:21]
	s_wait_dscnt 0x1
	v_add_f64_e32 v[0:1], v[0:1], v[22:23]
	s_wait_dscnt 0x0
	s_delay_alu instid0(VALU_DEP_1) | instskip(NEXT) | instid1(VALU_DEP_1)
	v_add_f64_e32 v[0:1], v[0:1], v[24:25]
	v_mul_f64_e32 v[14:15], v[14:15], v[0:1]
.LBB105_42:                             ;   Parent Loop BB105_3 Depth=1
                                        ; =>  This Inner Loop Header: Depth=2
	s_wait_loadcnt 0x0
	s_delay_alu instid0(VALU_DEP_1)
	v_add_f64_e32 v[0:1], v[2:3], v[14:15]
	global_atomic_cmpswap_b64 v[0:1], v[16:17], v[0:3], off th:TH_ATOMIC_RETURN scope:SCOPE_DEV
	s_wait_loadcnt 0x0
	v_cmp_eq_u64_e32 vcc_lo, v[0:1], v[2:3]
	v_dual_mov_b32 v3, v1 :: v_dual_mov_b32 v2, v0
	s_wait_alu 0xfffe
	s_or_b32 s44, vcc_lo, s44
	s_wait_alu 0xfffe
	s_and_not1_b32 exec_lo, exec_lo, s44
	s_cbranch_execnz .LBB105_42
	s_branch .LBB105_2
.LBB105_43:
	s_endpgm
	.section	.rodata,"a",@progbits
	.p2align	6, 0x0
	.amdhsa_kernel _ZL62rocblas_symv_kernel_lower_double_buffered_non_diagonal_genericILi32ELi4ELi4E24rocblas_internal_val_ptrIdEPKdPdEvbiT2_lT3_lllS6_lllT4_lllii
		.amdhsa_group_segment_fixed_size 7424
		.amdhsa_private_segment_fixed_size 0
		.amdhsa_kernarg_size 384
		.amdhsa_user_sgpr_count 4
		.amdhsa_user_sgpr_dispatch_ptr 1
		.amdhsa_user_sgpr_queue_ptr 0
		.amdhsa_user_sgpr_kernarg_segment_ptr 1
		.amdhsa_user_sgpr_dispatch_id 0
		.amdhsa_user_sgpr_private_segment_size 0
		.amdhsa_wavefront_size32 1
		.amdhsa_uses_dynamic_stack 0
		.amdhsa_enable_private_segment 0
		.amdhsa_system_sgpr_workgroup_id_x 1
		.amdhsa_system_sgpr_workgroup_id_y 1
		.amdhsa_system_sgpr_workgroup_id_z 1
		.amdhsa_system_sgpr_workgroup_info 0
		.amdhsa_system_vgpr_workitem_id 2
		.amdhsa_next_free_vgpr 86
		.amdhsa_next_free_sgpr 62
		.amdhsa_reserve_vcc 1
		.amdhsa_float_round_mode_32 0
		.amdhsa_float_round_mode_16_64 0
		.amdhsa_float_denorm_mode_32 3
		.amdhsa_float_denorm_mode_16_64 3
		.amdhsa_fp16_overflow 0
		.amdhsa_workgroup_processor_mode 1
		.amdhsa_memory_ordered 1
		.amdhsa_forward_progress 1
		.amdhsa_inst_pref_size 38
		.amdhsa_round_robin_scheduling 0
		.amdhsa_exception_fp_ieee_invalid_op 0
		.amdhsa_exception_fp_denorm_src 0
		.amdhsa_exception_fp_ieee_div_zero 0
		.amdhsa_exception_fp_ieee_overflow 0
		.amdhsa_exception_fp_ieee_underflow 0
		.amdhsa_exception_fp_ieee_inexact 0
		.amdhsa_exception_int_div_zero 0
	.end_amdhsa_kernel
	.section	.text._ZL62rocblas_symv_kernel_lower_double_buffered_non_diagonal_genericILi32ELi4ELi4E24rocblas_internal_val_ptrIdEPKdPdEvbiT2_lT3_lllS6_lllT4_lllii,"axG",@progbits,_ZL62rocblas_symv_kernel_lower_double_buffered_non_diagonal_genericILi32ELi4ELi4E24rocblas_internal_val_ptrIdEPKdPdEvbiT2_lT3_lllS6_lllT4_lllii,comdat
.Lfunc_end105:
	.size	_ZL62rocblas_symv_kernel_lower_double_buffered_non_diagonal_genericILi32ELi4ELi4E24rocblas_internal_val_ptrIdEPKdPdEvbiT2_lT3_lllS6_lllT4_lllii, .Lfunc_end105-_ZL62rocblas_symv_kernel_lower_double_buffered_non_diagonal_genericILi32ELi4ELi4E24rocblas_internal_val_ptrIdEPKdPdEvbiT2_lT3_lllS6_lllT4_lllii
                                        ; -- End function
	.set _ZL62rocblas_symv_kernel_lower_double_buffered_non_diagonal_genericILi32ELi4ELi4E24rocblas_internal_val_ptrIdEPKdPdEvbiT2_lT3_lllS6_lllT4_lllii.num_vgpr, 86
	.set _ZL62rocblas_symv_kernel_lower_double_buffered_non_diagonal_genericILi32ELi4ELi4E24rocblas_internal_val_ptrIdEPKdPdEvbiT2_lT3_lllS6_lllT4_lllii.num_agpr, 0
	.set _ZL62rocblas_symv_kernel_lower_double_buffered_non_diagonal_genericILi32ELi4ELi4E24rocblas_internal_val_ptrIdEPKdPdEvbiT2_lT3_lllS6_lllT4_lllii.numbered_sgpr, 62
	.set _ZL62rocblas_symv_kernel_lower_double_buffered_non_diagonal_genericILi32ELi4ELi4E24rocblas_internal_val_ptrIdEPKdPdEvbiT2_lT3_lllS6_lllT4_lllii.num_named_barrier, 0
	.set _ZL62rocblas_symv_kernel_lower_double_buffered_non_diagonal_genericILi32ELi4ELi4E24rocblas_internal_val_ptrIdEPKdPdEvbiT2_lT3_lllS6_lllT4_lllii.private_seg_size, 0
	.set _ZL62rocblas_symv_kernel_lower_double_buffered_non_diagonal_genericILi32ELi4ELi4E24rocblas_internal_val_ptrIdEPKdPdEvbiT2_lT3_lllS6_lllT4_lllii.uses_vcc, 1
	.set _ZL62rocblas_symv_kernel_lower_double_buffered_non_diagonal_genericILi32ELi4ELi4E24rocblas_internal_val_ptrIdEPKdPdEvbiT2_lT3_lllS6_lllT4_lllii.uses_flat_scratch, 0
	.set _ZL62rocblas_symv_kernel_lower_double_buffered_non_diagonal_genericILi32ELi4ELi4E24rocblas_internal_val_ptrIdEPKdPdEvbiT2_lT3_lllS6_lllT4_lllii.has_dyn_sized_stack, 0
	.set _ZL62rocblas_symv_kernel_lower_double_buffered_non_diagonal_genericILi32ELi4ELi4E24rocblas_internal_val_ptrIdEPKdPdEvbiT2_lT3_lllS6_lllT4_lllii.has_recursion, 0
	.set _ZL62rocblas_symv_kernel_lower_double_buffered_non_diagonal_genericILi32ELi4ELi4E24rocblas_internal_val_ptrIdEPKdPdEvbiT2_lT3_lllS6_lllT4_lllii.has_indirect_call, 0
	.section	.AMDGPU.csdata,"",@progbits
; Kernel info:
; codeLenInByte = 4792
; TotalNumSgprs: 64
; NumVgprs: 86
; ScratchSize: 0
; MemoryBound: 0
; FloatMode: 240
; IeeeMode: 1
; LDSByteSize: 7424 bytes/workgroup (compile time only)
; SGPRBlocks: 0
; VGPRBlocks: 10
; NumSGPRsForWavesPerEU: 64
; NumVGPRsForWavesPerEU: 86
; Occupancy: 16
; WaveLimiterHint : 1
; COMPUTE_PGM_RSRC2:SCRATCH_EN: 0
; COMPUTE_PGM_RSRC2:USER_SGPR: 4
; COMPUTE_PGM_RSRC2:TRAP_HANDLER: 0
; COMPUTE_PGM_RSRC2:TGID_X_EN: 1
; COMPUTE_PGM_RSRC2:TGID_Y_EN: 1
; COMPUTE_PGM_RSRC2:TGID_Z_EN: 1
; COMPUTE_PGM_RSRC2:TIDIG_COMP_CNT: 2
	.section	.text._ZL26rocblas_hemvn_kernel_lowerILb0ELi64ELi4ELi33ELi32ELi16ElPKdS1_PdEviT6_lT7_lT5_lS4_lS5_lS3_lT8_i,"axG",@progbits,_ZL26rocblas_hemvn_kernel_lowerILb0ELi64ELi4ELi33ELi32ELi16ElPKdS1_PdEviT6_lT7_lT5_lS4_lS5_lS3_lT8_i,comdat
	.globl	_ZL26rocblas_hemvn_kernel_lowerILb0ELi64ELi4ELi33ELi32ELi16ElPKdS1_PdEviT6_lT7_lT5_lS4_lS5_lS3_lT8_i ; -- Begin function _ZL26rocblas_hemvn_kernel_lowerILb0ELi64ELi4ELi33ELi32ELi16ElPKdS1_PdEviT6_lT7_lT5_lS4_lS5_lS3_lT8_i
	.p2align	8
	.type	_ZL26rocblas_hemvn_kernel_lowerILb0ELi64ELi4ELi33ELi32ELi16ElPKdS1_PdEviT6_lT7_lT5_lS4_lS5_lS3_lT8_i,@function
_ZL26rocblas_hemvn_kernel_lowerILb0ELi64ELi4ELi33ELi32ELi16ElPKdS1_PdEviT6_lT7_lT5_lS4_lS5_lS3_lT8_i: ; @_ZL26rocblas_hemvn_kernel_lowerILb0ELi64ELi4ELi33ELi32ELi16ElPKdS1_PdEviT6_lT7_lT5_lS4_lS5_lS3_lT8_i
; %bb.0:
	s_clause 0x1
	s_load_b64 s[2:3], s[0:1], 0x84
	s_load_b32 s33, s[0:1], 0x70
	s_lshr_b32 s28, ttmp7, 16
	s_wait_kmcnt 0x0
	s_lshr_b32 s4, s2, 16
	s_and_b32 s2, s2, 0xffff
	s_and_b32 s3, s3, 0xffff
	s_mul_i32 s2, s4, s2
	s_delay_alu instid0(SALU_CYCLE_1) | instskip(NEXT) | instid1(SALU_CYCLE_1)
	s_mul_i32 s2, s2, s3
	s_cmp_lg_u32 s2, 0x100
	s_cselect_b32 s2, -1, 0
	s_cmp_ge_u32 s28, s33
	s_cselect_b32 s3, -1, 0
	s_delay_alu instid0(SALU_CYCLE_1) | instskip(NEXT) | instid1(SALU_CYCLE_1)
	s_or_b32 s2, s2, s3
	s_and_b32 vcc_lo, exec_lo, s2
	s_cbranch_vccnz .LBB106_79
; %bb.1:
	s_clause 0x2
	s_load_b256 s[20:27], s[0:1], 0x48
	s_load_b32 s2, s[0:1], 0x0
	s_load_b512 s[36:51], s[0:1], 0x8
	v_dual_mov_b32 v33, 0 :: v_dual_and_b32 v80, 0x3ff, v0
	s_lshl_b32 s18, ttmp9, 6
	v_bfe_u32 v11, v0, 10, 10
	s_add_nc_u64 s[6:7], s[0:1], 0x78
	s_delay_alu instid0(VALU_DEP_2)
	v_add_nc_u32_e32 v1, s18, v80
	s_load_b64 s[4:5], s[0:1], 0x68
	s_load_b32 s30, s[6:7], 0x0
	v_and_b32_e32 v32, 31, v0
	v_lshl_add_u32 v12, v11, 6, v80
	s_mov_b32 s31, 0
	v_ashrrev_i32_e32 v2, 31, v1
	v_lshl_add_u32 v94, v11, 5, 0x2180
	v_lshlrev_b32_e32 v13, 3, v32
	v_lshrrev_b32_e32 v10, 5, v12
	v_and_b32_e32 v16, 0x7fe0, v12
	v_mul_u32_u24_e32 v20, 33, v32
	v_cmp_gt_u32_e64 s10, 32, v12
	s_wait_kmcnt 0x0
	v_mul_lo_u32 v7, s20, v2
	v_mul_lo_u32 v8, s21, v1
	v_mad_co_u64_u32 v[3:4], null, s20, v1, 0
	v_mad_co_u64_u32 v[5:6], null, s44, v10, v[32:33]
	s_lshl_b64 s[0:1], s[50:51], 3
	s_ashr_i32 s3, s2, 31
	s_add_nc_u64 s[0:1], s[48:49], s[0:1]
	s_lshr_b32 s8, s3, 26
	v_add3_u32 v4, v4, v7, v8
	s_add_co_i32 s8, s2, s8
	s_add_co_i32 s9, s30, -1
	s_and_not1_b32 s8, s8, 63
	s_lshl_b64 s[6:7], s[42:43], 3
	v_lshlrev_b64_e32 v[3:4], 3, v[3:4]
	s_sub_co_i32 s8, s2, s8
	s_cmp_eq_u32 ttmp9, s9
	v_lshlrev_b32_e32 v9, 2, v10
	s_cselect_b32 s34, s8, 0
	s_mul_i32 s8, s2, ttmp9
	v_add_co_u32 v81, vcc_lo, s0, v3
	s_delay_alu instid0(VALU_DEP_1)
	v_add_co_ci_u32_e64 v82, null, s1, v4, vcc_lo
	v_mad_co_u64_u32 v[3:4], null, s45, v10, v[6:7]
	s_cmp_eq_u32 s34, 0
	s_add_nc_u64 s[6:7], s[40:41], s[6:7]
	s_cselect_b32 s1, -1, 0
	s_ashr_i32 s9, s8, 31
	s_ashr_i32 s19, s18, 31
	v_cmp_gt_i32_e32 vcc_lo, s34, v80
	v_mov_b32_e32 v6, v3
	s_mul_u64 s[40:41], s[30:31], s[2:3]
	s_lshl_b64 s[2:3], s[8:9], 3
	s_wait_alu 0xfffe
	s_lshl_b64 s[8:9], s[18:19], 3
	s_add_nc_u64 s[42:43], s[4:5], s[2:3]
	v_lshlrev_b64_e32 v[6:7], 3, v[5:6]
	s_add_nc_u64 s[2:3], s[6:7], s[8:9]
	v_lshl_or_b32 v88, v32, 8, v13
	v_or_b32_e32 v17, 1, v9
	v_cmp_lt_u32_e64 s6, v9, v32
	v_or_b32_e32 v19, 2, v9
	v_or_b32_e32 v9, 3, v9
	s_or_b32 s94, s1, vcc_lo
	s_mul_u64 s[56:57], s[44:45], s[18:19]
	v_add_co_u32 v4, vcc_lo, s2, v6
	s_wait_alu 0xfffd
	v_add_co_ci_u32_e64 v6, null, s3, v7, vcc_lo
	s_lshl_b64 s[2:3], s[56:57], 3
	v_add_nc_u32_e32 v8, 16, v10
	v_add_nc_u32_e32 v89, v88, v16
	v_cmp_lt_u32_e64 s9, v9, v32
	v_add_nc_u32_e32 v90, 0x2380, v16
	v_or_b32_e32 v9, 32, v32
	v_lshlrev_b32_e32 v16, 2, v11
	s_cmp_lg_u32 s34, 0
	v_cmp_gt_i32_e64 s4, s34, v8
	s_cselect_b32 s17, -1, 0
	s_sub_co_i32 s15, s34, 32
	v_cmp_gt_i32_e64 s11, s34, v9
	v_cmp_gt_i32_e64 s14, s15, v8
	v_mad_co_u64_u32 v[8:9], null, s44, v16, 0
	s_wait_alu 0xfffe
	v_add_co_u32 v86, vcc_lo, v4, s2
	v_add_nc_u32_e32 v4, 8, v10
	v_lshlrev_b32_e32 v21, 3, v10
	v_lshlrev_b32_e32 v83, 3, v80
	s_wait_alu 0xfffd
	v_add_co_ci_u32_e64 v87, null, s3, v6, vcc_lo
	v_cmp_gt_i32_e64 s3, s34, v4
	v_add_nc_u32_e32 v15, 24, v10
	v_lshl_add_u32 v91, v20, 3, v21
	v_cmp_gt_i32_e64 s13, s15, v4
	v_mov_b32_e32 v4, v9
	v_sub_co_u32 v6, s2, 0, v32
	v_cmp_le_i32_e32 vcc_lo, s34, v80
	v_mul_u32_u24_e32 v14, 0x108, v10
	s_wait_alu 0xf1ff
	v_sub_co_ci_u32_e64 v7, null, 0, 0, s2
	v_cmp_gt_i32_e64 s2, s34, v10
	v_cmp_gt_i32_e64 s5, s34, v15
	v_mul_u32_u24_e32 v18, 0x420, v10
	v_cmp_gt_i32_e64 s12, s15, v10
	v_cmp_gt_i32_e64 s15, s15, v15
	v_cmp_eq_u32_e64 s16, 1, v10
	v_mul_i32_i24_e32 v15, 0xffffffe8, v10
	v_mad_u32_u24 v92, v10, 24, v91
	v_mad_co_u64_u32 v[9:10], null, s45, v16, v[4:5]
	v_lshrrev_b32_e32 v10, 4, v12
	s_and_b32 s17, s17, vcc_lo
	v_sub_co_u32 v4, vcc_lo, 0, v5
	v_and_b32_e32 v16, 15, v0
	s_wait_alu 0xfffd
	v_sub_co_ci_u32_e64 v5, null, 0, v3, vcc_lo
	v_and_b32_e32 v0, 48, v0
	v_lshlrev_b32_e32 v3, 5, v10
	v_cmp_lt_u32_e64 s7, v17, v32
	v_mul_u32_u24_e32 v17, 0x108, v17
	v_cmp_lt_u32_e64 s8, v19, v32
	v_mad_u32_u24 v95, 0x860, v11, v83
	v_lshlrev_b32_e32 v0, 3, v0
	v_or_b32_e32 v19, 0x78, v83
	v_mad_u32_u24 v96, 0x218, v16, v3
	v_mul_i32_i24_e32 v3, 0xffffffe8, v10
	v_cmp_eq_u32_e64 s0, 0, v11
	s_mul_u64 s[18:19], s[20:21], s[18:19]
	s_lshl_b64 s[54:55], s[44:45], 5
	v_lshlrev_b64_e32 v[34:35], 3, v[6:7]
	v_lshlrev_b64_e32 v[36:37], 3, v[4:5]
	;; [unrolled: 1-line block ×4, first 2 shown]
	v_cndmask_b32_e64 v84, 0, 1, s1
	v_add_nc_u32_e32 v85, 0x2380, v83
	s_lshl_b64 s[48:49], s[44:45], 6
	s_lshl_b64 s[50:51], s[44:45], 7
	v_cmp_gt_i32_e64 s1, s34, v32
	s_ashr_i32 s35, s34, 31
	s_xor_b32 s29, s17, -1
	s_wait_alu 0xfffe
	s_sub_nc_u64 s[88:89], 0, s[18:19]
	v_add_nc_u32_e32 v93, 0x2180, v83
	v_cmp_gt_u32_e64 s18, 64, v12
	v_mad_u32_u24 v97, 0x218, v16, v0
	v_mad_u32_u24 v98, 0x218, v16, v19
	v_mad_i32_i24 v99, 0xfffff9b8, v11, v95
	v_add_nc_u32_e32 v100, 0x2380, v21
	v_add_nc_u32_e32 v101, v13, v14
	;; [unrolled: 1-line block ×6, first 2 shown]
	v_lshlrev_b32_e32 v106, 3, v32
	s_sub_nc_u64 s[86:87], 0, s[54:55]
	s_cmp_gt_i32 ttmp9, 0
	s_sub_nc_u64 s[90:91], 0, s[56:57]
	s_mul_u64 s[52:53], s[44:45], 0xc0
	s_cselect_b32 s95, -1, 0
	s_and_b32 s96, s0, s29
	s_sub_nc_u64 s[56:57], 0, s[34:35]
	s_lshl_b64 s[58:59], s[44:45], 3
	s_lshl_b64 s[60:61], s[44:45], 9
	;; [unrolled: 1-line block ×3, first 2 shown]
	s_mul_u64 s[64:65], s[44:45], 24
	s_mul_u64 s[66:67], s[44:45], 0x90
	;; [unrolled: 1-line block ×10, first 2 shown]
	s_lshl_b64 s[84:85], s[44:45], 8
	s_mul_u64 s[44:45], s[44:45], 0x88
	s_lshl_b64 s[86:87], s[86:87], 3
	s_lshl_b64 s[88:89], s[88:89], 3
	;; [unrolled: 1-line block ×3, first 2 shown]
	s_branch .LBB106_4
.LBB106_2:                              ;   in Loop: Header=BB106_4 Depth=1
	s_wait_alu 0xfffe
	s_or_b32 exec_lo, exec_lo, s19
.LBB106_3:                              ;   in Loop: Header=BB106_4 Depth=1
	s_add_co_i32 s28, s28, 0x10000
	s_delay_alu instid0(SALU_CYCLE_1)
	s_cmp_lt_u32 s28, s33
	s_cbranch_scc0 .LBB106_79
.LBB106_4:                              ; =>This Loop Header: Depth=1
                                        ;     Child Loop BB106_67 Depth 2
	s_mov_b32 s29, s31
	s_delay_alu instid0(SALU_CYCLE_1)
	s_mul_u64 s[92:93], s[38:39], s[28:29]
	s_mul_u64 s[98:99], s[26:27], s[28:29]
	s_wait_alu 0xfffe
	s_lshl_b64 s[92:93], s[92:93], 3
	s_lshl_b64 s[98:99], s[98:99], 3
	s_wait_alu 0xfffe
	s_add_nc_u64 s[92:93], s[36:37], s[92:93]
	s_add_nc_u64 s[98:99], s[24:25], s[98:99]
	s_clause 0x1
	global_load_b64 v[0:1], v33, s[92:93]
	global_load_b64 v[2:3], v33, s[98:99]
	s_wait_loadcnt 0x1
	v_cmp_eq_f64_e64 s19, 0, v[0:1]
	s_wait_loadcnt 0x0
	v_cmp_eq_f64_e32 vcc_lo, 1.0, v[2:3]
	s_and_b32 s30, s19, vcc_lo
	s_wait_alu 0xfffe
	s_and_b32 vcc_lo, exec_lo, s30
	s_wait_alu 0xfffe
	s_cbranch_vccnz .LBB106_3
; %bb.5:                                ;   in Loop: Header=BB106_4 Depth=1
	s_and_b32 vcc_lo, exec_lo, s19
	s_wait_alu 0xfffe
	s_cbranch_vccnz .LBB106_3
; %bb.6:                                ;   in Loop: Header=BB106_4 Depth=1
	s_mul_u64 s[92:93], s[22:23], s[28:29]
	s_wait_alu 0xfffe
	s_lshl_b64 s[92:93], s[92:93], 3
	s_wait_alu 0xfffe
	v_add_co_u32 v16, vcc_lo, v81, s92
	s_wait_alu 0xfffd
	v_add_co_ci_u32_e64 v17, null, s93, v82, vcc_lo
	s_and_saveexec_b32 s19, s0
	s_cbranch_execz .LBB106_10
; %bb.7:                                ;   in Loop: Header=BB106_4 Depth=1
	v_mov_b32_e32 v0, 0
	v_mov_b32_e32 v1, 0
	s_and_saveexec_b32 s30, s94
	s_cbranch_execz .LBB106_9
; %bb.8:                                ;   in Loop: Header=BB106_4 Depth=1
	global_load_b64 v[0:1], v[16:17], off
.LBB106_9:                              ;   in Loop: Header=BB106_4 Depth=1
	s_wait_alu 0xfffe
	s_or_b32 exec_lo, exec_lo, s30
	s_wait_loadcnt 0x0
	ds_store_b64 v85, v[0:1]
.LBB106_10:                             ;   in Loop: Header=BB106_4 Depth=1
	s_wait_alu 0xfffe
	s_or_b32 exec_lo, exec_lo, s19
	s_mul_u64 s[92:93], s[46:47], s[28:29]
	v_cmp_ne_u32_e32 vcc_lo, 1, v84
	s_wait_alu 0xfffe
	s_lshl_b64 s[92:93], s[92:93], 3
	s_wait_alu 0xfffe
	v_add_co_u32 v0, s19, v86, s92
	s_wait_alu 0xf1ff
	v_add_co_ci_u32_e64 v1, null, s93, v87, s19
	s_mov_b32 s19, -1
	s_cbranch_vccnz .LBB106_12
; %bb.11:                               ;   in Loop: Header=BB106_4 Depth=1
	v_add_co_u32 v2, vcc_lo, v0, s48
	s_wait_alu 0xfffd
	v_add_co_ci_u32_e64 v3, null, s49, v1, vcc_lo
	s_mov_b32 s19, 0
	v_add_co_u32 v4, vcc_lo, v2, s48
	s_wait_alu 0xfffd
	v_add_co_ci_u32_e64 v5, null, s49, v3, vcc_lo
	s_delay_alu instid0(VALU_DEP_2) | instskip(SKIP_1) | instid1(VALU_DEP_2)
	v_add_co_u32 v6, vcc_lo, v4, s48
	s_wait_alu 0xfffd
	v_add_co_ci_u32_e64 v7, null, s49, v5, vcc_lo
	s_clause 0x3
	global_load_b64 v[8:9], v[0:1], off
	global_load_b64 v[2:3], v[2:3], off
	;; [unrolled: 1-line block ×4, first 2 shown]
	s_wait_loadcnt 0x3
	ds_store_b64 v101, v[8:9]
	s_wait_loadcnt 0x2
	ds_store_b64 v101, v[2:3] offset:2112
	s_wait_loadcnt 0x1
	ds_store_b64 v101, v[4:5] offset:4224
	;; [unrolled: 2-line block ×3, first 2 shown]
.LBB106_12:                             ;   in Loop: Header=BB106_4 Depth=1
	s_wait_alu 0xfffe
	s_and_not1_b32 vcc_lo, exec_lo, s19
	s_wait_alu 0xfffe
	s_cbranch_vccnz .LBB106_22
; %bb.13:                               ;   in Loop: Header=BB106_4 Depth=1
	v_add_co_u32 v2, vcc_lo, v0, v34
	s_wait_alu 0xfffd
	v_add_co_ci_u32_e64 v3, null, v1, v35, vcc_lo
	s_lshl_b64 s[92:93], s[34:35], 3
	v_mov_b32_e32 v6, 0
	s_wait_alu 0xfffe
	v_add_co_u32 v2, vcc_lo, v2, s92
	s_wait_alu 0xfffd
	v_add_co_ci_u32_e64 v3, null, s93, v3, vcc_lo
	v_dual_mov_b32 v7, 0 :: v_dual_mov_b32 v4, 0
	s_delay_alu instid0(VALU_DEP_3) | instskip(SKIP_1) | instid1(VALU_DEP_3)
	v_add_co_u32 v2, vcc_lo, v2, -8
	s_wait_alu 0xfffd
	v_add_co_ci_u32_e64 v3, null, -1, v3, vcc_lo
	v_mov_b32_e32 v5, 0
	s_delay_alu instid0(VALU_DEP_3) | instskip(NEXT) | instid1(VALU_DEP_3)
	v_cndmask_b32_e64 v2, v2, v0, s1
	v_cndmask_b32_e64 v3, v3, v1, s1
	s_and_saveexec_b32 s19, s2
	s_cbranch_execz .LBB106_15
; %bb.14:                               ;   in Loop: Header=BB106_4 Depth=1
	global_load_b64 v[4:5], v[2:3], off
.LBB106_15:                             ;   in Loop: Header=BB106_4 Depth=1
	s_wait_alu 0xfffe
	s_or_b32 exec_lo, exec_lo, s19
	s_wait_loadcnt 0x0
	ds_store_b64 v101, v[4:5]
	s_and_saveexec_b32 s19, s3
	s_cbranch_execz .LBB106_17
; %bb.16:                               ;   in Loop: Header=BB106_4 Depth=1
	v_add_co_u32 v4, vcc_lo, v2, s48
	s_wait_alu 0xfffd
	v_add_co_ci_u32_e64 v5, null, s49, v3, vcc_lo
	global_load_b64 v[6:7], v[4:5], off
.LBB106_17:                             ;   in Loop: Header=BB106_4 Depth=1
	s_wait_alu 0xfffe
	s_or_b32 exec_lo, exec_lo, s19
	v_mov_b32_e32 v4, 0
	v_dual_mov_b32 v5, 0 :: v_dual_mov_b32 v8, 0
	v_mov_b32_e32 v9, 0
	s_wait_loadcnt 0x0
	ds_store_b64 v101, v[6:7] offset:2112
	s_and_saveexec_b32 s19, s4
	s_cbranch_execz .LBB106_19
; %bb.18:                               ;   in Loop: Header=BB106_4 Depth=1
	v_add_co_u32 v6, vcc_lo, v2, s50
	s_wait_alu 0xfffd
	v_add_co_ci_u32_e64 v7, null, s51, v3, vcc_lo
	global_load_b64 v[8:9], v[6:7], off
.LBB106_19:                             ;   in Loop: Header=BB106_4 Depth=1
	s_wait_alu 0xfffe
	s_or_b32 exec_lo, exec_lo, s19
	s_wait_loadcnt 0x0
	ds_store_b64 v101, v[8:9] offset:4224
	s_and_saveexec_b32 s19, s5
	s_cbranch_execz .LBB106_21
; %bb.20:                               ;   in Loop: Header=BB106_4 Depth=1
	v_add_co_u32 v4, vcc_lo, v2, s52
	s_wait_alu 0xfffd
	v_add_co_ci_u32_e64 v5, null, s53, v3, vcc_lo
	global_load_b64 v[4:5], v[4:5], off
.LBB106_21:                             ;   in Loop: Header=BB106_4 Depth=1
	s_wait_alu 0xfffe
	s_or_b32 exec_lo, exec_lo, s19
	v_add_co_u32 v2, vcc_lo, v2, v106
	s_wait_alu 0xfffd
	v_add_co_ci_u32_e64 v3, null, 0, v3, vcc_lo
	s_lshl_b64 s[92:93], s[56:57], 3
	s_wait_loadcnt 0x0
	ds_store_b64 v101, v[4:5] offset:6336
	s_wait_alu 0xfffe
	v_add_co_u32 v2, vcc_lo, v2, s92
	s_wait_alu 0xfffd
	v_add_co_ci_u32_e64 v3, null, s93, v3, vcc_lo
	s_delay_alu instid0(VALU_DEP_2) | instskip(SKIP_1) | instid1(VALU_DEP_2)
	v_add_co_u32 v2, vcc_lo, v2, 8
	s_wait_alu 0xfffd
	v_add_co_ci_u32_e64 v3, null, 0, v3, vcc_lo
	s_delay_alu instid0(VALU_DEP_2) | instskip(NEXT) | instid1(VALU_DEP_2)
	v_cndmask_b32_e64 v0, v2, v0, s1
	v_cndmask_b32_e64 v1, v3, v1, s1
.LBB106_22:                             ;   in Loop: Header=BB106_4 Depth=1
	s_wait_dscnt 0x0
	s_barrier_signal -1
	s_barrier_wait -1
	global_inv scope:SCOPE_SE
	s_and_saveexec_b32 s19, s6
	s_cbranch_execnz .LBB106_73
; %bb.23:                               ;   in Loop: Header=BB106_4 Depth=1
	s_wait_alu 0xfffe
	s_or_b32 exec_lo, exec_lo, s19
	s_and_saveexec_b32 s19, s7
	s_cbranch_execnz .LBB106_74
.LBB106_24:                             ;   in Loop: Header=BB106_4 Depth=1
	s_wait_alu 0xfffe
	s_or_b32 exec_lo, exec_lo, s19
	s_and_saveexec_b32 s19, s8
	s_cbranch_execnz .LBB106_75
.LBB106_25:                             ;   in Loop: Header=BB106_4 Depth=1
	s_wait_alu 0xfffe
	s_or_b32 exec_lo, exec_lo, s19
	s_and_saveexec_b32 s19, s9
	s_cbranch_execz .LBB106_27
.LBB106_26:                             ;   in Loop: Header=BB106_4 Depth=1
	ds_load_b64 v[2:3], v103 offset:528
	s_wait_dscnt 0x0
	ds_store_b64 v89, v[2:3] offset:24
.LBB106_27:                             ;   in Loop: Header=BB106_4 Depth=1
	s_wait_alu 0xfffe
	s_or_b32 exec_lo, exec_lo, s19
	s_wait_loadcnt_dscnt 0x0
	s_barrier_signal -1
	s_barrier_wait -1
	global_inv scope:SCOPE_SE
	ds_load_b64 v[10:11], v102
	ds_load_b128 v[2:5], v90
	ds_load_b128 v[6:9], v90 offset:16
	ds_load_b64 v[14:15], v103 offset:528
	v_mov_b32_e32 v42, 0
	v_mov_b32_e32 v43, 0
	s_wait_dscnt 0x2
	v_fma_f64 v[2:3], v[10:11], v[2:3], 0
	ds_load_2addr_b64 v[10:13], v103 offset1:33
	s_wait_loadcnt_dscnt 0x0
	s_barrier_signal -1
	s_barrier_wait -1
	global_inv scope:SCOPE_SE
	v_fma_f64 v[2:3], v[10:11], v[4:5], v[2:3]
	s_delay_alu instid0(VALU_DEP_1) | instskip(NEXT) | instid1(VALU_DEP_1)
	v_fma_f64 v[2:3], v[12:13], v[6:7], v[2:3]
	v_fma_f64 v[2:3], v[14:15], v[8:9], v[2:3]
	ds_store_b64 v91, v[2:3]
	s_wait_loadcnt_dscnt 0x0
	s_barrier_signal -1
	s_barrier_wait -1
	global_inv scope:SCOPE_SE
	s_and_saveexec_b32 s19, s10
	s_cbranch_execz .LBB106_29
; %bb.28:                               ;   in Loop: Header=BB106_4 Depth=1
	ds_load_2addr_b64 v[2:5], v88 offset1:1
	ds_load_2addr_b64 v[6:9], v88 offset0:2 offset1:3
	s_wait_dscnt 0x1
	v_add_f64_e32 v[2:3], v[2:3], v[4:5]
	s_wait_dscnt 0x0
	s_delay_alu instid0(VALU_DEP_1) | instskip(NEXT) | instid1(VALU_DEP_1)
	v_add_f64_e32 v[2:3], v[2:3], v[6:7]
	v_add_f64_e32 v[10:11], v[2:3], v[8:9]
	ds_load_2addr_b64 v[2:5], v88 offset0:4 offset1:5
	ds_load_2addr_b64 v[6:9], v88 offset0:6 offset1:7
	s_wait_dscnt 0x1
	v_add_f64_e32 v[2:3], v[10:11], v[2:3]
	s_delay_alu instid0(VALU_DEP_1) | instskip(SKIP_1) | instid1(VALU_DEP_1)
	v_add_f64_e32 v[2:3], v[2:3], v[4:5]
	s_wait_dscnt 0x0
	v_add_f64_e32 v[2:3], v[2:3], v[6:7]
	s_delay_alu instid0(VALU_DEP_1)
	v_add_f64_e32 v[42:43], v[2:3], v[8:9]
.LBB106_29:                             ;   in Loop: Header=BB106_4 Depth=1
	s_wait_alu 0xfffe
	s_or_b32 exec_lo, exec_lo, s19
	s_lshl_b64 s[92:93], s[54:55], 3
	v_cmp_ne_u32_e32 vcc_lo, 1, v84
	s_wait_alu 0xfffe
	v_add_co_u32 v0, s19, v0, s92
	s_wait_alu 0xf1ff
	v_add_co_ci_u32_e64 v1, null, s93, v1, s19
	s_and_b32 vcc_lo, exec_lo, vcc_lo
	s_mov_b32 s19, -1
	s_wait_loadcnt 0x0
	s_barrier_signal -1
	s_barrier_wait -1
	global_inv scope:SCOPE_SE
	s_wait_alu 0xfffe
	s_cbranch_vccnz .LBB106_31
; %bb.30:                               ;   in Loop: Header=BB106_4 Depth=1
	v_add_co_u32 v2, vcc_lo, v0, s48
	s_wait_alu 0xfffd
	v_add_co_ci_u32_e64 v3, null, s49, v1, vcc_lo
	s_mov_b32 s19, 0
	v_add_co_u32 v4, vcc_lo, v2, s48
	s_wait_alu 0xfffd
	v_add_co_ci_u32_e64 v5, null, s49, v3, vcc_lo
	s_delay_alu instid0(VALU_DEP_2) | instskip(SKIP_1) | instid1(VALU_DEP_2)
	v_add_co_u32 v6, vcc_lo, v4, s48
	s_wait_alu 0xfffd
	v_add_co_ci_u32_e64 v7, null, s49, v5, vcc_lo
	s_clause 0x3
	global_load_b64 v[8:9], v[0:1], off offset:256
	global_load_b64 v[2:3], v[2:3], off offset:256
	;; [unrolled: 1-line block ×4, first 2 shown]
	s_wait_loadcnt 0x3
	ds_store_b64 v101, v[8:9]
	s_wait_loadcnt 0x2
	ds_store_b64 v101, v[2:3] offset:2112
	s_wait_loadcnt 0x1
	ds_store_b64 v101, v[4:5] offset:4224
	;; [unrolled: 2-line block ×3, first 2 shown]
.LBB106_31:                             ;   in Loop: Header=BB106_4 Depth=1
	v_add_co_u32 v8, vcc_lo, 0x100, v0
	s_wait_alu 0xfffd
	v_add_co_ci_u32_e64 v9, null, 0, v1, vcc_lo
	s_wait_alu 0xfffe
	s_and_not1_b32 vcc_lo, exec_lo, s19
	s_wait_alu 0xfffe
	s_cbranch_vccnz .LBB106_41
; %bb.32:                               ;   in Loop: Header=BB106_4 Depth=1
	v_add_co_u32 v0, vcc_lo, v0, v34
	s_wait_alu 0xfffd
	v_add_co_ci_u32_e64 v1, null, v1, v35, vcc_lo
	s_lshl_b64 s[92:93], s[34:35], 3
	v_mov_b32_e32 v4, 0
	s_wait_alu 0xfffe
	v_add_co_u32 v0, vcc_lo, v0, s92
	s_wait_alu 0xfffd
	v_add_co_ci_u32_e64 v1, null, s93, v1, vcc_lo
	v_dual_mov_b32 v5, 0 :: v_dual_mov_b32 v2, 0
	s_delay_alu instid0(VALU_DEP_3) | instskip(SKIP_1) | instid1(VALU_DEP_3)
	v_add_co_u32 v0, vcc_lo, v0, -8
	s_wait_alu 0xfffd
	v_add_co_ci_u32_e64 v1, null, -1, v1, vcc_lo
	v_mov_b32_e32 v3, 0
	s_delay_alu instid0(VALU_DEP_3) | instskip(NEXT) | instid1(VALU_DEP_3)
	v_cndmask_b32_e64 v0, v0, v8, s11
	v_cndmask_b32_e64 v1, v1, v9, s11
	s_and_saveexec_b32 s19, s12
	s_cbranch_execz .LBB106_34
; %bb.33:                               ;   in Loop: Header=BB106_4 Depth=1
	global_load_b64 v[2:3], v[0:1], off
.LBB106_34:                             ;   in Loop: Header=BB106_4 Depth=1
	s_wait_alu 0xfffe
	s_or_b32 exec_lo, exec_lo, s19
	s_wait_loadcnt 0x0
	ds_store_b64 v101, v[2:3]
	s_and_saveexec_b32 s19, s13
	s_cbranch_execz .LBB106_36
; %bb.35:                               ;   in Loop: Header=BB106_4 Depth=1
	v_add_co_u32 v2, vcc_lo, v0, s48
	s_wait_alu 0xfffd
	v_add_co_ci_u32_e64 v3, null, s49, v1, vcc_lo
	global_load_b64 v[4:5], v[2:3], off
.LBB106_36:                             ;   in Loop: Header=BB106_4 Depth=1
	s_wait_alu 0xfffe
	s_or_b32 exec_lo, exec_lo, s19
	v_mov_b32_e32 v2, 0
	v_dual_mov_b32 v3, 0 :: v_dual_mov_b32 v6, 0
	v_mov_b32_e32 v7, 0
	s_wait_loadcnt 0x0
	ds_store_b64 v101, v[4:5] offset:2112
	s_and_saveexec_b32 s19, s14
	s_cbranch_execz .LBB106_38
; %bb.37:                               ;   in Loop: Header=BB106_4 Depth=1
	v_add_co_u32 v4, vcc_lo, v0, s50
	s_wait_alu 0xfffd
	v_add_co_ci_u32_e64 v5, null, s51, v1, vcc_lo
	global_load_b64 v[6:7], v[4:5], off
.LBB106_38:                             ;   in Loop: Header=BB106_4 Depth=1
	s_wait_alu 0xfffe
	s_or_b32 exec_lo, exec_lo, s19
	s_wait_loadcnt 0x0
	ds_store_b64 v101, v[6:7] offset:4224
	s_and_saveexec_b32 s19, s15
	s_cbranch_execz .LBB106_40
; %bb.39:                               ;   in Loop: Header=BB106_4 Depth=1
	v_add_co_u32 v2, vcc_lo, v0, s52
	s_wait_alu 0xfffd
	v_add_co_ci_u32_e64 v3, null, s53, v1, vcc_lo
	global_load_b64 v[2:3], v[2:3], off
.LBB106_40:                             ;   in Loop: Header=BB106_4 Depth=1
	s_wait_alu 0xfffe
	s_or_b32 exec_lo, exec_lo, s19
	v_add_co_u32 v0, vcc_lo, v0, v106
	s_wait_alu 0xfffd
	v_add_co_ci_u32_e64 v1, null, 0, v1, vcc_lo
	s_lshl_b64 s[92:93], s[56:57], 3
	s_wait_loadcnt 0x0
	ds_store_b64 v101, v[2:3] offset:6336
	s_wait_alu 0xfffe
	v_add_co_u32 v0, vcc_lo, v0, s92
	s_wait_alu 0xfffd
	v_add_co_ci_u32_e64 v1, null, s93, v1, vcc_lo
	s_delay_alu instid0(VALU_DEP_2) | instskip(SKIP_1) | instid1(VALU_DEP_2)
	v_add_co_u32 v0, vcc_lo, 0x108, v0
	s_wait_alu 0xfffd
	v_add_co_ci_u32_e64 v1, null, 0, v1, vcc_lo
	s_delay_alu instid0(VALU_DEP_2) | instskip(NEXT) | instid1(VALU_DEP_2)
	v_cndmask_b32_e64 v8, v0, v8, s11
	v_cndmask_b32_e64 v9, v1, v9, s11
.LBB106_41:                             ;   in Loop: Header=BB106_4 Depth=1
	s_wait_loadcnt_dscnt 0x0
	s_barrier_signal -1
	s_barrier_wait -1
	global_inv scope:SCOPE_SE
	s_and_saveexec_b32 s19, s6
	s_cbranch_execnz .LBB106_76
; %bb.42:                               ;   in Loop: Header=BB106_4 Depth=1
	s_wait_alu 0xfffe
	s_or_b32 exec_lo, exec_lo, s19
	s_and_saveexec_b32 s19, s7
	s_cbranch_execnz .LBB106_77
.LBB106_43:                             ;   in Loop: Header=BB106_4 Depth=1
	s_wait_alu 0xfffe
	s_or_b32 exec_lo, exec_lo, s19
	s_and_saveexec_b32 s19, s8
	s_cbranch_execnz .LBB106_78
.LBB106_44:                             ;   in Loop: Header=BB106_4 Depth=1
	s_wait_alu 0xfffe
	s_or_b32 exec_lo, exec_lo, s19
	s_and_saveexec_b32 s19, s9
	s_cbranch_execz .LBB106_46
.LBB106_45:                             ;   in Loop: Header=BB106_4 Depth=1
	ds_load_b64 v[0:1], v103 offset:528
	s_wait_dscnt 0x0
	ds_store_b64 v89, v[0:1] offset:24
.LBB106_46:                             ;   in Loop: Header=BB106_4 Depth=1
	s_wait_alu 0xfffe
	s_or_b32 exec_lo, exec_lo, s19
	s_wait_loadcnt_dscnt 0x0
	s_barrier_signal -1
	s_barrier_wait -1
	global_inv scope:SCOPE_SE
	ds_load_b64 v[10:11], v102
	ds_load_b128 v[0:3], v90 offset:256
	ds_load_b128 v[4:7], v90 offset:272
	ds_load_b64 v[14:15], v103 offset:528
	s_wait_dscnt 0x2
	v_fma_f64 v[0:1], v[10:11], v[0:1], 0
	ds_load_2addr_b64 v[10:13], v103 offset1:33
	s_wait_loadcnt_dscnt 0x0
	s_barrier_signal -1
	s_barrier_wait -1
	global_inv scope:SCOPE_SE
	v_fma_f64 v[0:1], v[10:11], v[2:3], v[0:1]
	s_delay_alu instid0(VALU_DEP_1) | instskip(NEXT) | instid1(VALU_DEP_1)
	v_fma_f64 v[0:1], v[12:13], v[4:5], v[0:1]
	v_fma_f64 v[0:1], v[14:15], v[6:7], v[0:1]
	ds_store_b64 v91, v[0:1]
	s_wait_loadcnt_dscnt 0x0
	s_barrier_signal -1
	s_barrier_wait -1
	global_inv scope:SCOPE_SE
	s_and_saveexec_b32 s19, s16
	s_cbranch_execz .LBB106_48
; %bb.47:                               ;   in Loop: Header=BB106_4 Depth=1
	ds_load_2addr_b64 v[0:3], v88 offset1:1
	ds_load_2addr_b64 v[4:7], v88 offset0:2 offset1:3
	s_wait_dscnt 0x1
	v_add_f64_e32 v[0:1], v[0:1], v[2:3]
	s_wait_dscnt 0x0
	s_delay_alu instid0(VALU_DEP_1) | instskip(NEXT) | instid1(VALU_DEP_1)
	v_add_f64_e32 v[0:1], v[0:1], v[4:5]
	v_add_f64_e32 v[10:11], v[0:1], v[6:7]
	ds_load_2addr_b64 v[0:3], v88 offset0:4 offset1:5
	ds_load_2addr_b64 v[4:7], v88 offset0:6 offset1:7
	s_wait_dscnt 0x1
	v_add_f64_e32 v[0:1], v[10:11], v[0:1]
	s_delay_alu instid0(VALU_DEP_1) | instskip(SKIP_1) | instid1(VALU_DEP_1)
	v_add_f64_e32 v[0:1], v[0:1], v[2:3]
	s_wait_dscnt 0x0
	v_add_f64_e32 v[0:1], v[0:1], v[4:5]
	s_delay_alu instid0(VALU_DEP_1)
	v_add_f64_e32 v[42:43], v[0:1], v[6:7]
.LBB106_48:                             ;   in Loop: Header=BB106_4 Depth=1
	s_wait_alu 0xfffe
	s_or_b32 exec_lo, exec_lo, s19
	v_cmp_ne_u32_e32 vcc_lo, 1, v84
	v_add_co_u32 v18, s19, v8, s86
	s_wait_alu 0xf1ff
	v_add_co_ci_u32_e64 v19, null, s87, v9, s19
	s_and_b32 vcc_lo, exec_lo, vcc_lo
	s_mov_b32 s19, -1
	s_wait_loadcnt 0x0
	s_barrier_signal -1
	s_barrier_wait -1
	global_inv scope:SCOPE_SE
	s_wait_alu 0xfffe
	s_cbranch_vccnz .LBB106_50
; %bb.49:                               ;   in Loop: Header=BB106_4 Depth=1
	v_add_co_u32 v0, vcc_lo, v18, s48
	s_wait_alu 0xfffd
	v_add_co_ci_u32_e64 v1, null, s49, v19, vcc_lo
	s_mov_b32 s19, 0
	v_add_co_u32 v2, vcc_lo, v0, s48
	s_wait_alu 0xfffd
	v_add_co_ci_u32_e64 v3, null, s49, v1, vcc_lo
	s_delay_alu instid0(VALU_DEP_2) | instskip(SKIP_1) | instid1(VALU_DEP_2)
	v_add_co_u32 v4, vcc_lo, v2, s48
	s_wait_alu 0xfffd
	v_add_co_ci_u32_e64 v5, null, s49, v3, vcc_lo
	s_clause 0x3
	global_load_b64 v[6:7], v[18:19], off
	global_load_b64 v[0:1], v[0:1], off
	;; [unrolled: 1-line block ×4, first 2 shown]
	s_wait_loadcnt 0x3
	ds_store_b64 v101, v[6:7]
	s_wait_loadcnt 0x2
	ds_store_b64 v101, v[0:1] offset:2112
	s_wait_loadcnt 0x1
	ds_store_b64 v101, v[2:3] offset:4224
	;; [unrolled: 2-line block ×3, first 2 shown]
.LBB106_50:                             ;   in Loop: Header=BB106_4 Depth=1
	s_wait_alu 0xfffe
	s_and_not1_b32 vcc_lo, exec_lo, s19
	s_wait_alu 0xfffe
	s_cbranch_vccnz .LBB106_60
; %bb.51:                               ;   in Loop: Header=BB106_4 Depth=1
	v_add_co_u32 v0, vcc_lo, v18, v34
	s_wait_alu 0xfffd
	v_add_co_ci_u32_e64 v1, null, v19, v35, vcc_lo
	s_lshl_b64 s[92:93], s[34:35], 3
	v_mov_b32_e32 v4, 0
	s_wait_alu 0xfffe
	v_add_co_u32 v0, vcc_lo, v0, s92
	s_wait_alu 0xfffd
	v_add_co_ci_u32_e64 v1, null, s93, v1, vcc_lo
	v_dual_mov_b32 v5, 0 :: v_dual_mov_b32 v2, 0
	s_delay_alu instid0(VALU_DEP_3) | instskip(SKIP_1) | instid1(VALU_DEP_3)
	v_add_co_u32 v0, vcc_lo, 0xfffffef8, v0
	s_wait_alu 0xfffd
	v_add_co_ci_u32_e64 v1, null, -1, v1, vcc_lo
	v_mov_b32_e32 v3, 0
	s_delay_alu instid0(VALU_DEP_3) | instskip(NEXT) | instid1(VALU_DEP_3)
	v_cndmask_b32_e64 v0, v0, v18, s11
	v_cndmask_b32_e64 v1, v1, v19, s11
	s_and_saveexec_b32 s19, s2
	s_cbranch_execz .LBB106_53
; %bb.52:                               ;   in Loop: Header=BB106_4 Depth=1
	global_load_b64 v[2:3], v[0:1], off
.LBB106_53:                             ;   in Loop: Header=BB106_4 Depth=1
	s_wait_alu 0xfffe
	s_or_b32 exec_lo, exec_lo, s19
	s_wait_loadcnt 0x0
	ds_store_b64 v101, v[2:3]
	s_and_saveexec_b32 s19, s3
	s_cbranch_execz .LBB106_55
; %bb.54:                               ;   in Loop: Header=BB106_4 Depth=1
	v_add_co_u32 v2, vcc_lo, v0, s48
	s_wait_alu 0xfffd
	v_add_co_ci_u32_e64 v3, null, s49, v1, vcc_lo
	global_load_b64 v[4:5], v[2:3], off
.LBB106_55:                             ;   in Loop: Header=BB106_4 Depth=1
	s_wait_alu 0xfffe
	s_or_b32 exec_lo, exec_lo, s19
	v_mov_b32_e32 v2, 0
	v_dual_mov_b32 v3, 0 :: v_dual_mov_b32 v6, 0
	v_mov_b32_e32 v7, 0
	s_wait_loadcnt 0x0
	ds_store_b64 v101, v[4:5] offset:2112
	s_and_saveexec_b32 s19, s4
	s_cbranch_execz .LBB106_57
; %bb.56:                               ;   in Loop: Header=BB106_4 Depth=1
	v_add_co_u32 v4, vcc_lo, v0, s50
	s_wait_alu 0xfffd
	v_add_co_ci_u32_e64 v5, null, s51, v1, vcc_lo
	global_load_b64 v[6:7], v[4:5], off
.LBB106_57:                             ;   in Loop: Header=BB106_4 Depth=1
	s_wait_alu 0xfffe
	s_or_b32 exec_lo, exec_lo, s19
	s_wait_loadcnt 0x0
	ds_store_b64 v101, v[6:7] offset:4224
	s_and_saveexec_b32 s19, s5
	s_cbranch_execz .LBB106_59
; %bb.58:                               ;   in Loop: Header=BB106_4 Depth=1
	v_add_co_u32 v2, vcc_lo, v0, s52
	s_wait_alu 0xfffd
	v_add_co_ci_u32_e64 v3, null, s53, v1, vcc_lo
	global_load_b64 v[2:3], v[2:3], off
.LBB106_59:                             ;   in Loop: Header=BB106_4 Depth=1
	s_wait_alu 0xfffe
	s_or_b32 exec_lo, exec_lo, s19
	v_add_co_u32 v0, vcc_lo, v0, v106
	s_wait_alu 0xfffd
	v_add_co_ci_u32_e64 v1, null, 0, v1, vcc_lo
	s_lshl_b64 s[92:93], s[56:57], 3
	s_wait_loadcnt 0x0
	ds_store_b64 v101, v[2:3] offset:6336
	s_wait_alu 0xfffe
	v_add_co_u32 v0, vcc_lo, v0, s92
	s_wait_alu 0xfffd
	v_add_co_ci_u32_e64 v1, null, s93, v1, vcc_lo
	s_delay_alu instid0(VALU_DEP_2) | instskip(SKIP_1) | instid1(VALU_DEP_2)
	v_add_co_u32 v0, vcc_lo, 0x108, v0
	s_wait_alu 0xfffd
	v_add_co_ci_u32_e64 v1, null, 0, v1, vcc_lo
	s_delay_alu instid0(VALU_DEP_2) | instskip(NEXT) | instid1(VALU_DEP_2)
	v_cndmask_b32_e64 v18, v0, v18, s11
	v_cndmask_b32_e64 v19, v1, v19, s11
.LBB106_60:                             ;   in Loop: Header=BB106_4 Depth=1
	s_wait_loadcnt_dscnt 0x0
	s_barrier_signal -1
	s_barrier_wait -1
	global_inv scope:SCOPE_SE
	ds_load_b64 v[0:1], v101
	ds_load_b64 v[2:3], v104
	ds_load_b64 v[4:5], v101 offset:6336
	ds_load_b64 v[6:7], v101 offset:2112
	;; [unrolled: 1-line block ×4, first 2 shown]
	s_wait_dscnt 0x4
	v_fma_f64 v[12:13], v[0:1], v[2:3], 0
	ds_load_2addr_b64 v[0:3], v100 offset0:8 offset1:16
	s_wait_dscnt 0x0
	v_fma_f64 v[0:1], v[6:7], v[0:1], v[12:13]
	s_delay_alu instid0(VALU_DEP_1) | instskip(NEXT) | instid1(VALU_DEP_1)
	v_fma_f64 v[0:1], v[8:9], v[2:3], v[0:1]
	v_fma_f64 v[20:21], v[4:5], v[10:11], v[0:1]
	ds_load_b128 v[8:11], v90 offset:256
	ds_load_b128 v[0:3], v90 offset:272
	ds_load_2addr_b64 v[12:15], v92 offset1:1
	ds_load_2addr_b64 v[4:7], v92 offset0:2 offset1:3
	s_wait_loadcnt_dscnt 0x0
	s_barrier_signal -1
	s_barrier_wait -1
	global_inv scope:SCOPE_SE
	ds_store_b64 v91, v[20:21]
	s_wait_loadcnt_dscnt 0x0
	s_barrier_signal -1
	s_barrier_wait -1
	global_inv scope:SCOPE_SE
	s_and_saveexec_b32 s19, s16
	s_cbranch_execz .LBB106_62
; %bb.61:                               ;   in Loop: Header=BB106_4 Depth=1
	ds_load_2addr_b64 v[20:23], v88 offset1:1
	ds_load_2addr_b64 v[24:27], v88 offset0:2 offset1:3
	s_wait_dscnt 0x1
	v_add_f64_e32 v[20:21], v[42:43], v[20:21]
	s_delay_alu instid0(VALU_DEP_1) | instskip(SKIP_1) | instid1(VALU_DEP_1)
	v_add_f64_e32 v[20:21], v[20:21], v[22:23]
	s_wait_dscnt 0x0
	v_add_f64_e32 v[20:21], v[20:21], v[24:25]
	s_delay_alu instid0(VALU_DEP_1) | instskip(SKIP_4) | instid1(VALU_DEP_1)
	v_add_f64_e32 v[28:29], v[20:21], v[26:27]
	ds_load_2addr_b64 v[20:23], v88 offset0:4 offset1:5
	ds_load_2addr_b64 v[24:27], v88 offset0:6 offset1:7
	s_wait_dscnt 0x1
	v_add_f64_e32 v[20:21], v[28:29], v[20:21]
	v_add_f64_e32 v[20:21], v[20:21], v[22:23]
	s_wait_dscnt 0x0
	s_delay_alu instid0(VALU_DEP_1) | instskip(NEXT) | instid1(VALU_DEP_1)
	v_add_f64_e32 v[20:21], v[20:21], v[24:25]
	v_add_f64_e32 v[42:43], v[20:21], v[26:27]
.LBB106_62:                             ;   in Loop: Header=BB106_4 Depth=1
	s_wait_alu 0xfffe
	s_or_b32 exec_lo, exec_lo, s19
	v_fma_f64 v[8:9], v[12:13], v[8:9], 0
	s_wait_loadcnt 0x0
	s_barrier_signal -1
	s_barrier_wait -1
	global_inv scope:SCOPE_SE
	v_fma_f64 v[8:9], v[14:15], v[10:11], v[8:9]
	s_delay_alu instid0(VALU_DEP_1) | instskip(NEXT) | instid1(VALU_DEP_1)
	v_fma_f64 v[0:1], v[4:5], v[0:1], v[8:9]
	v_fma_f64 v[0:1], v[6:7], v[2:3], v[0:1]
	ds_store_b64 v91, v[0:1]
	s_wait_loadcnt_dscnt 0x0
	s_barrier_signal -1
	s_barrier_wait -1
	global_inv scope:SCOPE_SE
	s_and_saveexec_b32 s19, s10
	s_cbranch_execz .LBB106_64
; %bb.63:                               ;   in Loop: Header=BB106_4 Depth=1
	ds_load_2addr_b64 v[0:3], v88 offset1:1
	ds_load_2addr_b64 v[4:7], v88 offset0:2 offset1:3
	s_wait_dscnt 0x1
	v_add_f64_e32 v[0:1], v[42:43], v[0:1]
	s_delay_alu instid0(VALU_DEP_1) | instskip(SKIP_1) | instid1(VALU_DEP_1)
	v_add_f64_e32 v[0:1], v[0:1], v[2:3]
	s_wait_dscnt 0x0
	v_add_f64_e32 v[0:1], v[0:1], v[4:5]
	s_delay_alu instid0(VALU_DEP_1) | instskip(SKIP_4) | instid1(VALU_DEP_1)
	v_add_f64_e32 v[8:9], v[0:1], v[6:7]
	ds_load_2addr_b64 v[0:3], v88 offset0:4 offset1:5
	ds_load_2addr_b64 v[4:7], v88 offset0:6 offset1:7
	s_wait_dscnt 0x1
	v_add_f64_e32 v[0:1], v[8:9], v[0:1]
	v_add_f64_e32 v[0:1], v[0:1], v[2:3]
	s_wait_dscnt 0x0
	s_delay_alu instid0(VALU_DEP_1) | instskip(NEXT) | instid1(VALU_DEP_1)
	v_add_f64_e32 v[0:1], v[0:1], v[4:5]
	v_add_f64_e32 v[42:43], v[0:1], v[6:7]
.LBB106_64:                             ;   in Loop: Header=BB106_4 Depth=1
	s_wait_alu 0xfffe
	s_or_b32 exec_lo, exec_lo, s19
	s_mul_u64 s[92:93], s[40:41], s[28:29]
	s_and_not1_b32 vcc_lo, exec_lo, s95
	s_wait_alu 0xfffe
	s_lshl_b64 s[92:93], s[92:93], 3
	s_wait_loadcnt 0x0
	s_wait_alu 0xfffe
	s_add_nc_u64 s[92:93], s[42:43], s[92:93]
	s_barrier_signal -1
	s_barrier_wait -1
	global_inv scope:SCOPE_SE
	s_cbranch_vccnz .LBB106_71
; %bb.65:                               ;   in Loop: Header=BB106_4 Depth=1
	v_add_co_u32 v0, vcc_lo, v18, s90
	s_wait_alu 0xfffd
	v_add_co_ci_u32_e64 v1, null, s91, v19, vcc_lo
	v_lshlrev_b32_e32 v2, 3, v80
	s_delay_alu instid0(VALU_DEP_3) | instskip(SKIP_1) | instid1(VALU_DEP_3)
	v_add_co_u32 v0, vcc_lo, v0, v36
	s_wait_alu 0xfffd
	v_add_co_ci_u32_e64 v1, null, v1, v37, vcc_lo
	s_lshl_b64 s[98:99], s[34:35], 3
	v_add_co_u32 v0, vcc_lo, v0, v38
	s_wait_alu 0xfffd
	v_add_co_ci_u32_e64 v1, null, v1, v39, vcc_lo
	s_mov_b32 s19, ttmp9
	s_wait_alu 0xfffe
	v_add_co_u32 v3, vcc_lo, v0, s98
	s_wait_alu 0xfffd
	v_add_co_ci_u32_e64 v4, null, s99, v1, vcc_lo
	v_add_co_u32 v0, vcc_lo, v0, v2
	s_wait_alu 0xfffd
	v_add_co_ci_u32_e64 v1, null, 0, v1, vcc_lo
	v_add_co_u32 v2, vcc_lo, 0xfffffef8, v3
	s_wait_alu 0xfffd
	v_add_co_ci_u32_e64 v3, null, -1, v4, vcc_lo
	v_add_co_u32 v0, vcc_lo, 0xffffff00, v0
	s_wait_alu 0xfffd
	v_add_co_ci_u32_e64 v1, null, -1, v1, vcc_lo
	v_add_co_u32 v107, vcc_lo, v16, s88
	s_wait_alu 0xfffd
	v_add_co_ci_u32_e64 v108, null, s89, v17, vcc_lo
	s_delay_alu instid0(VALU_DEP_3)
	v_cndmask_b32_e64 v45, v1, v3, s17
	v_cndmask_b32_e64 v44, v0, v2, s17
	s_mov_b32 s30, 0
	s_branch .LBB106_67
.LBB106_66:                             ;   in Loop: Header=BB106_67 Depth=2
	s_or_b32 exec_lo, exec_lo, s29
	v_fma_f64 v[4:5], v[46:47], v[4:5], v[42:43]
	v_add_co_u32 v44, vcc_lo, v44, s60
	s_wait_alu 0xfffd
	v_add_co_ci_u32_e64 v45, null, s61, v45, vcc_lo
	s_wait_alu 0xfffe
	s_add_co_i32 s19, s19, -1
	s_add_co_i32 s30, s30, 64
	s_wait_alu 0xfffe
	s_cmp_eq_u32 s19, 0
	s_wait_loadcnt 0x0
	s_wait_storecnt 0x0
	s_barrier_signal -1
	s_barrier_wait -1
	global_inv scope:SCOPE_SE
	v_fma_f64 v[4:5], v[48:49], v[6:7], v[4:5]
	s_delay_alu instid0(VALU_DEP_1) | instskip(NEXT) | instid1(VALU_DEP_1)
	v_fma_f64 v[0:1], v[50:51], v[0:1], v[4:5]
	v_fma_f64 v[0:1], v[52:53], v[2:3], v[0:1]
	s_delay_alu instid0(VALU_DEP_1) | instskip(NEXT) | instid1(VALU_DEP_1)
	v_fma_f64 v[0:1], v[54:55], v[12:13], v[0:1]
	;; [unrolled: 3-line block ×7, first 2 shown]
	v_fma_f64 v[42:43], v[78:79], v[26:27], v[0:1]
	s_cbranch_scc1 .LBB106_71
.LBB106_67:                             ;   Parent Loop BB106_4 Depth=1
                                        ; =>  This Inner Loop Header: Depth=2
	s_and_saveexec_b32 s29, s0
	s_cbranch_execz .LBB106_69
; %bb.68:                               ;   in Loop: Header=BB106_67 Depth=2
	s_wait_alu 0xfffe
	s_mul_u64 s[98:99], s[20:21], s[30:31]
	s_wait_alu 0xfffe
	s_lshl_b64 s[98:99], s[98:99], 3
	s_wait_alu 0xfffe
	v_add_co_u32 v0, vcc_lo, v107, s98
	s_wait_alu 0xfffd
	v_add_co_ci_u32_e64 v1, null, s99, v108, vcc_lo
	global_load_b64 v[0:1], v[0:1], off
	s_wait_loadcnt 0x0
	ds_store_b64 v93, v[0:1]
.LBB106_69:                             ;   in Loop: Header=BB106_67 Depth=2
	s_or_b32 exec_lo, exec_lo, s29
	v_add_co_u32 v0, vcc_lo, v44, s58
	s_wait_alu 0xfffd
	v_add_co_ci_u32_e64 v1, null, s59, v45, vcc_lo
	s_wait_loadcnt_dscnt 0x0
	s_barrier_signal -1
	s_barrier_wait -1
	global_inv scope:SCOPE_SE
	s_clause 0x1
	global_load_b64 v[46:47], v[44:45], off
	global_load_b64 v[48:49], v[0:1], off
	v_add_co_u32 v0, vcc_lo, v44, s62
	s_wait_alu 0xfffd
	v_add_co_ci_u32_e64 v1, null, s63, v45, vcc_lo
	global_load_b64 v[50:51], v[0:1], off
	v_add_co_u32 v0, vcc_lo, v44, s64
	s_wait_alu 0xfffd
	v_add_co_ci_u32_e64 v1, null, s65, v45, vcc_lo
	global_load_b64 v[52:53], v[0:1], off
	ds_load_b64 v[8:9], v85
	ds_load_b128 v[4:7], v94
	ds_load_b128 v[0:3], v94 offset:16
	s_wait_loadcnt_dscnt 0x302
	v_mul_f64_e32 v[10:11], v[46:47], v[8:9]
	s_wait_loadcnt 0x2
	v_mul_f64_e32 v[12:13], v[48:49], v[8:9]
	ds_store_2addr_b64 v95, v[10:11], v[12:13] offset1:67
	s_wait_loadcnt 0x1
	v_mul_f64_e32 v[10:11], v[50:51], v[8:9]
	s_wait_loadcnt 0x0
	v_mul_f64_e32 v[8:9], v[52:53], v[8:9]
	ds_store_2addr_b64 v95, v[10:11], v[8:9] offset0:134 offset1:201
	s_wait_dscnt 0x0
	s_barrier_signal -1
	s_barrier_wait -1
	global_inv scope:SCOPE_SE
	ds_load_2addr_b64 v[8:11], v96 offset1:1
	s_wait_dscnt 0x0
	v_add_f64_e32 v[8:9], 0, v[8:9]
	s_delay_alu instid0(VALU_DEP_1)
	v_add_f64_e32 v[12:13], v[8:9], v[10:11]
	ds_load_2addr_b64 v[8:11], v96 offset0:2 offset1:3
	s_wait_loadcnt_dscnt 0x0
	s_barrier_signal -1
	s_barrier_wait -1
	global_inv scope:SCOPE_SE
	v_add_f64_e32 v[8:9], v[12:13], v[8:9]
	s_delay_alu instid0(VALU_DEP_1)
	v_add_f64_e32 v[60:61], v[8:9], v[10:11]
	v_add_co_u32 v8, vcc_lo, v44, s50
	s_wait_alu 0xfffd
	v_add_co_ci_u32_e64 v9, null, s51, v45, vcc_lo
	global_load_b64 v[54:55], v[8:9], off
	v_add_co_u32 v8, vcc_lo, v44, s44
	s_wait_alu 0xfffd
	v_add_co_ci_u32_e64 v9, null, s45, v45, vcc_lo
	global_load_b64 v[56:57], v[8:9], off
	v_add_co_u32 v8, vcc_lo, v44, s66
	s_wait_alu 0xfffd
	v_add_co_ci_u32_e64 v9, null, s67, v45, vcc_lo
	global_load_b64 v[58:59], v[8:9], off
	v_add_co_u32 v8, vcc_lo, v44, s68
	s_wait_alu 0xfffd
	v_add_co_ci_u32_e64 v9, null, s69, v45, vcc_lo
	global_load_b64 v[62:63], v[8:9], off
	ds_load_b64 v[16:17], v85
	ds_load_b128 v[12:15], v94 offset:128
	ds_load_b128 v[8:11], v94 offset:144
	s_wait_loadcnt_dscnt 0x302
	v_mul_f64_e32 v[18:19], v[54:55], v[16:17]
	s_wait_loadcnt 0x2
	v_mul_f64_e32 v[20:21], v[56:57], v[16:17]
	ds_store_2addr_b64 v95, v[18:19], v[20:21] offset1:67
	s_wait_loadcnt 0x1
	v_mul_f64_e32 v[18:19], v[58:59], v[16:17]
	s_wait_loadcnt 0x0
	v_mul_f64_e32 v[16:17], v[62:63], v[16:17]
	ds_store_2addr_b64 v95, v[18:19], v[16:17] offset0:134 offset1:201
	s_wait_dscnt 0x0
	s_barrier_signal -1
	s_barrier_wait -1
	global_inv scope:SCOPE_SE
	ds_load_2addr_b64 v[16:19], v96 offset1:1
	s_wait_dscnt 0x0
	v_add_f64_e32 v[16:17], 0, v[16:17]
	s_delay_alu instid0(VALU_DEP_1)
	v_add_f64_e32 v[20:21], v[16:17], v[18:19]
	ds_load_2addr_b64 v[16:19], v96 offset0:2 offset1:3
	s_wait_loadcnt_dscnt 0x0
	s_barrier_signal -1
	s_barrier_wait -1
	global_inv scope:SCOPE_SE
	v_add_f64_e32 v[16:17], v[20:21], v[16:17]
	s_delay_alu instid0(VALU_DEP_1)
	v_add_f64_e32 v[113:114], v[16:17], v[18:19]
	v_add_co_u32 v16, vcc_lo, v44, s84
	s_wait_alu 0xfffd
	v_add_co_ci_u32_e64 v17, null, s85, v45, vcc_lo
	global_load_b64 v[64:65], v[16:17], off
	v_add_co_u32 v16, vcc_lo, v44, s82
	s_wait_alu 0xfffd
	v_add_co_ci_u32_e64 v17, null, s83, v45, vcc_lo
	global_load_b64 v[66:67], v[16:17], off
	v_add_co_u32 v16, vcc_lo, v44, s70
	s_wait_alu 0xfffd
	v_add_co_ci_u32_e64 v17, null, s71, v45, vcc_lo
	global_load_b64 v[68:69], v[16:17], off
	v_add_co_u32 v16, vcc_lo, v44, s72
	s_wait_alu 0xfffd
	v_add_co_ci_u32_e64 v17, null, s73, v45, vcc_lo
	global_load_b64 v[70:71], v[16:17], off
	ds_load_b64 v[24:25], v85
	ds_load_b128 v[20:23], v94 offset:256
	;; [unrolled: 46-line block ×3, first 2 shown]
	ds_load_b128 v[24:27], v94 offset:400
	s_wait_loadcnt_dscnt 0x302
	v_mul_f64_e32 v[111:112], v[72:73], v[109:110]
	s_wait_loadcnt 0x2
	v_mul_f64_e32 v[117:118], v[74:75], v[109:110]
	ds_store_2addr_b64 v95, v[111:112], v[117:118] offset1:67
	s_wait_loadcnt 0x1
	v_mul_f64_e32 v[111:112], v[76:77], v[109:110]
	s_wait_loadcnt 0x0
	v_mul_f64_e32 v[109:110], v[78:79], v[109:110]
	ds_store_2addr_b64 v95, v[111:112], v[109:110] offset0:134 offset1:201
	s_wait_dscnt 0x0
	s_barrier_signal -1
	s_barrier_wait -1
	global_inv scope:SCOPE_SE
	ds_load_2addr_b64 v[109:112], v96 offset1:1
	s_wait_dscnt 0x0
	v_add_f64_e32 v[109:110], 0, v[109:110]
	s_delay_alu instid0(VALU_DEP_1)
	v_add_f64_e32 v[117:118], v[109:110], v[111:112]
	ds_load_2addr_b64 v[109:112], v96 offset0:2 offset1:3
	s_wait_loadcnt_dscnt 0x0
	s_barrier_signal -1
	s_barrier_wait -1
	global_inv scope:SCOPE_SE
	v_add_f64_e32 v[109:110], v[117:118], v[109:110]
	s_delay_alu instid0(VALU_DEP_1)
	v_add_f64_e32 v[109:110], v[109:110], v[111:112]
	ds_store_2addr_b64 v105, v[60:61], v[113:114] offset1:16
	ds_store_2addr_b64 v105, v[115:116], v[109:110] offset0:32 offset1:48
	s_wait_loadcnt_dscnt 0x0
	s_barrier_signal -1
	s_barrier_wait -1
	global_inv scope:SCOPE_SE
	s_and_saveexec_b32 s29, s18
	s_cbranch_execz .LBB106_66
; %bb.70:                               ;   in Loop: Header=BB106_67 Depth=2
	ds_load_2addr_b64 v[109:112], v97 offset1:1
	ds_load_2addr_b64 v[113:116], v97 offset0:2 offset1:3
	s_wait_alu 0xfffe
	v_add_nc_u32_e32 v32, s30, v80
	s_wait_dscnt 0x1
	v_add_f64_e32 v[60:61], v[109:110], v[111:112]
	s_wait_dscnt 0x0
	s_delay_alu instid0(VALU_DEP_1) | instskip(NEXT) | instid1(VALU_DEP_1)
	v_add_f64_e32 v[60:61], v[60:61], v[113:114]
	v_add_f64_e32 v[60:61], v[60:61], v[115:116]
	ds_load_2addr_b64 v[109:112], v97 offset0:4 offset1:5
	ds_load_2addr_b64 v[113:116], v97 offset0:6 offset1:7
	s_wait_dscnt 0x1
	v_add_f64_e32 v[60:61], v[60:61], v[109:110]
	s_delay_alu instid0(VALU_DEP_1) | instskip(SKIP_1) | instid1(VALU_DEP_1)
	v_add_f64_e32 v[60:61], v[60:61], v[111:112]
	s_wait_dscnt 0x0
	v_add_f64_e32 v[60:61], v[60:61], v[113:114]
	s_delay_alu instid0(VALU_DEP_1) | instskip(SKIP_4) | instid1(VALU_DEP_1)
	v_add_f64_e32 v[60:61], v[60:61], v[115:116]
	ds_load_2addr_b64 v[109:112], v97 offset0:8 offset1:9
	ds_load_2addr_b64 v[113:116], v97 offset0:10 offset1:11
	s_wait_dscnt 0x1
	v_add_f64_e32 v[60:61], v[60:61], v[109:110]
	v_add_f64_e32 v[60:61], v[60:61], v[111:112]
	s_wait_dscnt 0x0
	s_delay_alu instid0(VALU_DEP_1) | instskip(SKIP_4) | instid1(VALU_DEP_1)
	v_add_f64_e32 v[60:61], v[60:61], v[113:114]
	ds_load_2addr_b64 v[109:112], v97 offset0:12 offset1:13
	ds_load_b64 v[113:114], v97 offset:112
	v_add_f64_e32 v[60:61], v[60:61], v[115:116]
	s_wait_dscnt 0x1
	v_add_f64_e32 v[60:61], v[60:61], v[109:110]
	ds_load_b64 v[109:110], v98
	v_add_f64_e32 v[60:61], v[60:61], v[111:112]
	s_wait_dscnt 0x1
	s_delay_alu instid0(VALU_DEP_1) | instskip(SKIP_1) | instid1(VALU_DEP_1)
	v_add_f64_e32 v[60:61], v[60:61], v[113:114]
	s_wait_dscnt 0x0
	v_add_f64_e32 v[60:61], v[60:61], v[109:110]
	v_lshlrev_b64_e32 v[109:110], 3, v[32:33]
	s_delay_alu instid0(VALU_DEP_1) | instskip(SKIP_1) | instid1(VALU_DEP_2)
	v_add_co_u32 v109, vcc_lo, s92, v109
	s_wait_alu 0xfffd
	v_add_co_ci_u32_e64 v110, null, s93, v110, vcc_lo
	global_store_b64 v[109:110], v[60:61], off
	s_branch .LBB106_66
.LBB106_71:                             ;   in Loop: Header=BB106_4 Depth=1
	ds_store_b64 v99, v[42:43]
	s_wait_loadcnt_dscnt 0x0
	s_barrier_signal -1
	s_barrier_wait -1
	global_inv scope:SCOPE_SE
	s_and_saveexec_b32 s19, s96
	s_cbranch_execz .LBB106_2
; %bb.72:                               ;   in Loop: Header=BB106_4 Depth=1
	ds_load_2addr_b64 v[0:3], v83 offset1:67
	s_wait_dscnt 0x0
	v_add_f64_e32 v[4:5], v[0:1], v[2:3]
	ds_load_2addr_b64 v[0:3], v83 offset0:134 offset1:201
	s_wait_dscnt 0x0
	v_add_f64_e32 v[0:1], v[4:5], v[0:1]
	s_delay_alu instid0(VALU_DEP_1)
	v_add_f64_e32 v[0:1], v[0:1], v[2:3]
	s_wait_alu 0xfffe
	v_add_co_u32 v2, vcc_lo, s92, v40
	s_wait_alu 0xfffd
	v_add_co_ci_u32_e64 v3, null, s93, v41, vcc_lo
	global_store_b64 v[2:3], v[0:1], off
	s_branch .LBB106_2
.LBB106_73:                             ;   in Loop: Header=BB106_4 Depth=1
	ds_load_b64 v[2:3], v102
	s_wait_dscnt 0x0
	ds_store_b64 v89, v[2:3]
	s_wait_alu 0xfffe
	s_or_b32 exec_lo, exec_lo, s19
	s_and_saveexec_b32 s19, s7
	s_cbranch_execz .LBB106_24
.LBB106_74:                             ;   in Loop: Header=BB106_4 Depth=1
	ds_load_b64 v[2:3], v103
	s_wait_dscnt 0x0
	ds_store_b64 v89, v[2:3] offset:8
	s_wait_alu 0xfffe
	s_or_b32 exec_lo, exec_lo, s19
	s_and_saveexec_b32 s19, s8
	s_cbranch_execz .LBB106_25
.LBB106_75:                             ;   in Loop: Header=BB106_4 Depth=1
	ds_load_b64 v[2:3], v103 offset:264
	s_wait_dscnt 0x0
	ds_store_b64 v89, v[2:3] offset:16
	s_wait_alu 0xfffe
	s_or_b32 exec_lo, exec_lo, s19
	s_and_saveexec_b32 s19, s9
	s_cbranch_execnz .LBB106_26
	s_branch .LBB106_27
.LBB106_76:                             ;   in Loop: Header=BB106_4 Depth=1
	ds_load_b64 v[0:1], v102
	s_wait_dscnt 0x0
	ds_store_b64 v89, v[0:1]
	s_wait_alu 0xfffe
	s_or_b32 exec_lo, exec_lo, s19
	s_and_saveexec_b32 s19, s7
	s_cbranch_execz .LBB106_43
.LBB106_77:                             ;   in Loop: Header=BB106_4 Depth=1
	ds_load_b64 v[0:1], v103
	s_wait_dscnt 0x0
	ds_store_b64 v89, v[0:1] offset:8
	s_wait_alu 0xfffe
	s_or_b32 exec_lo, exec_lo, s19
	s_and_saveexec_b32 s19, s8
	s_cbranch_execz .LBB106_44
.LBB106_78:                             ;   in Loop: Header=BB106_4 Depth=1
	ds_load_b64 v[0:1], v103 offset:264
	s_wait_dscnt 0x0
	ds_store_b64 v89, v[0:1] offset:16
	s_wait_alu 0xfffe
	s_or_b32 exec_lo, exec_lo, s19
	s_and_saveexec_b32 s19, s9
	s_cbranch_execnz .LBB106_45
	s_branch .LBB106_46
.LBB106_79:
	s_nop 0
	s_sendmsg sendmsg(MSG_DEALLOC_VGPRS)
	s_endpgm
	.section	.rodata,"a",@progbits
	.p2align	6, 0x0
	.amdhsa_kernel _ZL26rocblas_hemvn_kernel_lowerILb0ELi64ELi4ELi33ELi32ELi16ElPKdS1_PdEviT6_lT7_lT5_lS4_lS5_lS3_lT8_i
		.amdhsa_group_segment_fixed_size 9600
		.amdhsa_private_segment_fixed_size 0
		.amdhsa_kernarg_size 376
		.amdhsa_user_sgpr_count 2
		.amdhsa_user_sgpr_dispatch_ptr 0
		.amdhsa_user_sgpr_queue_ptr 0
		.amdhsa_user_sgpr_kernarg_segment_ptr 1
		.amdhsa_user_sgpr_dispatch_id 0
		.amdhsa_user_sgpr_private_segment_size 0
		.amdhsa_wavefront_size32 1
		.amdhsa_uses_dynamic_stack 0
		.amdhsa_enable_private_segment 0
		.amdhsa_system_sgpr_workgroup_id_x 1
		.amdhsa_system_sgpr_workgroup_id_y 0
		.amdhsa_system_sgpr_workgroup_id_z 1
		.amdhsa_system_sgpr_workgroup_info 0
		.amdhsa_system_vgpr_workitem_id 1
		.amdhsa_next_free_vgpr 119
		.amdhsa_next_free_sgpr 100
		.amdhsa_reserve_vcc 1
		.amdhsa_float_round_mode_32 0
		.amdhsa_float_round_mode_16_64 0
		.amdhsa_float_denorm_mode_32 3
		.amdhsa_float_denorm_mode_16_64 3
		.amdhsa_fp16_overflow 0
		.amdhsa_workgroup_processor_mode 1
		.amdhsa_memory_ordered 1
		.amdhsa_forward_progress 1
		.amdhsa_inst_pref_size 56
		.amdhsa_round_robin_scheduling 0
		.amdhsa_exception_fp_ieee_invalid_op 0
		.amdhsa_exception_fp_denorm_src 0
		.amdhsa_exception_fp_ieee_div_zero 0
		.amdhsa_exception_fp_ieee_overflow 0
		.amdhsa_exception_fp_ieee_underflow 0
		.amdhsa_exception_fp_ieee_inexact 0
		.amdhsa_exception_int_div_zero 0
	.end_amdhsa_kernel
	.section	.text._ZL26rocblas_hemvn_kernel_lowerILb0ELi64ELi4ELi33ELi32ELi16ElPKdS1_PdEviT6_lT7_lT5_lS4_lS5_lS3_lT8_i,"axG",@progbits,_ZL26rocblas_hemvn_kernel_lowerILb0ELi64ELi4ELi33ELi32ELi16ElPKdS1_PdEviT6_lT7_lT5_lS4_lS5_lS3_lT8_i,comdat
.Lfunc_end106:
	.size	_ZL26rocblas_hemvn_kernel_lowerILb0ELi64ELi4ELi33ELi32ELi16ElPKdS1_PdEviT6_lT7_lT5_lS4_lS5_lS3_lT8_i, .Lfunc_end106-_ZL26rocblas_hemvn_kernel_lowerILb0ELi64ELi4ELi33ELi32ELi16ElPKdS1_PdEviT6_lT7_lT5_lS4_lS5_lS3_lT8_i
                                        ; -- End function
	.set _ZL26rocblas_hemvn_kernel_lowerILb0ELi64ELi4ELi33ELi32ELi16ElPKdS1_PdEviT6_lT7_lT5_lS4_lS5_lS3_lT8_i.num_vgpr, 119
	.set _ZL26rocblas_hemvn_kernel_lowerILb0ELi64ELi4ELi33ELi32ELi16ElPKdS1_PdEviT6_lT7_lT5_lS4_lS5_lS3_lT8_i.num_agpr, 0
	.set _ZL26rocblas_hemvn_kernel_lowerILb0ELi64ELi4ELi33ELi32ELi16ElPKdS1_PdEviT6_lT7_lT5_lS4_lS5_lS3_lT8_i.numbered_sgpr, 100
	.set _ZL26rocblas_hemvn_kernel_lowerILb0ELi64ELi4ELi33ELi32ELi16ElPKdS1_PdEviT6_lT7_lT5_lS4_lS5_lS3_lT8_i.num_named_barrier, 0
	.set _ZL26rocblas_hemvn_kernel_lowerILb0ELi64ELi4ELi33ELi32ELi16ElPKdS1_PdEviT6_lT7_lT5_lS4_lS5_lS3_lT8_i.private_seg_size, 0
	.set _ZL26rocblas_hemvn_kernel_lowerILb0ELi64ELi4ELi33ELi32ELi16ElPKdS1_PdEviT6_lT7_lT5_lS4_lS5_lS3_lT8_i.uses_vcc, 1
	.set _ZL26rocblas_hemvn_kernel_lowerILb0ELi64ELi4ELi33ELi32ELi16ElPKdS1_PdEviT6_lT7_lT5_lS4_lS5_lS3_lT8_i.uses_flat_scratch, 0
	.set _ZL26rocblas_hemvn_kernel_lowerILb0ELi64ELi4ELi33ELi32ELi16ElPKdS1_PdEviT6_lT7_lT5_lS4_lS5_lS3_lT8_i.has_dyn_sized_stack, 0
	.set _ZL26rocblas_hemvn_kernel_lowerILb0ELi64ELi4ELi33ELi32ELi16ElPKdS1_PdEviT6_lT7_lT5_lS4_lS5_lS3_lT8_i.has_recursion, 0
	.set _ZL26rocblas_hemvn_kernel_lowerILb0ELi64ELi4ELi33ELi32ELi16ElPKdS1_PdEviT6_lT7_lT5_lS4_lS5_lS3_lT8_i.has_indirect_call, 0
	.section	.AMDGPU.csdata,"",@progbits
; Kernel info:
; codeLenInByte = 7148
; TotalNumSgprs: 102
; NumVgprs: 119
; ScratchSize: 0
; MemoryBound: 0
; FloatMode: 240
; IeeeMode: 1
; LDSByteSize: 9600 bytes/workgroup (compile time only)
; SGPRBlocks: 0
; VGPRBlocks: 14
; NumSGPRsForWavesPerEU: 102
; NumVGPRsForWavesPerEU: 119
; Occupancy: 12
; WaveLimiterHint : 0
; COMPUTE_PGM_RSRC2:SCRATCH_EN: 0
; COMPUTE_PGM_RSRC2:USER_SGPR: 2
; COMPUTE_PGM_RSRC2:TRAP_HANDLER: 0
; COMPUTE_PGM_RSRC2:TGID_X_EN: 1
; COMPUTE_PGM_RSRC2:TGID_Y_EN: 0
; COMPUTE_PGM_RSRC2:TGID_Z_EN: 1
; COMPUTE_PGM_RSRC2:TIDIG_COMP_CNT: 1
	.section	.text._ZL36rocblas_hemvn_kernel_lower_block_sumILi64ElPKdPddEviT1_lS3_lT2_lT0_lPT3_i,"axG",@progbits,_ZL36rocblas_hemvn_kernel_lower_block_sumILi64ElPKdPddEviT1_lS3_lT2_lT0_lPT3_i,comdat
	.globl	_ZL36rocblas_hemvn_kernel_lower_block_sumILi64ElPKdPddEviT1_lS3_lT2_lT0_lPT3_i ; -- Begin function _ZL36rocblas_hemvn_kernel_lower_block_sumILi64ElPKdPddEviT1_lS3_lT2_lT0_lPT3_i
	.p2align	8
	.type	_ZL36rocblas_hemvn_kernel_lower_block_sumILi64ElPKdPddEviT1_lS3_lT2_lT0_lPT3_i,@function
_ZL36rocblas_hemvn_kernel_lower_block_sumILi64ElPKdPddEviT1_lS3_lT2_lT0_lPT3_i: ; @_ZL36rocblas_hemvn_kernel_lower_block_sumILi64ElPKdPddEviT1_lS3_lT2_lT0_lPT3_i
; %bb.0:
	s_load_b32 s3, s[0:1], 0x50
	s_lshr_b32 s20, ttmp7, 16
	s_wait_kmcnt 0x0
	s_cmp_ge_u32 s20, s3
	s_cbranch_scc1 .LBB107_24
; %bb.1:
	s_clause 0x1
	s_load_b32 s22, s[0:1], 0x0
	s_load_b256 s[4:11], s[0:1], 0x30
	s_lshl_b32 s2, ttmp9, 6
	s_load_b64 s[24:25], s[0:1], 0x28
	v_or_b32_e32 v0, s2, v0
	s_load_b256 s[12:19], s[0:1], 0x8
	s_ashr_i32 s2, s2, 31
	s_add_nc_u64 s[0:1], s[0:1], 0x58
	s_mov_b32 s21, 0
	s_wait_kmcnt 0x0
	v_mad_co_u64_u32 v[1:2], null, s22, ttmp9, v[0:1]
	v_mul_lo_u32 v5, s7, v0
	v_mad_co_u64_u32 v[3:4], null, s6, v0, 0
	s_wait_alu 0xfffe
	s_mul_i32 s2, s6, s2
	s_lshl_b64 s[4:5], s[4:5], 3
	s_ashr_i32 s23, s22, 31
	s_delay_alu instid0(VALU_DEP_3)
	v_ashrrev_i32_e32 v2, 31, v1
	s_add_nc_u64 s[4:5], s[24:25], s[4:5]
	s_wait_alu 0xfffe
	s_lshl_b64 s[6:7], s[22:23], 3
	v_add3_u32 v4, v4, s2, v5
	v_cmp_gt_i32_e64 s2, s22, v0
	v_lshlrev_b64_e32 v[5:6], 3, v[1:2]
	s_delay_alu instid0(VALU_DEP_3) | instskip(NEXT) | instid1(VALU_DEP_2)
	v_lshlrev_b64_e32 v[0:1], 3, v[3:4]
	v_add_co_u32 v2, vcc_lo, s10, v5
	s_delay_alu instid0(VALU_DEP_1)
	v_add_co_ci_u32_e64 v3, null, s11, v6, vcc_lo
	s_branch .LBB107_4
.LBB107_2:                              ;   in Loop: Header=BB107_4 Depth=1
	s_wait_alu 0xfffe
	s_or_b32 exec_lo, exec_lo, s22
.LBB107_3:                              ;   in Loop: Header=BB107_4 Depth=1
	s_add_co_i32 s20, s20, 0x10000
	s_wait_alu 0xfffe
	s_cmp_lt_u32 s20, s3
	s_cbranch_scc0 .LBB107_24
.LBB107_4:                              ; =>This Loop Header: Depth=1
                                        ;     Child Loop BB107_15 Depth 2
	s_mul_u64 s[10:11], s[14:15], s[20:21]
	s_mul_u64 s[22:23], s[18:19], s[20:21]
	s_wait_alu 0xfffe
	s_lshl_b64 s[10:11], s[10:11], 3
	s_lshl_b64 s[22:23], s[22:23], 3
	s_wait_alu 0xfffe
	s_add_nc_u64 s[10:11], s[12:13], s[10:11]
	s_add_nc_u64 s[24:25], s[16:17], s[22:23]
	s_load_b64 s[22:23], s[10:11], 0x0
	s_load_b64 s[24:25], s[24:25], 0x0
	s_wait_kmcnt 0x0
	v_cmp_eq_f64_e64 s10, s[22:23], 0
	v_cmp_eq_f64_e64 s11, s[24:25], 1.0
	s_and_b32 s10, s10, s11
	s_wait_alu 0xfffe
	s_and_b32 vcc_lo, exec_lo, s10
	s_wait_alu 0xfffe
	s_cbranch_vccnz .LBB107_3
; %bb.5:                                ;   in Loop: Header=BB107_4 Depth=1
	v_cmp_neq_f64_e64 s26, s[22:23], 0
	s_mul_u64 s[10:11], s[8:9], s[20:21]
	s_wait_alu 0xfffe
	s_lshl_b64 s[10:11], s[10:11], 3
	s_wait_alu 0xfffe
	s_add_nc_u64 s[10:11], s[4:5], s[10:11]
	s_and_b32 vcc_lo, exec_lo, s26
	s_wait_alu 0xfffe
	s_cbranch_vccnz .LBB107_10
; %bb.6:                                ;   in Loop: Header=BB107_4 Depth=1
	s_mov_b32 s26, 0
	s_mov_b32 s28, 0
                                        ; implicit-def: $vgpr4_vgpr5
	s_and_saveexec_b32 s27, s2
	s_cbranch_execz .LBB107_11
; %bb.7:                                ;   in Loop: Header=BB107_4 Depth=1
	v_cmp_eq_f64_e64 s28, s[24:25], 0
	v_mov_b32_e32 v4, 0
	v_mov_b32_e32 v5, 0
	s_and_b32 vcc_lo, exec_lo, s28
	s_wait_alu 0xfffe
	s_cbranch_vccnz .LBB107_9
; %bb.8:                                ;   in Loop: Header=BB107_4 Depth=1
	v_add_co_u32 v4, vcc_lo, s10, v0
	s_wait_alu 0xfffd
	v_add_co_ci_u32_e64 v5, null, s11, v1, vcc_lo
	global_load_b64 v[4:5], v[4:5], off
	s_wait_loadcnt 0x0
	v_mul_f64_e32 v[4:5], s[24:25], v[4:5]
.LBB107_9:                              ;   in Loop: Header=BB107_4 Depth=1
	s_mov_b32 s28, exec_lo
	s_or_b32 exec_lo, exec_lo, s27
	s_delay_alu instid0(SALU_CYCLE_1)
	s_and_b32 vcc_lo, exec_lo, s26
	s_wait_alu 0xfffe
	s_cbranch_vccnz .LBB107_12
	s_branch .LBB107_21
.LBB107_10:                             ;   in Loop: Header=BB107_4 Depth=1
	s_mov_b32 s28, 0
                                        ; implicit-def: $vgpr4_vgpr5
	s_cbranch_execnz .LBB107_12
	s_branch .LBB107_21
.LBB107_11:                             ;   in Loop: Header=BB107_4 Depth=1
	s_or_b32 exec_lo, exec_lo, s27
	s_delay_alu instid0(SALU_CYCLE_1)
	s_and_b32 vcc_lo, exec_lo, s26
	s_wait_alu 0xfffe
	s_cbranch_vccz .LBB107_21
.LBB107_12:                             ;   in Loop: Header=BB107_4 Depth=1
                                        ; implicit-def: $vgpr4_vgpr5
	s_and_saveexec_b32 s29, s2
	s_cbranch_execz .LBB107_20
; %bb.13:                               ;   in Loop: Header=BB107_4 Depth=1
	s_load_b32 s26, s[0:1], 0x0
	v_mov_b32_e32 v6, 0
	v_mov_b32_e32 v7, 0
	s_wait_kmcnt 0x0
	s_cmp_ge_i32 ttmp9, s26
	s_cbranch_scc1 .LBB107_16
; %bb.14:                               ;   in Loop: Header=BB107_4 Depth=1
	s_mov_b32 s27, s21
	s_mov_b32 s30, ttmp9
	s_mul_u64 s[34:35], s[6:7], s[26:27]
	s_wait_alu 0xfffe
	v_mad_co_u64_u32 v[4:5], null, s34, s20, v[2:3]
	s_delay_alu instid0(VALU_DEP_1)
	v_mad_co_u64_u32 v[5:6], null, s35, s20, v[5:6]
	v_mov_b32_e32 v6, 0
	v_mov_b32_e32 v7, 0
.LBB107_15:                             ;   Parent Loop BB107_4 Depth=1
                                        ; =>  This Inner Loop Header: Depth=2
	global_load_b64 v[8:9], v[4:5], off
	v_add_co_u32 v4, vcc_lo, v4, s6
	s_wait_alu 0xfffd
	v_add_co_ci_u32_e64 v5, null, s7, v5, vcc_lo
	s_add_co_i32 s30, s30, 1
	s_delay_alu instid0(SALU_CYCLE_1)
	s_cmp_ge_i32 s30, s26
	s_wait_loadcnt 0x0
	v_add_f64_e32 v[6:7], v[6:7], v[8:9]
	s_cbranch_scc0 .LBB107_15
.LBB107_16:                             ;   in Loop: Header=BB107_4 Depth=1
	v_cmp_eq_f64_e64 s26, s[24:25], 0
	s_and_b32 vcc_lo, exec_lo, s26
	s_wait_alu 0xfffe
	s_cbranch_vccz .LBB107_23
; %bb.17:                               ;   in Loop: Header=BB107_4 Depth=1
	v_mul_f64_e32 v[4:5], s[22:23], v[6:7]
	s_cbranch_execnz .LBB107_19
.LBB107_18:                             ;   in Loop: Header=BB107_4 Depth=1
	v_add_co_u32 v4, vcc_lo, s10, v0
	s_wait_alu 0xfffd
	v_add_co_ci_u32_e64 v5, null, s11, v1, vcc_lo
	global_load_b64 v[4:5], v[4:5], off
	s_wait_loadcnt 0x0
	v_mul_f64_e32 v[4:5], s[24:25], v[4:5]
	s_delay_alu instid0(VALU_DEP_1)
	v_fma_f64 v[4:5], s[22:23], v[6:7], v[4:5]
.LBB107_19:                             ;   in Loop: Header=BB107_4 Depth=1
	s_or_b32 s28, s28, exec_lo
.LBB107_20:                             ;   in Loop: Header=BB107_4 Depth=1
	s_or_b32 exec_lo, exec_lo, s29
.LBB107_21:                             ;   in Loop: Header=BB107_4 Depth=1
	s_and_saveexec_b32 s22, s28
	s_cbranch_execz .LBB107_2
; %bb.22:                               ;   in Loop: Header=BB107_4 Depth=1
	v_add_co_u32 v6, vcc_lo, s10, v0
	s_wait_alu 0xfffd
	v_add_co_ci_u32_e64 v7, null, s11, v1, vcc_lo
	global_store_b64 v[6:7], v[4:5], off
	s_branch .LBB107_2
.LBB107_23:                             ;   in Loop: Header=BB107_4 Depth=1
                                        ; implicit-def: $vgpr4_vgpr5
	s_branch .LBB107_18
.LBB107_24:
	s_endpgm
	.section	.rodata,"a",@progbits
	.p2align	6, 0x0
	.amdhsa_kernel _ZL36rocblas_hemvn_kernel_lower_block_sumILi64ElPKdPddEviT1_lS3_lT2_lT0_lPT3_i
		.amdhsa_group_segment_fixed_size 0
		.amdhsa_private_segment_fixed_size 0
		.amdhsa_kernarg_size 344
		.amdhsa_user_sgpr_count 2
		.amdhsa_user_sgpr_dispatch_ptr 0
		.amdhsa_user_sgpr_queue_ptr 0
		.amdhsa_user_sgpr_kernarg_segment_ptr 1
		.amdhsa_user_sgpr_dispatch_id 0
		.amdhsa_user_sgpr_private_segment_size 0
		.amdhsa_wavefront_size32 1
		.amdhsa_uses_dynamic_stack 0
		.amdhsa_enable_private_segment 0
		.amdhsa_system_sgpr_workgroup_id_x 1
		.amdhsa_system_sgpr_workgroup_id_y 0
		.amdhsa_system_sgpr_workgroup_id_z 1
		.amdhsa_system_sgpr_workgroup_info 0
		.amdhsa_system_vgpr_workitem_id 0
		.amdhsa_next_free_vgpr 10
		.amdhsa_next_free_sgpr 36
		.amdhsa_reserve_vcc 1
		.amdhsa_float_round_mode_32 0
		.amdhsa_float_round_mode_16_64 0
		.amdhsa_float_denorm_mode_32 3
		.amdhsa_float_denorm_mode_16_64 3
		.amdhsa_fp16_overflow 0
		.amdhsa_workgroup_processor_mode 1
		.amdhsa_memory_ordered 1
		.amdhsa_forward_progress 1
		.amdhsa_inst_pref_size 7
		.amdhsa_round_robin_scheduling 0
		.amdhsa_exception_fp_ieee_invalid_op 0
		.amdhsa_exception_fp_denorm_src 0
		.amdhsa_exception_fp_ieee_div_zero 0
		.amdhsa_exception_fp_ieee_overflow 0
		.amdhsa_exception_fp_ieee_underflow 0
		.amdhsa_exception_fp_ieee_inexact 0
		.amdhsa_exception_int_div_zero 0
	.end_amdhsa_kernel
	.section	.text._ZL36rocblas_hemvn_kernel_lower_block_sumILi64ElPKdPddEviT1_lS3_lT2_lT0_lPT3_i,"axG",@progbits,_ZL36rocblas_hemvn_kernel_lower_block_sumILi64ElPKdPddEviT1_lS3_lT2_lT0_lPT3_i,comdat
.Lfunc_end107:
	.size	_ZL36rocblas_hemvn_kernel_lower_block_sumILi64ElPKdPddEviT1_lS3_lT2_lT0_lPT3_i, .Lfunc_end107-_ZL36rocblas_hemvn_kernel_lower_block_sumILi64ElPKdPddEviT1_lS3_lT2_lT0_lPT3_i
                                        ; -- End function
	.set _ZL36rocblas_hemvn_kernel_lower_block_sumILi64ElPKdPddEviT1_lS3_lT2_lT0_lPT3_i.num_vgpr, 10
	.set _ZL36rocblas_hemvn_kernel_lower_block_sumILi64ElPKdPddEviT1_lS3_lT2_lT0_lPT3_i.num_agpr, 0
	.set _ZL36rocblas_hemvn_kernel_lower_block_sumILi64ElPKdPddEviT1_lS3_lT2_lT0_lPT3_i.numbered_sgpr, 36
	.set _ZL36rocblas_hemvn_kernel_lower_block_sumILi64ElPKdPddEviT1_lS3_lT2_lT0_lPT3_i.num_named_barrier, 0
	.set _ZL36rocblas_hemvn_kernel_lower_block_sumILi64ElPKdPddEviT1_lS3_lT2_lT0_lPT3_i.private_seg_size, 0
	.set _ZL36rocblas_hemvn_kernel_lower_block_sumILi64ElPKdPddEviT1_lS3_lT2_lT0_lPT3_i.uses_vcc, 1
	.set _ZL36rocblas_hemvn_kernel_lower_block_sumILi64ElPKdPddEviT1_lS3_lT2_lT0_lPT3_i.uses_flat_scratch, 0
	.set _ZL36rocblas_hemvn_kernel_lower_block_sumILi64ElPKdPddEviT1_lS3_lT2_lT0_lPT3_i.has_dyn_sized_stack, 0
	.set _ZL36rocblas_hemvn_kernel_lower_block_sumILi64ElPKdPddEviT1_lS3_lT2_lT0_lPT3_i.has_recursion, 0
	.set _ZL36rocblas_hemvn_kernel_lower_block_sumILi64ElPKdPddEviT1_lS3_lT2_lT0_lPT3_i.has_indirect_call, 0
	.section	.AMDGPU.csdata,"",@progbits
; Kernel info:
; codeLenInByte = 776
; TotalNumSgprs: 38
; NumVgprs: 10
; ScratchSize: 0
; MemoryBound: 0
; FloatMode: 240
; IeeeMode: 1
; LDSByteSize: 0 bytes/workgroup (compile time only)
; SGPRBlocks: 0
; VGPRBlocks: 1
; NumSGPRsForWavesPerEU: 38
; NumVGPRsForWavesPerEU: 10
; Occupancy: 16
; WaveLimiterHint : 0
; COMPUTE_PGM_RSRC2:SCRATCH_EN: 0
; COMPUTE_PGM_RSRC2:USER_SGPR: 2
; COMPUTE_PGM_RSRC2:TRAP_HANDLER: 0
; COMPUTE_PGM_RSRC2:TGID_X_EN: 1
; COMPUTE_PGM_RSRC2:TGID_Y_EN: 0
; COMPUTE_PGM_RSRC2:TGID_Z_EN: 1
; COMPUTE_PGM_RSRC2:TIDIG_COMP_CNT: 0
	.section	.text._ZL26rocblas_hemvn_kernel_lowerILb0ELi64ELi4ELi33ELi32ELi16EiPKdS1_PdEviT6_lT7_lT5_lS4_lS5_lS3_lT8_i,"axG",@progbits,_ZL26rocblas_hemvn_kernel_lowerILb0ELi64ELi4ELi33ELi32ELi16EiPKdS1_PdEviT6_lT7_lT5_lS4_lS5_lS3_lT8_i,comdat
	.globl	_ZL26rocblas_hemvn_kernel_lowerILb0ELi64ELi4ELi33ELi32ELi16EiPKdS1_PdEviT6_lT7_lT5_lS4_lS5_lS3_lT8_i ; -- Begin function _ZL26rocblas_hemvn_kernel_lowerILb0ELi64ELi4ELi33ELi32ELi16EiPKdS1_PdEviT6_lT7_lT5_lS4_lS5_lS3_lT8_i
	.p2align	8
	.type	_ZL26rocblas_hemvn_kernel_lowerILb0ELi64ELi4ELi33ELi32ELi16EiPKdS1_PdEviT6_lT7_lT5_lS4_lS5_lS3_lT8_i,@function
_ZL26rocblas_hemvn_kernel_lowerILb0ELi64ELi4ELi33ELi32ELi16EiPKdS1_PdEviT6_lT7_lT5_lS4_lS5_lS3_lT8_i: ; @_ZL26rocblas_hemvn_kernel_lowerILb0ELi64ELi4ELi33ELi32ELi16EiPKdS1_PdEviT6_lT7_lT5_lS4_lS5_lS3_lT8_i
; %bb.0:
	s_clause 0x1
	s_load_b64 s[2:3], s[0:1], 0x84
	s_load_b32 s33, s[0:1], 0x70
	s_lshr_b32 s34, ttmp7, 16
	s_wait_kmcnt 0x0
	s_lshr_b32 s4, s2, 16
	s_and_b32 s2, s2, 0xffff
	s_and_b32 s3, s3, 0xffff
	s_mul_i32 s2, s4, s2
	s_delay_alu instid0(SALU_CYCLE_1) | instskip(NEXT) | instid1(SALU_CYCLE_1)
	s_mul_i32 s2, s2, s3
	s_cmp_lg_u32 s2, 0x100
	s_cselect_b32 s2, -1, 0
	s_cmp_ge_u32 s34, s33
	s_cselect_b32 s3, -1, 0
	s_delay_alu instid0(SALU_CYCLE_1) | instskip(NEXT) | instid1(SALU_CYCLE_1)
	s_or_b32 s2, s2, s3
	s_and_b32 vcc_lo, exec_lo, s2
	s_cbranch_vccnz .LBB108_79
; %bb.1:
	s_clause 0x4
	s_load_b96 s[16:18], s[0:1], 0x40
	s_load_b32 s2, s[0:1], 0x0
	s_load_b32 s80, s[0:1], 0x28
	s_load_b256 s[20:27], s[0:1], 0x8
	s_load_b128 s[28:31], s[0:1], 0x30
	v_dual_mov_b32 v33, 0 :: v_dual_and_b32 v80, 0x3ff, v0
	s_lshl_b32 s48, ttmp9, 6
	s_add_nc_u64 s[4:5], s[0:1], 0x78
	s_load_b32 s4, s[4:5], 0x0
	s_load_b256 s[36:43], s[0:1], 0x50
	v_add_nc_u32_e32 v1, s48, v80
	v_bfe_u32 v2, v0, 10, 10
	v_and_b32_e32 v3, 31, v0
	s_mov_b32 s35, 0
	v_lshlrev_b32_e32 v83, 3, v80
	s_mov_b32 s5, s35
	v_lshl_add_u32 v12, v2, 6, v80
	v_mul_u32_u24_e32 v20, 33, v3
	v_lshlrev_b32_e32 v13, 3, v3
	s_wait_kmcnt 0x0
	v_mul_lo_u32 v4, s18, v1
	s_ashr_i32 s3, s2, 31
	s_lshl_b64 s[6:7], s[16:17], 3
	s_lshr_b32 s1, s3, 26
	s_add_nc_u64 s[10:11], s[30:31], s[6:7]
	s_add_co_i32 s1, s2, s1
	v_lshrrev_b32_e32 v8, 5, v12
	s_and_not1_b32 s1, s1, 63
	v_ashrrev_i32_e32 v5, 31, v4
	s_add_co_i32 s6, s4, -1
	s_ashr_i32 s81, s80, 31
	s_lshl_b64 s[8:9], s[26:27], 3
	s_sub_co_i32 s1, s2, s1
	v_lshlrev_b64_e32 v[4:5], 3, v[4:5]
	s_cmp_eq_u32 ttmp9, s6
	s_add_nc_u64 s[6:7], s[24:25], s[8:9]
	s_cselect_b32 s26, s1, 0
	s_mul_i32 s8, s2, ttmp9
	s_cmp_eq_u32 s26, 0
	v_add_co_u32 v81, s1, s10, v4
	s_delay_alu instid0(VALU_DEP_1)
	v_add_co_ci_u32_e64 v82, null, s11, v5, s1
	v_mad_co_u64_u32 v[4:5], null, s80, v8, v[3:4]
	s_cselect_b32 s1, -1, 0
	s_ashr_i32 s49, s48, 31
	v_cmp_gt_i32_e32 vcc_lo, s26, v80
	s_mul_u64 s[24:25], s[4:5], s[2:3]
	s_wait_alu 0xfffe
	s_lshl_b64 s[2:3], s[48:49], 3
	v_lshlrev_b32_e32 v21, 3, v8
	v_ashrrev_i32_e32 v5, 31, v4
	s_mul_i32 s50, s80, s48
	s_add_nc_u64 s[2:3], s[6:7], s[2:3]
	s_or_b32 s96, s1, vcc_lo
	s_ashr_i32 s9, s8, 31
	v_lshlrev_b64_e32 v[6:7], 3, v[4:5]
	s_ashr_i32 s51, s50, 31
	s_lshl_b64 s[8:9], s[8:9], 3
	v_add_nc_u32_e32 v9, 8, v8
	v_add_nc_u32_e32 v10, 16, v8
	v_add_nc_u32_e32 v15, 24, v8
	v_add_co_u32 v6, vcc_lo, s2, v6
	s_delay_alu instid0(VALU_DEP_1)
	v_add_co_ci_u32_e64 v7, null, s3, v7, vcc_lo
	s_lshl_b64 s[2:3], s[50:51], 3
	v_lshl_add_u32 v91, v20, 3, v21
	s_cmp_lg_u32 s26, 0
	s_wait_alu 0xfffe
	v_add_co_u32 v86, vcc_lo, v6, s2
	s_cselect_b32 s17, -1, 0
	v_sub_co_u32 v6, s2, 0, v3
	v_lshlrev_b32_e32 v11, 2, v8
	s_sub_co_i32 s15, s26, 32
	v_lshl_or_b32 v88, v3, 8, v13
	v_and_b32_e32 v16, 0x7fe0, v12
	s_wait_alu 0xfffd
	v_add_co_ci_u32_e64 v87, null, s3, v7, vcc_lo
	v_mul_u32_u24_e32 v14, 0x108, v8
	v_sub_co_ci_u32_e64 v7, null, 0, 0, s2
	v_cmp_gt_i32_e64 s2, s26, v8
	v_cmp_gt_i32_e64 s5, s26, v15
	v_mul_u32_u24_e32 v18, 0x420, v8
	v_cmp_gt_i32_e64 s12, s15, v8
	v_cmp_gt_i32_e64 s13, s15, v9
	;; [unrolled: 1-line block ×4, first 2 shown]
	v_cmp_eq_u32_e64 s16, 1, v8
	v_mul_i32_i24_e32 v15, 0xffffffe8, v8
	v_mad_u32_u24 v92, v8, 24, v91
	v_mul_lo_u32 v8, v2, s80
	v_or_b32_e32 v17, 1, v11
	v_cmp_lt_u32_e64 s6, v11, v3
	v_or_b32_e32 v19, 2, v11
	v_or_b32_e32 v11, 3, v11
	v_add_nc_u32_e32 v89, v88, v16
	v_add_nc_u32_e32 v90, 0x2380, v16
	v_lshrrev_b32_e32 v16, 4, v12
	v_cmp_le_i32_e32 vcc_lo, s26, v80
	s_mul_i32 s48, s18, s48
	s_add_nc_u64 s[30:31], s[42:43], s[8:9]
	v_cmp_lt_u32_e64 s9, v11, v3
	v_or_b32_e32 v11, 32, v3
	v_lshl_add_u32 v8, v8, 2, v80
	v_mad_u32_u24 v95, 0x860, v2, v83
	v_cmp_lt_u32_e64 s8, v19, v3
	s_wait_alu 0xfffe
	s_ashr_i32 s49, s48, 31
	v_and_b32_e32 v19, 15, v0
	v_and_b32_e32 v0, 48, v0
	v_lshlrev_b32_e32 v20, 5, v16
	v_cmp_gt_i32_e64 s4, s26, v10
	s_and_b32 s17, s17, vcc_lo
	s_wait_alu 0xfffe
	s_sub_nc_u64 s[86:87], 0, s[48:49]
	v_sub_co_u32 v4, vcc_lo, 0, v4
	v_sub_co_u32 v10, s48, 0, v80
	v_cmp_eq_u32_e64 s0, 0, v2
	v_cmp_gt_i32_e64 s3, s26, v9
	v_cmp_gt_i32_e64 s11, s26, v11
	s_wait_alu 0xfffd
	v_sub_co_ci_u32_e64 v5, null, 0, v5, vcc_lo
	v_ashrrev_i32_e32 v9, 31, v8
	s_wait_alu 0xf1ff
	v_sub_co_ci_u32_e64 v11, null, 0, 0, s48
	v_lshl_add_u32 v94, v2, 5, 0x2180
	v_mad_i32_i24 v99, 0xfffff9b8, v2, v95
	v_ashrrev_i32_e32 v2, 31, v1
	s_lshl_b32 s42, s80, 3
	s_lshl_b32 s44, s80, 4
	s_mul_i32 s46, s80, 24
	v_cmp_lt_u32_e64 s7, v17, v3
	v_mul_u32_u24_e32 v17, 0x108, v17
	s_lshl_b32 s82, s80, 5
	v_lshlrev_b32_e32 v0, 3, v0
	v_or_b32_e32 v22, 0x78, v83
	v_mad_u32_u24 v96, 0x218, v19, v20
	v_mul_i32_i24_e32 v16, 0xffffffe8, v16
	s_ashr_i32 s43, s42, 31
	s_ashr_i32 s45, s44, 31
	;; [unrolled: 1-line block ×5, first 2 shown]
	s_xor_b32 s19, s17, -1
	s_cmp_gt_i32 ttmp9, 0
	v_lshlrev_b64_e32 v[34:35], 3, v[6:7]
	v_lshlrev_b64_e32 v[36:37], 3, v[4:5]
	;; [unrolled: 1-line block ×5, first 2 shown]
	v_cndmask_b32_e64 v84, 0, 1, s1
	v_add_nc_u32_e32 v85, 0x2380, v83
	v_cmp_gt_i32_e64 s1, s26, v3
	v_cmp_gt_u32_e64 s10, 32, v12
	s_cselect_b32 s97, -1, 0
	s_lshl_b32 s98, s18, 6
	v_add_nc_u32_e32 v93, 0x2180, v83
	v_cmp_gt_u32_e64 s18, 64, v12
	v_mad_u32_u24 v97, 0x218, v19, v0
	v_mad_u32_u24 v98, 0x218, v19, v22
	v_add_nc_u32_e32 v100, 0x2380, v21
	v_add_nc_u32_e32 v101, v13, v14
	v_add_nc_u32_e32 v102, v13, v18
	v_add_nc_u32_e32 v103, v13, v17
	v_add_nc_u32_e32 v104, v90, v15
	v_add_nc_u32_e32 v105, v96, v16
	v_lshlrev_b32_e32 v106, 3, v3
	s_sub_nc_u64 s[84:85], 0, s[82:83]
	s_sub_nc_u64 s[88:89], 0, s[50:51]
	s_wait_alu 0xfffe
	s_and_b32 s99, s0, s19
	s_lshl_b64 s[48:49], s[80:81], 6
	s_lshl_b64 s[50:51], s[80:81], 3
	;; [unrolled: 1-line block ×4, first 2 shown]
	s_mul_u64 s[56:57], s[80:81], 24
	s_mul_u64 s[58:59], s[80:81], 0x90
	;; [unrolled: 1-line block ×10, first 2 shown]
	s_lshl_b64 s[76:77], s[80:81], 8
	s_mul_u64 s[78:79], s[80:81], 0x88
	s_lshl_b64 s[80:81], s[80:81], 7
	s_lshl_b64 s[82:83], s[82:83], 3
	;; [unrolled: 1-line block ×5, first 2 shown]
	s_sub_nc_u64 s[90:91], 0, s[26:27]
	s_branch .LBB108_4
.LBB108_2:                              ;   in Loop: Header=BB108_4 Depth=1
	s_wait_alu 0xfffe
	s_or_b32 exec_lo, exec_lo, s19
.LBB108_3:                              ;   in Loop: Header=BB108_4 Depth=1
	s_add_co_i32 s34, s34, 0x10000
	s_delay_alu instid0(SALU_CYCLE_1)
	s_cmp_lt_u32 s34, s33
	s_cbranch_scc0 .LBB108_79
.LBB108_4:                              ; =>This Loop Header: Depth=1
                                        ;     Child Loop BB108_67 Depth 2
	s_mul_u64 s[92:93], s[22:23], s[34:35]
	s_mul_u64 s[94:95], s[40:41], s[34:35]
	s_wait_alu 0xfffe
	s_lshl_b64 s[92:93], s[92:93], 3
	s_lshl_b64 s[94:95], s[94:95], 3
	s_wait_alu 0xfffe
	s_add_nc_u64 s[92:93], s[20:21], s[92:93]
	s_add_nc_u64 s[94:95], s[38:39], s[94:95]
	s_clause 0x1
	global_load_b64 v[0:1], v33, s[92:93]
	global_load_b64 v[2:3], v33, s[94:95]
	s_wait_loadcnt 0x1
	v_cmp_eq_f64_e64 s19, 0, v[0:1]
	s_wait_loadcnt 0x0
	v_cmp_eq_f64_e32 vcc_lo, 1.0, v[2:3]
	s_and_b32 s92, s19, vcc_lo
	s_wait_alu 0xfffe
	s_and_b32 vcc_lo, exec_lo, s92
	s_wait_alu 0xfffe
	s_cbranch_vccnz .LBB108_3
; %bb.5:                                ;   in Loop: Header=BB108_4 Depth=1
	s_and_b32 vcc_lo, exec_lo, s19
	s_wait_alu 0xfffe
	s_cbranch_vccnz .LBB108_3
; %bb.6:                                ;   in Loop: Header=BB108_4 Depth=1
	s_mul_u64 s[92:93], s[36:37], s[34:35]
	s_wait_alu 0xfffe
	s_lshl_b64 s[92:93], s[92:93], 3
	s_wait_alu 0xfffe
	v_add_co_u32 v16, vcc_lo, v81, s92
	s_wait_alu 0xfffd
	v_add_co_ci_u32_e64 v17, null, s93, v82, vcc_lo
	s_and_saveexec_b32 s19, s0
	s_cbranch_execz .LBB108_10
; %bb.7:                                ;   in Loop: Header=BB108_4 Depth=1
	v_mov_b32_e32 v0, 0
	v_mov_b32_e32 v1, 0
	s_and_saveexec_b32 s92, s96
	s_cbranch_execz .LBB108_9
; %bb.8:                                ;   in Loop: Header=BB108_4 Depth=1
	global_load_b64 v[0:1], v[16:17], off
.LBB108_9:                              ;   in Loop: Header=BB108_4 Depth=1
	s_wait_alu 0xfffe
	s_or_b32 exec_lo, exec_lo, s92
	s_wait_loadcnt 0x0
	ds_store_b64 v85, v[0:1]
.LBB108_10:                             ;   in Loop: Header=BB108_4 Depth=1
	s_wait_alu 0xfffe
	s_or_b32 exec_lo, exec_lo, s19
	s_mul_u64 s[92:93], s[28:29], s[34:35]
	v_cmp_ne_u32_e32 vcc_lo, 1, v84
	s_wait_alu 0xfffe
	s_lshl_b64 s[92:93], s[92:93], 3
	s_wait_alu 0xfffe
	v_add_co_u32 v0, s19, v86, s92
	s_wait_alu 0xf1ff
	v_add_co_ci_u32_e64 v1, null, s93, v87, s19
	s_mov_b32 s19, -1
	s_cbranch_vccnz .LBB108_12
; %bb.11:                               ;   in Loop: Header=BB108_4 Depth=1
	s_lshl_b64 s[92:93], s[42:43], 3
	s_mov_b32 s19, 0
	s_wait_alu 0xfffe
	v_add_co_u32 v2, vcc_lo, v0, s92
	s_wait_alu 0xfffd
	v_add_co_ci_u32_e64 v3, null, s93, v1, vcc_lo
	s_delay_alu instid0(VALU_DEP_2) | instskip(SKIP_1) | instid1(VALU_DEP_2)
	v_add_co_u32 v4, vcc_lo, v2, s48
	s_wait_alu 0xfffd
	v_add_co_ci_u32_e64 v5, null, s49, v3, vcc_lo
	s_delay_alu instid0(VALU_DEP_2) | instskip(SKIP_1) | instid1(VALU_DEP_2)
	v_add_co_u32 v6, vcc_lo, v4, s48
	s_wait_alu 0xfffd
	v_add_co_ci_u32_e64 v7, null, s49, v5, vcc_lo
	s_clause 0x3
	global_load_b64 v[8:9], v[0:1], off
	global_load_b64 v[2:3], v[2:3], off
	;; [unrolled: 1-line block ×4, first 2 shown]
	s_wait_loadcnt 0x3
	ds_store_b64 v101, v[8:9]
	s_wait_loadcnt 0x2
	ds_store_b64 v101, v[2:3] offset:2112
	s_wait_loadcnt 0x1
	ds_store_b64 v101, v[4:5] offset:4224
	;; [unrolled: 2-line block ×3, first 2 shown]
.LBB108_12:                             ;   in Loop: Header=BB108_4 Depth=1
	s_wait_alu 0xfffe
	s_and_not1_b32 vcc_lo, exec_lo, s19
	s_wait_alu 0xfffe
	s_cbranch_vccnz .LBB108_22
; %bb.13:                               ;   in Loop: Header=BB108_4 Depth=1
	v_add_co_u32 v2, vcc_lo, v0, v34
	s_wait_alu 0xfffd
	v_add_co_ci_u32_e64 v3, null, v1, v35, vcc_lo
	s_lshl_b64 s[92:93], s[26:27], 3
	v_mov_b32_e32 v6, 0
	s_wait_alu 0xfffe
	v_add_co_u32 v2, vcc_lo, v2, s92
	s_wait_alu 0xfffd
	v_add_co_ci_u32_e64 v3, null, s93, v3, vcc_lo
	v_dual_mov_b32 v7, 0 :: v_dual_mov_b32 v4, 0
	s_delay_alu instid0(VALU_DEP_3) | instskip(SKIP_1) | instid1(VALU_DEP_3)
	v_add_co_u32 v2, vcc_lo, v2, -8
	s_wait_alu 0xfffd
	v_add_co_ci_u32_e64 v3, null, -1, v3, vcc_lo
	v_mov_b32_e32 v5, 0
	s_delay_alu instid0(VALU_DEP_3) | instskip(NEXT) | instid1(VALU_DEP_3)
	v_cndmask_b32_e64 v2, v2, v0, s1
	v_cndmask_b32_e64 v3, v3, v1, s1
	s_and_saveexec_b32 s19, s2
	s_cbranch_execz .LBB108_15
; %bb.14:                               ;   in Loop: Header=BB108_4 Depth=1
	global_load_b64 v[4:5], v[2:3], off
.LBB108_15:                             ;   in Loop: Header=BB108_4 Depth=1
	s_wait_alu 0xfffe
	s_or_b32 exec_lo, exec_lo, s19
	s_wait_loadcnt 0x0
	ds_store_b64 v101, v[4:5]
	s_and_saveexec_b32 s19, s3
	s_cbranch_execz .LBB108_17
; %bb.16:                               ;   in Loop: Header=BB108_4 Depth=1
	s_lshl_b64 s[92:93], s[42:43], 3
	s_wait_alu 0xfffe
	v_add_co_u32 v4, vcc_lo, v2, s92
	s_wait_alu 0xfffd
	v_add_co_ci_u32_e64 v5, null, s93, v3, vcc_lo
	global_load_b64 v[6:7], v[4:5], off
.LBB108_17:                             ;   in Loop: Header=BB108_4 Depth=1
	s_wait_alu 0xfffe
	s_or_b32 exec_lo, exec_lo, s19
	v_mov_b32_e32 v4, 0
	v_dual_mov_b32 v5, 0 :: v_dual_mov_b32 v8, 0
	v_mov_b32_e32 v9, 0
	s_wait_loadcnt 0x0
	ds_store_b64 v101, v[6:7] offset:2112
	s_and_saveexec_b32 s19, s4
	s_cbranch_execz .LBB108_19
; %bb.18:                               ;   in Loop: Header=BB108_4 Depth=1
	s_lshl_b64 s[92:93], s[44:45], 3
	s_wait_alu 0xfffe
	v_add_co_u32 v6, vcc_lo, v2, s92
	s_wait_alu 0xfffd
	v_add_co_ci_u32_e64 v7, null, s93, v3, vcc_lo
	global_load_b64 v[8:9], v[6:7], off
.LBB108_19:                             ;   in Loop: Header=BB108_4 Depth=1
	s_wait_alu 0xfffe
	s_or_b32 exec_lo, exec_lo, s19
	s_wait_loadcnt 0x0
	ds_store_b64 v101, v[8:9] offset:4224
	s_and_saveexec_b32 s19, s5
	s_cbranch_execz .LBB108_21
; %bb.20:                               ;   in Loop: Header=BB108_4 Depth=1
	s_lshl_b64 s[92:93], s[46:47], 3
	s_wait_alu 0xfffe
	v_add_co_u32 v4, vcc_lo, v2, s92
	s_wait_alu 0xfffd
	v_add_co_ci_u32_e64 v5, null, s93, v3, vcc_lo
	global_load_b64 v[4:5], v[4:5], off
.LBB108_21:                             ;   in Loop: Header=BB108_4 Depth=1
	s_wait_alu 0xfffe
	s_or_b32 exec_lo, exec_lo, s19
	v_add_co_u32 v2, vcc_lo, v2, v106
	s_wait_alu 0xfffd
	v_add_co_ci_u32_e64 v3, null, 0, v3, vcc_lo
	s_lshl_b64 s[92:93], s[90:91], 3
	s_wait_loadcnt 0x0
	ds_store_b64 v101, v[4:5] offset:6336
	s_wait_alu 0xfffe
	v_add_co_u32 v2, vcc_lo, v2, s92
	s_wait_alu 0xfffd
	v_add_co_ci_u32_e64 v3, null, s93, v3, vcc_lo
	s_delay_alu instid0(VALU_DEP_2) | instskip(SKIP_1) | instid1(VALU_DEP_2)
	v_add_co_u32 v2, vcc_lo, v2, 8
	s_wait_alu 0xfffd
	v_add_co_ci_u32_e64 v3, null, 0, v3, vcc_lo
	s_delay_alu instid0(VALU_DEP_2) | instskip(NEXT) | instid1(VALU_DEP_2)
	v_cndmask_b32_e64 v0, v2, v0, s1
	v_cndmask_b32_e64 v1, v3, v1, s1
.LBB108_22:                             ;   in Loop: Header=BB108_4 Depth=1
	s_wait_dscnt 0x0
	s_barrier_signal -1
	s_barrier_wait -1
	global_inv scope:SCOPE_SE
	s_and_saveexec_b32 s19, s6
	s_cbranch_execnz .LBB108_73
; %bb.23:                               ;   in Loop: Header=BB108_4 Depth=1
	s_wait_alu 0xfffe
	s_or_b32 exec_lo, exec_lo, s19
	s_and_saveexec_b32 s19, s7
	s_cbranch_execnz .LBB108_74
.LBB108_24:                             ;   in Loop: Header=BB108_4 Depth=1
	s_wait_alu 0xfffe
	s_or_b32 exec_lo, exec_lo, s19
	s_and_saveexec_b32 s19, s8
	s_cbranch_execnz .LBB108_75
.LBB108_25:                             ;   in Loop: Header=BB108_4 Depth=1
	s_wait_alu 0xfffe
	s_or_b32 exec_lo, exec_lo, s19
	s_and_saveexec_b32 s19, s9
	s_cbranch_execz .LBB108_27
.LBB108_26:                             ;   in Loop: Header=BB108_4 Depth=1
	ds_load_b64 v[2:3], v103 offset:528
	s_wait_dscnt 0x0
	ds_store_b64 v89, v[2:3] offset:24
.LBB108_27:                             ;   in Loop: Header=BB108_4 Depth=1
	s_wait_alu 0xfffe
	s_or_b32 exec_lo, exec_lo, s19
	s_wait_loadcnt_dscnt 0x0
	s_barrier_signal -1
	s_barrier_wait -1
	global_inv scope:SCOPE_SE
	ds_load_b64 v[10:11], v102
	ds_load_b128 v[2:5], v90
	ds_load_b128 v[6:9], v90 offset:16
	ds_load_b64 v[14:15], v103 offset:528
	v_mov_b32_e32 v44, 0
	v_mov_b32_e32 v45, 0
	s_wait_dscnt 0x2
	v_fma_f64 v[2:3], v[10:11], v[2:3], 0
	ds_load_2addr_b64 v[10:13], v103 offset1:33
	s_wait_loadcnt_dscnt 0x0
	s_barrier_signal -1
	s_barrier_wait -1
	global_inv scope:SCOPE_SE
	v_fma_f64 v[2:3], v[10:11], v[4:5], v[2:3]
	s_delay_alu instid0(VALU_DEP_1) | instskip(NEXT) | instid1(VALU_DEP_1)
	v_fma_f64 v[2:3], v[12:13], v[6:7], v[2:3]
	v_fma_f64 v[2:3], v[14:15], v[8:9], v[2:3]
	ds_store_b64 v91, v[2:3]
	s_wait_loadcnt_dscnt 0x0
	s_barrier_signal -1
	s_barrier_wait -1
	global_inv scope:SCOPE_SE
	s_and_saveexec_b32 s19, s10
	s_cbranch_execz .LBB108_29
; %bb.28:                               ;   in Loop: Header=BB108_4 Depth=1
	ds_load_2addr_b64 v[2:5], v88 offset1:1
	ds_load_2addr_b64 v[6:9], v88 offset0:2 offset1:3
	s_wait_dscnt 0x1
	v_add_f64_e32 v[2:3], v[2:3], v[4:5]
	s_wait_dscnt 0x0
	s_delay_alu instid0(VALU_DEP_1) | instskip(NEXT) | instid1(VALU_DEP_1)
	v_add_f64_e32 v[2:3], v[2:3], v[6:7]
	v_add_f64_e32 v[10:11], v[2:3], v[8:9]
	ds_load_2addr_b64 v[2:5], v88 offset0:4 offset1:5
	ds_load_2addr_b64 v[6:9], v88 offset0:6 offset1:7
	s_wait_dscnt 0x1
	v_add_f64_e32 v[2:3], v[10:11], v[2:3]
	s_delay_alu instid0(VALU_DEP_1) | instskip(SKIP_1) | instid1(VALU_DEP_1)
	v_add_f64_e32 v[2:3], v[2:3], v[4:5]
	s_wait_dscnt 0x0
	v_add_f64_e32 v[2:3], v[2:3], v[6:7]
	s_delay_alu instid0(VALU_DEP_1)
	v_add_f64_e32 v[44:45], v[2:3], v[8:9]
.LBB108_29:                             ;   in Loop: Header=BB108_4 Depth=1
	s_wait_alu 0xfffe
	s_or_b32 exec_lo, exec_lo, s19
	v_cmp_ne_u32_e32 vcc_lo, 1, v84
	v_add_co_u32 v0, s19, v0, s82
	s_wait_alu 0xf1ff
	v_add_co_ci_u32_e64 v1, null, s83, v1, s19
	s_and_b32 vcc_lo, exec_lo, vcc_lo
	s_mov_b32 s19, -1
	s_wait_loadcnt 0x0
	s_barrier_signal -1
	s_barrier_wait -1
	global_inv scope:SCOPE_SE
	s_wait_alu 0xfffe
	s_cbranch_vccnz .LBB108_31
; %bb.30:                               ;   in Loop: Header=BB108_4 Depth=1
	s_lshl_b64 s[92:93], s[42:43], 3
	s_mov_b32 s19, 0
	s_wait_alu 0xfffe
	v_add_co_u32 v2, vcc_lo, v0, s92
	s_wait_alu 0xfffd
	v_add_co_ci_u32_e64 v3, null, s93, v1, vcc_lo
	s_delay_alu instid0(VALU_DEP_2) | instskip(SKIP_1) | instid1(VALU_DEP_2)
	v_add_co_u32 v4, vcc_lo, v2, s48
	s_wait_alu 0xfffd
	v_add_co_ci_u32_e64 v5, null, s49, v3, vcc_lo
	s_delay_alu instid0(VALU_DEP_2) | instskip(SKIP_1) | instid1(VALU_DEP_2)
	v_add_co_u32 v6, vcc_lo, v4, s48
	s_wait_alu 0xfffd
	v_add_co_ci_u32_e64 v7, null, s49, v5, vcc_lo
	s_clause 0x3
	global_load_b64 v[8:9], v[0:1], off offset:256
	global_load_b64 v[2:3], v[2:3], off offset:256
	global_load_b64 v[4:5], v[4:5], off offset:256
	global_load_b64 v[6:7], v[6:7], off offset:256
	s_wait_loadcnt 0x3
	ds_store_b64 v101, v[8:9]
	s_wait_loadcnt 0x2
	ds_store_b64 v101, v[2:3] offset:2112
	s_wait_loadcnt 0x1
	ds_store_b64 v101, v[4:5] offset:4224
	;; [unrolled: 2-line block ×3, first 2 shown]
.LBB108_31:                             ;   in Loop: Header=BB108_4 Depth=1
	v_add_co_u32 v8, vcc_lo, 0x100, v0
	s_wait_alu 0xfffd
	v_add_co_ci_u32_e64 v9, null, 0, v1, vcc_lo
	s_and_not1_b32 vcc_lo, exec_lo, s19
	s_wait_alu 0xfffe
	s_cbranch_vccnz .LBB108_41
; %bb.32:                               ;   in Loop: Header=BB108_4 Depth=1
	v_add_co_u32 v0, vcc_lo, v0, v34
	s_wait_alu 0xfffd
	v_add_co_ci_u32_e64 v1, null, v1, v35, vcc_lo
	s_lshl_b64 s[92:93], s[26:27], 3
	v_mov_b32_e32 v4, 0
	s_wait_alu 0xfffe
	v_add_co_u32 v0, vcc_lo, v0, s92
	s_wait_alu 0xfffd
	v_add_co_ci_u32_e64 v1, null, s93, v1, vcc_lo
	v_dual_mov_b32 v5, 0 :: v_dual_mov_b32 v2, 0
	s_delay_alu instid0(VALU_DEP_3) | instskip(SKIP_1) | instid1(VALU_DEP_3)
	v_add_co_u32 v0, vcc_lo, v0, -8
	s_wait_alu 0xfffd
	v_add_co_ci_u32_e64 v1, null, -1, v1, vcc_lo
	v_mov_b32_e32 v3, 0
	s_delay_alu instid0(VALU_DEP_3) | instskip(NEXT) | instid1(VALU_DEP_3)
	v_cndmask_b32_e64 v0, v0, v8, s11
	v_cndmask_b32_e64 v1, v1, v9, s11
	s_and_saveexec_b32 s19, s12
	s_cbranch_execz .LBB108_34
; %bb.33:                               ;   in Loop: Header=BB108_4 Depth=1
	global_load_b64 v[2:3], v[0:1], off
.LBB108_34:                             ;   in Loop: Header=BB108_4 Depth=1
	s_wait_alu 0xfffe
	s_or_b32 exec_lo, exec_lo, s19
	s_wait_loadcnt 0x0
	ds_store_b64 v101, v[2:3]
	s_and_saveexec_b32 s19, s13
	s_cbranch_execz .LBB108_36
; %bb.35:                               ;   in Loop: Header=BB108_4 Depth=1
	s_lshl_b64 s[92:93], s[42:43], 3
	s_wait_alu 0xfffe
	v_add_co_u32 v2, vcc_lo, v0, s92
	s_wait_alu 0xfffd
	v_add_co_ci_u32_e64 v3, null, s93, v1, vcc_lo
	global_load_b64 v[4:5], v[2:3], off
.LBB108_36:                             ;   in Loop: Header=BB108_4 Depth=1
	s_wait_alu 0xfffe
	s_or_b32 exec_lo, exec_lo, s19
	v_mov_b32_e32 v2, 0
	v_dual_mov_b32 v3, 0 :: v_dual_mov_b32 v6, 0
	v_mov_b32_e32 v7, 0
	s_wait_loadcnt 0x0
	ds_store_b64 v101, v[4:5] offset:2112
	s_and_saveexec_b32 s19, s14
	s_cbranch_execz .LBB108_38
; %bb.37:                               ;   in Loop: Header=BB108_4 Depth=1
	s_lshl_b64 s[92:93], s[44:45], 3
	s_wait_alu 0xfffe
	v_add_co_u32 v4, vcc_lo, v0, s92
	s_wait_alu 0xfffd
	v_add_co_ci_u32_e64 v5, null, s93, v1, vcc_lo
	global_load_b64 v[6:7], v[4:5], off
.LBB108_38:                             ;   in Loop: Header=BB108_4 Depth=1
	s_wait_alu 0xfffe
	s_or_b32 exec_lo, exec_lo, s19
	s_wait_loadcnt 0x0
	ds_store_b64 v101, v[6:7] offset:4224
	s_and_saveexec_b32 s19, s15
	s_cbranch_execz .LBB108_40
; %bb.39:                               ;   in Loop: Header=BB108_4 Depth=1
	s_lshl_b64 s[92:93], s[46:47], 3
	s_wait_alu 0xfffe
	v_add_co_u32 v2, vcc_lo, v0, s92
	s_wait_alu 0xfffd
	v_add_co_ci_u32_e64 v3, null, s93, v1, vcc_lo
	global_load_b64 v[2:3], v[2:3], off
.LBB108_40:                             ;   in Loop: Header=BB108_4 Depth=1
	s_wait_alu 0xfffe
	s_or_b32 exec_lo, exec_lo, s19
	v_add_co_u32 v0, vcc_lo, v0, v106
	s_wait_alu 0xfffd
	v_add_co_ci_u32_e64 v1, null, 0, v1, vcc_lo
	s_lshl_b64 s[92:93], s[90:91], 3
	s_wait_loadcnt 0x0
	ds_store_b64 v101, v[2:3] offset:6336
	s_wait_alu 0xfffe
	v_add_co_u32 v0, vcc_lo, v0, s92
	s_wait_alu 0xfffd
	v_add_co_ci_u32_e64 v1, null, s93, v1, vcc_lo
	s_delay_alu instid0(VALU_DEP_2) | instskip(SKIP_1) | instid1(VALU_DEP_2)
	v_add_co_u32 v0, vcc_lo, 0x108, v0
	s_wait_alu 0xfffd
	v_add_co_ci_u32_e64 v1, null, 0, v1, vcc_lo
	s_delay_alu instid0(VALU_DEP_2) | instskip(NEXT) | instid1(VALU_DEP_2)
	v_cndmask_b32_e64 v8, v0, v8, s11
	v_cndmask_b32_e64 v9, v1, v9, s11
.LBB108_41:                             ;   in Loop: Header=BB108_4 Depth=1
	s_wait_loadcnt_dscnt 0x0
	s_barrier_signal -1
	s_barrier_wait -1
	global_inv scope:SCOPE_SE
	s_and_saveexec_b32 s19, s6
	s_cbranch_execnz .LBB108_76
; %bb.42:                               ;   in Loop: Header=BB108_4 Depth=1
	s_wait_alu 0xfffe
	s_or_b32 exec_lo, exec_lo, s19
	s_and_saveexec_b32 s19, s7
	s_cbranch_execnz .LBB108_77
.LBB108_43:                             ;   in Loop: Header=BB108_4 Depth=1
	s_wait_alu 0xfffe
	s_or_b32 exec_lo, exec_lo, s19
	s_and_saveexec_b32 s19, s8
	s_cbranch_execnz .LBB108_78
.LBB108_44:                             ;   in Loop: Header=BB108_4 Depth=1
	s_wait_alu 0xfffe
	s_or_b32 exec_lo, exec_lo, s19
	s_and_saveexec_b32 s19, s9
	s_cbranch_execz .LBB108_46
.LBB108_45:                             ;   in Loop: Header=BB108_4 Depth=1
	ds_load_b64 v[0:1], v103 offset:528
	s_wait_dscnt 0x0
	ds_store_b64 v89, v[0:1] offset:24
.LBB108_46:                             ;   in Loop: Header=BB108_4 Depth=1
	s_wait_alu 0xfffe
	s_or_b32 exec_lo, exec_lo, s19
	s_wait_loadcnt_dscnt 0x0
	s_barrier_signal -1
	s_barrier_wait -1
	global_inv scope:SCOPE_SE
	ds_load_b64 v[10:11], v102
	ds_load_b128 v[0:3], v90 offset:256
	ds_load_b128 v[4:7], v90 offset:272
	ds_load_b64 v[14:15], v103 offset:528
	s_wait_dscnt 0x2
	v_fma_f64 v[0:1], v[10:11], v[0:1], 0
	ds_load_2addr_b64 v[10:13], v103 offset1:33
	s_wait_loadcnt_dscnt 0x0
	s_barrier_signal -1
	s_barrier_wait -1
	global_inv scope:SCOPE_SE
	v_fma_f64 v[0:1], v[10:11], v[2:3], v[0:1]
	s_delay_alu instid0(VALU_DEP_1) | instskip(NEXT) | instid1(VALU_DEP_1)
	v_fma_f64 v[0:1], v[12:13], v[4:5], v[0:1]
	v_fma_f64 v[0:1], v[14:15], v[6:7], v[0:1]
	ds_store_b64 v91, v[0:1]
	s_wait_loadcnt_dscnt 0x0
	s_barrier_signal -1
	s_barrier_wait -1
	global_inv scope:SCOPE_SE
	s_and_saveexec_b32 s19, s16
	s_cbranch_execz .LBB108_48
; %bb.47:                               ;   in Loop: Header=BB108_4 Depth=1
	ds_load_2addr_b64 v[0:3], v88 offset1:1
	ds_load_2addr_b64 v[4:7], v88 offset0:2 offset1:3
	s_wait_dscnt 0x1
	v_add_f64_e32 v[0:1], v[0:1], v[2:3]
	s_wait_dscnt 0x0
	s_delay_alu instid0(VALU_DEP_1) | instskip(NEXT) | instid1(VALU_DEP_1)
	v_add_f64_e32 v[0:1], v[0:1], v[4:5]
	v_add_f64_e32 v[10:11], v[0:1], v[6:7]
	ds_load_2addr_b64 v[0:3], v88 offset0:4 offset1:5
	ds_load_2addr_b64 v[4:7], v88 offset0:6 offset1:7
	s_wait_dscnt 0x1
	v_add_f64_e32 v[0:1], v[10:11], v[0:1]
	s_delay_alu instid0(VALU_DEP_1) | instskip(SKIP_1) | instid1(VALU_DEP_1)
	v_add_f64_e32 v[0:1], v[0:1], v[2:3]
	s_wait_dscnt 0x0
	v_add_f64_e32 v[0:1], v[0:1], v[4:5]
	s_delay_alu instid0(VALU_DEP_1)
	v_add_f64_e32 v[44:45], v[0:1], v[6:7]
.LBB108_48:                             ;   in Loop: Header=BB108_4 Depth=1
	s_wait_alu 0xfffe
	s_or_b32 exec_lo, exec_lo, s19
	v_cmp_ne_u32_e32 vcc_lo, 1, v84
	v_add_co_u32 v18, s19, v8, s84
	s_wait_alu 0xf1ff
	v_add_co_ci_u32_e64 v19, null, s85, v9, s19
	s_and_b32 vcc_lo, exec_lo, vcc_lo
	s_mov_b32 s19, -1
	s_wait_loadcnt 0x0
	s_barrier_signal -1
	s_barrier_wait -1
	global_inv scope:SCOPE_SE
	s_wait_alu 0xfffe
	s_cbranch_vccnz .LBB108_50
; %bb.49:                               ;   in Loop: Header=BB108_4 Depth=1
	s_lshl_b64 s[92:93], s[42:43], 3
	s_mov_b32 s19, 0
	s_wait_alu 0xfffe
	v_add_co_u32 v0, vcc_lo, v18, s92
	s_wait_alu 0xfffd
	v_add_co_ci_u32_e64 v1, null, s93, v19, vcc_lo
	s_delay_alu instid0(VALU_DEP_2) | instskip(SKIP_1) | instid1(VALU_DEP_2)
	v_add_co_u32 v2, vcc_lo, v0, s48
	s_wait_alu 0xfffd
	v_add_co_ci_u32_e64 v3, null, s49, v1, vcc_lo
	s_delay_alu instid0(VALU_DEP_2) | instskip(SKIP_1) | instid1(VALU_DEP_2)
	v_add_co_u32 v4, vcc_lo, v2, s48
	s_wait_alu 0xfffd
	v_add_co_ci_u32_e64 v5, null, s49, v3, vcc_lo
	s_clause 0x3
	global_load_b64 v[6:7], v[18:19], off
	global_load_b64 v[0:1], v[0:1], off
	;; [unrolled: 1-line block ×4, first 2 shown]
	s_wait_loadcnt 0x3
	ds_store_b64 v101, v[6:7]
	s_wait_loadcnt 0x2
	ds_store_b64 v101, v[0:1] offset:2112
	s_wait_loadcnt 0x1
	ds_store_b64 v101, v[2:3] offset:4224
	;; [unrolled: 2-line block ×3, first 2 shown]
.LBB108_50:                             ;   in Loop: Header=BB108_4 Depth=1
	s_and_not1_b32 vcc_lo, exec_lo, s19
	s_wait_alu 0xfffe
	s_cbranch_vccnz .LBB108_60
; %bb.51:                               ;   in Loop: Header=BB108_4 Depth=1
	v_add_co_u32 v0, vcc_lo, v18, v34
	s_wait_alu 0xfffd
	v_add_co_ci_u32_e64 v1, null, v19, v35, vcc_lo
	s_lshl_b64 s[92:93], s[26:27], 3
	v_mov_b32_e32 v4, 0
	s_wait_alu 0xfffe
	v_add_co_u32 v0, vcc_lo, v0, s92
	s_wait_alu 0xfffd
	v_add_co_ci_u32_e64 v1, null, s93, v1, vcc_lo
	v_dual_mov_b32 v5, 0 :: v_dual_mov_b32 v2, 0
	s_delay_alu instid0(VALU_DEP_3) | instskip(SKIP_1) | instid1(VALU_DEP_3)
	v_add_co_u32 v0, vcc_lo, 0xfffffef8, v0
	s_wait_alu 0xfffd
	v_add_co_ci_u32_e64 v1, null, -1, v1, vcc_lo
	v_mov_b32_e32 v3, 0
	s_delay_alu instid0(VALU_DEP_3) | instskip(NEXT) | instid1(VALU_DEP_3)
	v_cndmask_b32_e64 v0, v0, v18, s11
	v_cndmask_b32_e64 v1, v1, v19, s11
	s_and_saveexec_b32 s19, s2
	s_cbranch_execz .LBB108_53
; %bb.52:                               ;   in Loop: Header=BB108_4 Depth=1
	global_load_b64 v[2:3], v[0:1], off
.LBB108_53:                             ;   in Loop: Header=BB108_4 Depth=1
	s_wait_alu 0xfffe
	s_or_b32 exec_lo, exec_lo, s19
	s_wait_loadcnt 0x0
	ds_store_b64 v101, v[2:3]
	s_and_saveexec_b32 s19, s3
	s_cbranch_execz .LBB108_55
; %bb.54:                               ;   in Loop: Header=BB108_4 Depth=1
	s_lshl_b64 s[92:93], s[42:43], 3
	s_wait_alu 0xfffe
	v_add_co_u32 v2, vcc_lo, v0, s92
	s_wait_alu 0xfffd
	v_add_co_ci_u32_e64 v3, null, s93, v1, vcc_lo
	global_load_b64 v[4:5], v[2:3], off
.LBB108_55:                             ;   in Loop: Header=BB108_4 Depth=1
	s_wait_alu 0xfffe
	s_or_b32 exec_lo, exec_lo, s19
	v_mov_b32_e32 v2, 0
	v_dual_mov_b32 v3, 0 :: v_dual_mov_b32 v6, 0
	v_mov_b32_e32 v7, 0
	s_wait_loadcnt 0x0
	ds_store_b64 v101, v[4:5] offset:2112
	s_and_saveexec_b32 s19, s4
	s_cbranch_execz .LBB108_57
; %bb.56:                               ;   in Loop: Header=BB108_4 Depth=1
	s_lshl_b64 s[92:93], s[44:45], 3
	s_wait_alu 0xfffe
	v_add_co_u32 v4, vcc_lo, v0, s92
	s_wait_alu 0xfffd
	v_add_co_ci_u32_e64 v5, null, s93, v1, vcc_lo
	global_load_b64 v[6:7], v[4:5], off
.LBB108_57:                             ;   in Loop: Header=BB108_4 Depth=1
	s_wait_alu 0xfffe
	s_or_b32 exec_lo, exec_lo, s19
	s_wait_loadcnt 0x0
	ds_store_b64 v101, v[6:7] offset:4224
	s_and_saveexec_b32 s19, s5
	s_cbranch_execz .LBB108_59
; %bb.58:                               ;   in Loop: Header=BB108_4 Depth=1
	s_lshl_b64 s[92:93], s[46:47], 3
	s_wait_alu 0xfffe
	v_add_co_u32 v2, vcc_lo, v0, s92
	s_wait_alu 0xfffd
	v_add_co_ci_u32_e64 v3, null, s93, v1, vcc_lo
	global_load_b64 v[2:3], v[2:3], off
.LBB108_59:                             ;   in Loop: Header=BB108_4 Depth=1
	s_wait_alu 0xfffe
	s_or_b32 exec_lo, exec_lo, s19
	v_add_co_u32 v0, vcc_lo, v0, v106
	s_wait_alu 0xfffd
	v_add_co_ci_u32_e64 v1, null, 0, v1, vcc_lo
	s_lshl_b64 s[92:93], s[90:91], 3
	s_wait_loadcnt 0x0
	ds_store_b64 v101, v[2:3] offset:6336
	s_wait_alu 0xfffe
	v_add_co_u32 v0, vcc_lo, v0, s92
	s_wait_alu 0xfffd
	v_add_co_ci_u32_e64 v1, null, s93, v1, vcc_lo
	s_delay_alu instid0(VALU_DEP_2) | instskip(SKIP_1) | instid1(VALU_DEP_2)
	v_add_co_u32 v0, vcc_lo, 0x108, v0
	s_wait_alu 0xfffd
	v_add_co_ci_u32_e64 v1, null, 0, v1, vcc_lo
	s_delay_alu instid0(VALU_DEP_2) | instskip(NEXT) | instid1(VALU_DEP_2)
	v_cndmask_b32_e64 v18, v0, v18, s11
	v_cndmask_b32_e64 v19, v1, v19, s11
.LBB108_60:                             ;   in Loop: Header=BB108_4 Depth=1
	s_wait_loadcnt_dscnt 0x0
	s_barrier_signal -1
	s_barrier_wait -1
	global_inv scope:SCOPE_SE
	ds_load_b64 v[0:1], v101
	ds_load_b64 v[2:3], v104
	ds_load_b64 v[4:5], v101 offset:6336
	ds_load_b64 v[6:7], v101 offset:2112
	;; [unrolled: 1-line block ×4, first 2 shown]
	s_wait_dscnt 0x4
	v_fma_f64 v[12:13], v[0:1], v[2:3], 0
	ds_load_2addr_b64 v[0:3], v100 offset0:8 offset1:16
	s_wait_dscnt 0x0
	v_fma_f64 v[0:1], v[6:7], v[0:1], v[12:13]
	s_delay_alu instid0(VALU_DEP_1) | instskip(NEXT) | instid1(VALU_DEP_1)
	v_fma_f64 v[0:1], v[8:9], v[2:3], v[0:1]
	v_fma_f64 v[20:21], v[4:5], v[10:11], v[0:1]
	ds_load_b128 v[8:11], v90 offset:256
	ds_load_b128 v[0:3], v90 offset:272
	ds_load_2addr_b64 v[12:15], v92 offset1:1
	ds_load_2addr_b64 v[4:7], v92 offset0:2 offset1:3
	s_wait_loadcnt_dscnt 0x0
	s_barrier_signal -1
	s_barrier_wait -1
	global_inv scope:SCOPE_SE
	ds_store_b64 v91, v[20:21]
	s_wait_loadcnt_dscnt 0x0
	s_barrier_signal -1
	s_barrier_wait -1
	global_inv scope:SCOPE_SE
	s_and_saveexec_b32 s19, s16
	s_cbranch_execz .LBB108_62
; %bb.61:                               ;   in Loop: Header=BB108_4 Depth=1
	ds_load_2addr_b64 v[20:23], v88 offset1:1
	ds_load_2addr_b64 v[24:27], v88 offset0:2 offset1:3
	s_wait_dscnt 0x1
	v_add_f64_e32 v[20:21], v[44:45], v[20:21]
	s_delay_alu instid0(VALU_DEP_1) | instskip(SKIP_1) | instid1(VALU_DEP_1)
	v_add_f64_e32 v[20:21], v[20:21], v[22:23]
	s_wait_dscnt 0x0
	v_add_f64_e32 v[20:21], v[20:21], v[24:25]
	s_delay_alu instid0(VALU_DEP_1) | instskip(SKIP_4) | instid1(VALU_DEP_1)
	v_add_f64_e32 v[28:29], v[20:21], v[26:27]
	ds_load_2addr_b64 v[20:23], v88 offset0:4 offset1:5
	ds_load_2addr_b64 v[24:27], v88 offset0:6 offset1:7
	s_wait_dscnt 0x1
	v_add_f64_e32 v[20:21], v[28:29], v[20:21]
	v_add_f64_e32 v[20:21], v[20:21], v[22:23]
	s_wait_dscnt 0x0
	s_delay_alu instid0(VALU_DEP_1) | instskip(NEXT) | instid1(VALU_DEP_1)
	v_add_f64_e32 v[20:21], v[20:21], v[24:25]
	v_add_f64_e32 v[44:45], v[20:21], v[26:27]
.LBB108_62:                             ;   in Loop: Header=BB108_4 Depth=1
	s_wait_alu 0xfffe
	s_or_b32 exec_lo, exec_lo, s19
	v_fma_f64 v[8:9], v[12:13], v[8:9], 0
	s_wait_loadcnt 0x0
	s_barrier_signal -1
	s_barrier_wait -1
	global_inv scope:SCOPE_SE
	v_fma_f64 v[8:9], v[14:15], v[10:11], v[8:9]
	s_delay_alu instid0(VALU_DEP_1) | instskip(NEXT) | instid1(VALU_DEP_1)
	v_fma_f64 v[0:1], v[4:5], v[0:1], v[8:9]
	v_fma_f64 v[0:1], v[6:7], v[2:3], v[0:1]
	ds_store_b64 v91, v[0:1]
	s_wait_loadcnt_dscnt 0x0
	s_barrier_signal -1
	s_barrier_wait -1
	global_inv scope:SCOPE_SE
	s_and_saveexec_b32 s19, s10
	s_cbranch_execz .LBB108_64
; %bb.63:                               ;   in Loop: Header=BB108_4 Depth=1
	ds_load_2addr_b64 v[0:3], v88 offset1:1
	ds_load_2addr_b64 v[4:7], v88 offset0:2 offset1:3
	s_wait_dscnt 0x1
	v_add_f64_e32 v[0:1], v[44:45], v[0:1]
	s_delay_alu instid0(VALU_DEP_1) | instskip(SKIP_1) | instid1(VALU_DEP_1)
	v_add_f64_e32 v[0:1], v[0:1], v[2:3]
	s_wait_dscnt 0x0
	v_add_f64_e32 v[0:1], v[0:1], v[4:5]
	s_delay_alu instid0(VALU_DEP_1) | instskip(SKIP_4) | instid1(VALU_DEP_1)
	v_add_f64_e32 v[8:9], v[0:1], v[6:7]
	ds_load_2addr_b64 v[0:3], v88 offset0:4 offset1:5
	ds_load_2addr_b64 v[4:7], v88 offset0:6 offset1:7
	s_wait_dscnt 0x1
	v_add_f64_e32 v[0:1], v[8:9], v[0:1]
	v_add_f64_e32 v[0:1], v[0:1], v[2:3]
	s_wait_dscnt 0x0
	s_delay_alu instid0(VALU_DEP_1) | instskip(NEXT) | instid1(VALU_DEP_1)
	v_add_f64_e32 v[0:1], v[0:1], v[4:5]
	v_add_f64_e32 v[44:45], v[0:1], v[6:7]
.LBB108_64:                             ;   in Loop: Header=BB108_4 Depth=1
	s_wait_alu 0xfffe
	s_or_b32 exec_lo, exec_lo, s19
	s_mul_u64 s[92:93], s[24:25], s[34:35]
	s_and_not1_b32 vcc_lo, exec_lo, s97
	s_wait_alu 0xfffe
	s_lshl_b64 s[92:93], s[92:93], 3
	s_wait_loadcnt 0x0
	s_wait_alu 0xfffe
	s_add_nc_u64 s[92:93], s[30:31], s[92:93]
	s_barrier_signal -1
	s_barrier_wait -1
	global_inv scope:SCOPE_SE
	s_cbranch_vccnz .LBB108_71
; %bb.65:                               ;   in Loop: Header=BB108_4 Depth=1
	v_add_co_u32 v0, vcc_lo, v18, s88
	s_wait_alu 0xfffd
	v_add_co_ci_u32_e64 v1, null, s89, v19, vcc_lo
	s_lshl_b64 s[94:95], s[26:27], 3
	v_add_co_u32 v0, vcc_lo, v0, v36
	s_wait_alu 0xfffd
	v_add_co_ci_u32_e64 v1, null, v1, v37, vcc_lo
	v_mov_b32_e32 v32, v80
	s_delay_alu instid0(VALU_DEP_3) | instskip(SKIP_1) | instid1(VALU_DEP_3)
	v_add_co_u32 v0, vcc_lo, v0, v38
	s_wait_alu 0xfffd
	v_add_co_ci_u32_e64 v1, null, v1, v39, vcc_lo
	s_mov_b32 s19, ttmp9
	v_add_co_u32 v2, vcc_lo, v0, v40
	s_wait_alu 0xfffd
	v_add_co_ci_u32_e64 v3, null, v1, v41, vcc_lo
	s_wait_alu 0xfffe
	s_delay_alu instid0(VALU_DEP_2) | instskip(SKIP_1) | instid1(VALU_DEP_2)
	v_add_co_u32 v2, vcc_lo, v2, s94
	s_wait_alu 0xfffd
	v_add_co_ci_u32_e64 v3, null, s95, v3, vcc_lo
	v_add_co_u32 v0, vcc_lo, 0xffffff00, v0
	s_wait_alu 0xfffd
	v_add_co_ci_u32_e64 v1, null, -1, v1, vcc_lo
	v_add_co_u32 v2, vcc_lo, 0xfffffef8, v2
	s_wait_alu 0xfffd
	v_add_co_ci_u32_e64 v3, null, -1, v3, vcc_lo
	v_add_co_u32 v107, vcc_lo, v16, s86
	s_wait_alu 0xfffd
	v_add_co_ci_u32_e64 v108, null, s87, v17, vcc_lo
	s_delay_alu instid0(VALU_DEP_3)
	v_cndmask_b32_e64 v47, v1, v3, s17
	v_cndmask_b32_e64 v46, v0, v2, s17
	s_mov_b32 s94, 0
	s_branch .LBB108_67
.LBB108_66:                             ;   in Loop: Header=BB108_67 Depth=2
	s_wait_alu 0xfffe
	s_or_b32 exec_lo, exec_lo, s95
	v_fma_f64 v[0:1], v[48:49], v[0:1], v[44:45]
	v_add_co_u32 v46, vcc_lo, v46, s52
	s_wait_alu 0xfffd
	v_add_co_ci_u32_e64 v47, null, s53, v47, vcc_lo
	v_add_nc_u32_e32 v32, 64, v32
	s_add_co_i32 s19, s19, -1
	s_add_co_i32 s94, s94, s98
	s_wait_alu 0xfffe
	s_cmp_eq_u32 s19, 0
	s_wait_loadcnt 0x0
	s_wait_storecnt 0x0
	s_barrier_signal -1
	s_barrier_wait -1
	global_inv scope:SCOPE_SE
	v_fma_f64 v[0:1], v[50:51], v[2:3], v[0:1]
	s_delay_alu instid0(VALU_DEP_1) | instskip(NEXT) | instid1(VALU_DEP_1)
	v_fma_f64 v[0:1], v[52:53], v[4:5], v[0:1]
	v_fma_f64 v[0:1], v[54:55], v[6:7], v[0:1]
	s_delay_alu instid0(VALU_DEP_1) | instskip(NEXT) | instid1(VALU_DEP_1)
	v_fma_f64 v[0:1], v[56:57], v[8:9], v[0:1]
	;; [unrolled: 3-line block ×7, first 2 shown]
	v_fma_f64 v[44:45], v[78:79], v[30:31], v[0:1]
	s_cbranch_scc1 .LBB108_71
.LBB108_67:                             ;   Parent Loop BB108_4 Depth=1
                                        ; =>  This Inner Loop Header: Depth=2
	s_and_saveexec_b32 s100, s0
	s_cbranch_execz .LBB108_69
; %bb.68:                               ;   in Loop: Header=BB108_67 Depth=2
	s_wait_alu 0xfffe
	s_ashr_i32 s95, s94, 31
	s_wait_alu 0xfffe
	s_lshl_b64 s[102:103], s[94:95], 3
	s_wait_alu 0xfffe
	v_add_co_u32 v0, vcc_lo, v107, s102
	s_wait_alu 0xfffd
	v_add_co_ci_u32_e64 v1, null, s103, v108, vcc_lo
	global_load_b64 v[0:1], v[0:1], off
	s_wait_loadcnt 0x0
	ds_store_b64 v93, v[0:1]
.LBB108_69:                             ;   in Loop: Header=BB108_67 Depth=2
	s_or_b32 exec_lo, exec_lo, s100
	v_add_co_u32 v0, vcc_lo, v46, s50
	s_wait_alu 0xfffd
	v_add_co_ci_u32_e64 v1, null, s51, v47, vcc_lo
	v_add_co_u32 v2, vcc_lo, v46, s54
	s_wait_alu 0xfffd
	v_add_co_ci_u32_e64 v3, null, s55, v47, vcc_lo
	;; [unrolled: 3-line block ×3, first 2 shown]
	s_wait_loadcnt_dscnt 0x0
	s_barrier_signal -1
	s_barrier_wait -1
	global_inv scope:SCOPE_SE
	s_clause 0x3
	global_load_b64 v[48:49], v[46:47], off
	global_load_b64 v[50:51], v[0:1], off
	;; [unrolled: 1-line block ×4, first 2 shown]
	ds_load_b64 v[4:5], v85
	ds_load_b128 v[0:3], v94
	v_add_co_u32 v16, vcc_lo, v46, s80
	s_wait_alu 0xfffd
	v_add_co_ci_u32_e64 v17, null, s81, v47, vcc_lo
	v_add_co_u32 v18, vcc_lo, v46, s78
	s_wait_alu 0xfffd
	v_add_co_ci_u32_e64 v19, null, s79, v47, vcc_lo
	;; [unrolled: 3-line block ×12, first 2 shown]
	s_wait_loadcnt_dscnt 0x301
	v_mul_f64_e32 v[8:9], v[48:49], v[4:5]
	s_wait_loadcnt 0x2
	v_mul_f64_e32 v[10:11], v[50:51], v[4:5]
	s_wait_loadcnt 0x1
	v_mul_f64_e32 v[12:13], v[52:53], v[4:5]
	s_wait_loadcnt 0x0
	v_mul_f64_e32 v[14:15], v[54:55], v[4:5]
	ds_load_b128 v[4:7], v94 offset:16
	ds_store_2addr_b64 v95, v[8:9], v[10:11] offset1:67
	ds_store_2addr_b64 v95, v[12:13], v[14:15] offset0:134 offset1:201
	s_wait_dscnt 0x0
	s_barrier_signal -1
	s_barrier_wait -1
	global_inv scope:SCOPE_SE
	ds_load_2addr_b64 v[109:112], v96 offset1:1
	ds_load_2addr_b64 v[113:116], v96 offset0:2 offset1:3
	s_wait_loadcnt_dscnt 0x0
	s_barrier_signal -1
	s_barrier_wait -1
	global_inv scope:SCOPE_SE
	s_clause 0x3
	global_load_b64 v[56:57], v[16:17], off
	global_load_b64 v[58:59], v[18:19], off
	global_load_b64 v[60:61], v[20:21], off
	global_load_b64 v[62:63], v[22:23], off
	ds_load_b64 v[12:13], v85
	ds_load_b128 v[8:11], v94 offset:128
	v_add_f64_e32 v[109:110], 0, v[109:110]
	s_delay_alu instid0(VALU_DEP_1) | instskip(NEXT) | instid1(VALU_DEP_1)
	v_add_f64_e32 v[109:110], v[109:110], v[111:112]
	v_add_f64_e32 v[109:110], v[109:110], v[113:114]
	s_delay_alu instid0(VALU_DEP_1)
	v_add_f64_e32 v[109:110], v[109:110], v[115:116]
	s_wait_loadcnt_dscnt 0x301
	v_mul_f64_e32 v[16:17], v[56:57], v[12:13]
	s_wait_loadcnt 0x2
	v_mul_f64_e32 v[18:19], v[58:59], v[12:13]
	s_wait_loadcnt 0x1
	v_mul_f64_e32 v[20:21], v[60:61], v[12:13]
	s_wait_loadcnt 0x0
	v_mul_f64_e32 v[22:23], v[62:63], v[12:13]
	ds_load_b128 v[12:15], v94 offset:144
	ds_store_2addr_b64 v95, v[16:17], v[18:19] offset1:67
	ds_store_2addr_b64 v95, v[20:21], v[22:23] offset0:134 offset1:201
	s_wait_dscnt 0x0
	s_barrier_signal -1
	s_barrier_wait -1
	global_inv scope:SCOPE_SE
	ds_load_2addr_b64 v[117:120], v96 offset1:1
	ds_load_2addr_b64 v[121:124], v96 offset0:2 offset1:3
	s_wait_loadcnt_dscnt 0x0
	s_barrier_signal -1
	s_barrier_wait -1
	global_inv scope:SCOPE_SE
	s_clause 0x3
	global_load_b64 v[64:65], v[24:25], off
	global_load_b64 v[66:67], v[26:27], off
	global_load_b64 v[68:69], v[28:29], off
	global_load_b64 v[70:71], v[30:31], off
	ds_load_b64 v[20:21], v85
	ds_load_b128 v[16:19], v94 offset:256
	v_add_f64_e32 v[117:118], 0, v[117:118]
	s_delay_alu instid0(VALU_DEP_1) | instskip(NEXT) | instid1(VALU_DEP_1)
	v_add_f64_e32 v[111:112], v[117:118], v[119:120]
	v_add_f64_e32 v[111:112], v[111:112], v[121:122]
	s_delay_alu instid0(VALU_DEP_1)
	v_add_f64_e32 v[111:112], v[111:112], v[123:124]
	;; [unrolled: 34-line block ×3, first 2 shown]
	s_wait_loadcnt_dscnt 0x301
	v_mul_f64_e32 v[133:134], v[72:73], v[28:29]
	s_wait_loadcnt 0x2
	v_mul_f64_e32 v[135:136], v[74:75], v[28:29]
	s_wait_loadcnt 0x1
	;; [unrolled: 2-line block ×3, first 2 shown]
	v_mul_f64_e32 v[139:140], v[78:79], v[28:29]
	ds_load_b128 v[28:31], v94 offset:400
	ds_store_2addr_b64 v95, v[133:134], v[135:136] offset1:67
	ds_store_2addr_b64 v95, v[137:138], v[139:140] offset0:134 offset1:201
	s_wait_dscnt 0x0
	s_barrier_signal -1
	s_barrier_wait -1
	global_inv scope:SCOPE_SE
	ds_load_2addr_b64 v[133:136], v96 offset1:1
	ds_load_2addr_b64 v[137:140], v96 offset0:2 offset1:3
	s_wait_loadcnt_dscnt 0x0
	s_barrier_signal -1
	s_barrier_wait -1
	global_inv scope:SCOPE_SE
	v_add_f64_e32 v[133:134], 0, v[133:134]
	s_delay_alu instid0(VALU_DEP_1) | instskip(NEXT) | instid1(VALU_DEP_1)
	v_add_f64_e32 v[119:120], v[133:134], v[135:136]
	v_add_f64_e32 v[117:118], v[119:120], v[137:138]
	s_delay_alu instid0(VALU_DEP_1)
	v_add_f64_e32 v[115:116], v[117:118], v[139:140]
	ds_store_2addr_b64 v105, v[109:110], v[111:112] offset1:16
	ds_store_2addr_b64 v105, v[113:114], v[115:116] offset0:32 offset1:48
	s_wait_loadcnt_dscnt 0x0
	s_barrier_signal -1
	s_barrier_wait -1
	global_inv scope:SCOPE_SE
	s_and_saveexec_b32 s95, s18
	s_cbranch_execz .LBB108_66
; %bb.70:                               ;   in Loop: Header=BB108_67 Depth=2
	ds_load_2addr_b64 v[109:112], v97 offset1:1
	ds_load_2addr_b64 v[113:116], v97 offset0:2 offset1:3
	s_wait_dscnt 0x1
	v_add_f64_e32 v[109:110], v[109:110], v[111:112]
	s_wait_dscnt 0x0
	s_delay_alu instid0(VALU_DEP_1) | instskip(NEXT) | instid1(VALU_DEP_1)
	v_add_f64_e32 v[109:110], v[109:110], v[113:114]
	v_add_f64_e32 v[117:118], v[109:110], v[115:116]
	ds_load_2addr_b64 v[109:112], v97 offset0:4 offset1:5
	ds_load_2addr_b64 v[113:116], v97 offset0:6 offset1:7
	s_wait_dscnt 0x1
	v_add_f64_e32 v[109:110], v[117:118], v[109:110]
	s_delay_alu instid0(VALU_DEP_1) | instskip(SKIP_1) | instid1(VALU_DEP_1)
	v_add_f64_e32 v[109:110], v[109:110], v[111:112]
	s_wait_dscnt 0x0
	v_add_f64_e32 v[109:110], v[109:110], v[113:114]
	s_delay_alu instid0(VALU_DEP_1) | instskip(SKIP_4) | instid1(VALU_DEP_1)
	v_add_f64_e32 v[117:118], v[109:110], v[115:116]
	ds_load_2addr_b64 v[109:112], v97 offset0:8 offset1:9
	ds_load_2addr_b64 v[113:116], v97 offset0:10 offset1:11
	s_wait_dscnt 0x1
	v_add_f64_e32 v[109:110], v[117:118], v[109:110]
	v_add_f64_e32 v[109:110], v[109:110], v[111:112]
	s_wait_dscnt 0x0
	s_delay_alu instid0(VALU_DEP_1) | instskip(NEXT) | instid1(VALU_DEP_1)
	v_add_f64_e32 v[109:110], v[109:110], v[113:114]
	v_add_f64_e32 v[113:114], v[109:110], v[115:116]
	ds_load_2addr_b64 v[109:112], v97 offset0:12 offset1:13
	ds_load_b64 v[115:116], v97 offset:112
	s_wait_dscnt 0x1
	v_add_f64_e32 v[109:110], v[113:114], v[109:110]
	s_delay_alu instid0(VALU_DEP_1) | instskip(SKIP_4) | instid1(VALU_DEP_1)
	v_add_f64_e32 v[109:110], v[109:110], v[111:112]
	ds_load_b64 v[111:112], v98
	s_wait_dscnt 0x1
	v_add_f64_e32 v[109:110], v[109:110], v[115:116]
	s_wait_dscnt 0x0
	v_add_f64_e32 v[109:110], v[109:110], v[111:112]
	v_lshlrev_b64_e32 v[111:112], 3, v[32:33]
	s_wait_alu 0xfffe
	s_delay_alu instid0(VALU_DEP_1) | instskip(SKIP_1) | instid1(VALU_DEP_2)
	v_add_co_u32 v111, vcc_lo, s92, v111
	s_wait_alu 0xfffd
	v_add_co_ci_u32_e64 v112, null, s93, v112, vcc_lo
	global_store_b64 v[111:112], v[109:110], off
	s_branch .LBB108_66
.LBB108_71:                             ;   in Loop: Header=BB108_4 Depth=1
	ds_store_b64 v99, v[44:45]
	s_wait_loadcnt_dscnt 0x0
	s_barrier_signal -1
	s_barrier_wait -1
	global_inv scope:SCOPE_SE
	s_and_saveexec_b32 s19, s99
	s_cbranch_execz .LBB108_2
; %bb.72:                               ;   in Loop: Header=BB108_4 Depth=1
	ds_load_2addr_b64 v[0:3], v83 offset1:67
	s_wait_dscnt 0x0
	v_add_f64_e32 v[4:5], v[0:1], v[2:3]
	ds_load_2addr_b64 v[0:3], v83 offset0:134 offset1:201
	s_wait_dscnt 0x0
	v_add_f64_e32 v[0:1], v[4:5], v[0:1]
	s_delay_alu instid0(VALU_DEP_1)
	v_add_f64_e32 v[0:1], v[0:1], v[2:3]
	s_wait_alu 0xfffe
	v_add_co_u32 v2, vcc_lo, s92, v42
	s_wait_alu 0xfffd
	v_add_co_ci_u32_e64 v3, null, s93, v43, vcc_lo
	global_store_b64 v[2:3], v[0:1], off
	s_branch .LBB108_2
.LBB108_73:                             ;   in Loop: Header=BB108_4 Depth=1
	ds_load_b64 v[2:3], v102
	s_wait_dscnt 0x0
	ds_store_b64 v89, v[2:3]
	s_wait_alu 0xfffe
	s_or_b32 exec_lo, exec_lo, s19
	s_and_saveexec_b32 s19, s7
	s_cbranch_execz .LBB108_24
.LBB108_74:                             ;   in Loop: Header=BB108_4 Depth=1
	ds_load_b64 v[2:3], v103
	s_wait_dscnt 0x0
	ds_store_b64 v89, v[2:3] offset:8
	s_wait_alu 0xfffe
	s_or_b32 exec_lo, exec_lo, s19
	s_and_saveexec_b32 s19, s8
	s_cbranch_execz .LBB108_25
.LBB108_75:                             ;   in Loop: Header=BB108_4 Depth=1
	ds_load_b64 v[2:3], v103 offset:264
	s_wait_dscnt 0x0
	ds_store_b64 v89, v[2:3] offset:16
	s_wait_alu 0xfffe
	s_or_b32 exec_lo, exec_lo, s19
	s_and_saveexec_b32 s19, s9
	s_cbranch_execnz .LBB108_26
	s_branch .LBB108_27
.LBB108_76:                             ;   in Loop: Header=BB108_4 Depth=1
	ds_load_b64 v[0:1], v102
	s_wait_dscnt 0x0
	ds_store_b64 v89, v[0:1]
	s_wait_alu 0xfffe
	s_or_b32 exec_lo, exec_lo, s19
	s_and_saveexec_b32 s19, s7
	s_cbranch_execz .LBB108_43
.LBB108_77:                             ;   in Loop: Header=BB108_4 Depth=1
	ds_load_b64 v[0:1], v103
	s_wait_dscnt 0x0
	ds_store_b64 v89, v[0:1] offset:8
	s_wait_alu 0xfffe
	s_or_b32 exec_lo, exec_lo, s19
	s_and_saveexec_b32 s19, s8
	s_cbranch_execz .LBB108_44
.LBB108_78:                             ;   in Loop: Header=BB108_4 Depth=1
	ds_load_b64 v[0:1], v103 offset:264
	s_wait_dscnt 0x0
	ds_store_b64 v89, v[0:1] offset:16
	s_wait_alu 0xfffe
	s_or_b32 exec_lo, exec_lo, s19
	s_and_saveexec_b32 s19, s9
	s_cbranch_execnz .LBB108_45
	s_branch .LBB108_46
.LBB108_79:
	s_nop 0
	s_sendmsg sendmsg(MSG_DEALLOC_VGPRS)
	s_endpgm
	.section	.rodata,"a",@progbits
	.p2align	6, 0x0
	.amdhsa_kernel _ZL26rocblas_hemvn_kernel_lowerILb0ELi64ELi4ELi33ELi32ELi16EiPKdS1_PdEviT6_lT7_lT5_lS4_lS5_lS3_lT8_i
		.amdhsa_group_segment_fixed_size 9600
		.amdhsa_private_segment_fixed_size 0
		.amdhsa_kernarg_size 376
		.amdhsa_user_sgpr_count 2
		.amdhsa_user_sgpr_dispatch_ptr 0
		.amdhsa_user_sgpr_queue_ptr 0
		.amdhsa_user_sgpr_kernarg_segment_ptr 1
		.amdhsa_user_sgpr_dispatch_id 0
		.amdhsa_user_sgpr_private_segment_size 0
		.amdhsa_wavefront_size32 1
		.amdhsa_uses_dynamic_stack 0
		.amdhsa_enable_private_segment 0
		.amdhsa_system_sgpr_workgroup_id_x 1
		.amdhsa_system_sgpr_workgroup_id_y 0
		.amdhsa_system_sgpr_workgroup_id_z 1
		.amdhsa_system_sgpr_workgroup_info 0
		.amdhsa_system_vgpr_workitem_id 1
		.amdhsa_next_free_vgpr 141
		.amdhsa_next_free_sgpr 104
		.amdhsa_reserve_vcc 1
		.amdhsa_float_round_mode_32 0
		.amdhsa_float_round_mode_16_64 0
		.amdhsa_float_denorm_mode_32 3
		.amdhsa_float_denorm_mode_16_64 3
		.amdhsa_fp16_overflow 0
		.amdhsa_workgroup_processor_mode 1
		.amdhsa_memory_ordered 1
		.amdhsa_forward_progress 1
		.amdhsa_inst_pref_size 57
		.amdhsa_round_robin_scheduling 0
		.amdhsa_exception_fp_ieee_invalid_op 0
		.amdhsa_exception_fp_denorm_src 0
		.amdhsa_exception_fp_ieee_div_zero 0
		.amdhsa_exception_fp_ieee_overflow 0
		.amdhsa_exception_fp_ieee_underflow 0
		.amdhsa_exception_fp_ieee_inexact 0
		.amdhsa_exception_int_div_zero 0
	.end_amdhsa_kernel
	.section	.text._ZL26rocblas_hemvn_kernel_lowerILb0ELi64ELi4ELi33ELi32ELi16EiPKdS1_PdEviT6_lT7_lT5_lS4_lS5_lS3_lT8_i,"axG",@progbits,_ZL26rocblas_hemvn_kernel_lowerILb0ELi64ELi4ELi33ELi32ELi16EiPKdS1_PdEviT6_lT7_lT5_lS4_lS5_lS3_lT8_i,comdat
.Lfunc_end108:
	.size	_ZL26rocblas_hemvn_kernel_lowerILb0ELi64ELi4ELi33ELi32ELi16EiPKdS1_PdEviT6_lT7_lT5_lS4_lS5_lS3_lT8_i, .Lfunc_end108-_ZL26rocblas_hemvn_kernel_lowerILb0ELi64ELi4ELi33ELi32ELi16EiPKdS1_PdEviT6_lT7_lT5_lS4_lS5_lS3_lT8_i
                                        ; -- End function
	.set _ZL26rocblas_hemvn_kernel_lowerILb0ELi64ELi4ELi33ELi32ELi16EiPKdS1_PdEviT6_lT7_lT5_lS4_lS5_lS3_lT8_i.num_vgpr, 141
	.set _ZL26rocblas_hemvn_kernel_lowerILb0ELi64ELi4ELi33ELi32ELi16EiPKdS1_PdEviT6_lT7_lT5_lS4_lS5_lS3_lT8_i.num_agpr, 0
	.set _ZL26rocblas_hemvn_kernel_lowerILb0ELi64ELi4ELi33ELi32ELi16EiPKdS1_PdEviT6_lT7_lT5_lS4_lS5_lS3_lT8_i.numbered_sgpr, 104
	.set _ZL26rocblas_hemvn_kernel_lowerILb0ELi64ELi4ELi33ELi32ELi16EiPKdS1_PdEviT6_lT7_lT5_lS4_lS5_lS3_lT8_i.num_named_barrier, 0
	.set _ZL26rocblas_hemvn_kernel_lowerILb0ELi64ELi4ELi33ELi32ELi16EiPKdS1_PdEviT6_lT7_lT5_lS4_lS5_lS3_lT8_i.private_seg_size, 0
	.set _ZL26rocblas_hemvn_kernel_lowerILb0ELi64ELi4ELi33ELi32ELi16EiPKdS1_PdEviT6_lT7_lT5_lS4_lS5_lS3_lT8_i.uses_vcc, 1
	.set _ZL26rocblas_hemvn_kernel_lowerILb0ELi64ELi4ELi33ELi32ELi16EiPKdS1_PdEviT6_lT7_lT5_lS4_lS5_lS3_lT8_i.uses_flat_scratch, 0
	.set _ZL26rocblas_hemvn_kernel_lowerILb0ELi64ELi4ELi33ELi32ELi16EiPKdS1_PdEviT6_lT7_lT5_lS4_lS5_lS3_lT8_i.has_dyn_sized_stack, 0
	.set _ZL26rocblas_hemvn_kernel_lowerILb0ELi64ELi4ELi33ELi32ELi16EiPKdS1_PdEviT6_lT7_lT5_lS4_lS5_lS3_lT8_i.has_recursion, 0
	.set _ZL26rocblas_hemvn_kernel_lowerILb0ELi64ELi4ELi33ELi32ELi16EiPKdS1_PdEviT6_lT7_lT5_lS4_lS5_lS3_lT8_i.has_indirect_call, 0
	.section	.AMDGPU.csdata,"",@progbits
; Kernel info:
; codeLenInByte = 7284
; TotalNumSgprs: 106
; NumVgprs: 141
; ScratchSize: 0
; MemoryBound: 0
; FloatMode: 240
; IeeeMode: 1
; LDSByteSize: 9600 bytes/workgroup (compile time only)
; SGPRBlocks: 0
; VGPRBlocks: 17
; NumSGPRsForWavesPerEU: 106
; NumVGPRsForWavesPerEU: 141
; Occupancy: 10
; WaveLimiterHint : 0
; COMPUTE_PGM_RSRC2:SCRATCH_EN: 0
; COMPUTE_PGM_RSRC2:USER_SGPR: 2
; COMPUTE_PGM_RSRC2:TRAP_HANDLER: 0
; COMPUTE_PGM_RSRC2:TGID_X_EN: 1
; COMPUTE_PGM_RSRC2:TGID_Y_EN: 0
; COMPUTE_PGM_RSRC2:TGID_Z_EN: 1
; COMPUTE_PGM_RSRC2:TIDIG_COMP_CNT: 1
	.section	.text._ZL36rocblas_hemvn_kernel_lower_block_sumILi64EiPKdPddEviT1_lS3_lT2_lT0_lPT3_i,"axG",@progbits,_ZL36rocblas_hemvn_kernel_lower_block_sumILi64EiPKdPddEviT1_lS3_lT2_lT0_lPT3_i,comdat
	.globl	_ZL36rocblas_hemvn_kernel_lower_block_sumILi64EiPKdPddEviT1_lS3_lT2_lT0_lPT3_i ; -- Begin function _ZL36rocblas_hemvn_kernel_lower_block_sumILi64EiPKdPddEviT1_lS3_lT2_lT0_lPT3_i
	.p2align	8
	.type	_ZL36rocblas_hemvn_kernel_lower_block_sumILi64EiPKdPddEviT1_lS3_lT2_lT0_lPT3_i,@function
_ZL36rocblas_hemvn_kernel_lower_block_sumILi64EiPKdPddEviT1_lS3_lT2_lT0_lPT3_i: ; @_ZL36rocblas_hemvn_kernel_lower_block_sumILi64EiPKdPddEviT1_lS3_lT2_lT0_lPT3_i
; %bb.0:
	s_load_b32 s3, s[0:1], 0x50
	s_lshr_b32 s16, ttmp7, 16
	s_wait_kmcnt 0x0
	s_cmp_ge_u32 s16, s3
	s_cbranch_scc1 .LBB109_24
; %bb.1:
	s_clause 0x2
	s_load_b32 s24, s[0:1], 0x0
	s_load_b32 s2, s[0:1], 0x38
	s_load_b128 s[20:23], s[0:1], 0x28
	v_lshl_or_b32 v0, ttmp9, 6, v0
	s_clause 0x1
	s_load_b128 s[12:15], s[0:1], 0x40
	s_load_b256 s[4:11], s[0:1], 0x8
	s_add_nc_u64 s[0:1], s[0:1], 0x58
	s_mov_b32 s17, 0
	s_wait_kmcnt 0x0
	s_wait_alu 0xfffe
	v_mad_co_u64_u32 v[1:2], null, s24, ttmp9, v[0:1]
	v_mul_lo_u32 v3, s2, v0
	v_cmp_gt_i32_e64 s2, s24, v0
	s_lshl_b64 s[18:19], s[22:23], 3
	s_ashr_i32 s25, s24, 31
	s_add_nc_u64 s[18:19], s[20:21], s[18:19]
	v_ashrrev_i32_e32 v2, 31, v1
	v_ashrrev_i32_e32 v4, 31, v3
	s_delay_alu instid0(VALU_DEP_2) | instskip(NEXT) | instid1(VALU_DEP_2)
	v_lshlrev_b64_e32 v[5:6], 3, v[1:2]
	v_lshlrev_b64_e32 v[0:1], 3, v[3:4]
	s_delay_alu instid0(VALU_DEP_2) | instskip(NEXT) | instid1(VALU_DEP_1)
	v_add_co_u32 v2, vcc_lo, s14, v5
	v_add_co_ci_u32_e64 v3, null, s15, v6, vcc_lo
	s_wait_alu 0xfffe
	s_lshl_b64 s[14:15], s[24:25], 3
	s_branch .LBB109_4
.LBB109_2:                              ;   in Loop: Header=BB109_4 Depth=1
	s_wait_alu 0xfffe
	s_or_b32 exec_lo, exec_lo, s22
.LBB109_3:                              ;   in Loop: Header=BB109_4 Depth=1
	s_add_co_i32 s16, s16, 0x10000
	s_wait_alu 0xfffe
	s_cmp_lt_u32 s16, s3
	s_cbranch_scc0 .LBB109_24
.LBB109_4:                              ; =>This Loop Header: Depth=1
                                        ;     Child Loop BB109_15 Depth 2
	s_mul_u64 s[20:21], s[6:7], s[16:17]
	s_mul_u64 s[22:23], s[10:11], s[16:17]
	s_wait_alu 0xfffe
	s_lshl_b64 s[20:21], s[20:21], 3
	s_lshl_b64 s[22:23], s[22:23], 3
	s_wait_alu 0xfffe
	s_add_nc_u64 s[20:21], s[4:5], s[20:21]
	s_add_nc_u64 s[24:25], s[8:9], s[22:23]
	s_load_b64 s[22:23], s[20:21], 0x0
	s_load_b64 s[24:25], s[24:25], 0x0
	s_wait_kmcnt 0x0
	v_cmp_eq_f64_e64 s20, s[22:23], 0
	v_cmp_eq_f64_e64 s21, s[24:25], 1.0
	s_and_b32 s20, s20, s21
	s_wait_alu 0xfffe
	s_and_b32 vcc_lo, exec_lo, s20
	s_wait_alu 0xfffe
	s_cbranch_vccnz .LBB109_3
; %bb.5:                                ;   in Loop: Header=BB109_4 Depth=1
	v_cmp_neq_f64_e64 s26, s[22:23], 0
	s_mul_u64 s[20:21], s[12:13], s[16:17]
	s_wait_alu 0xfffe
	s_lshl_b64 s[20:21], s[20:21], 3
	s_wait_alu 0xfffe
	s_add_nc_u64 s[20:21], s[18:19], s[20:21]
	s_and_b32 vcc_lo, exec_lo, s26
	s_wait_alu 0xfffe
	s_cbranch_vccnz .LBB109_10
; %bb.6:                                ;   in Loop: Header=BB109_4 Depth=1
	s_mov_b32 s26, 0
	s_mov_b32 s28, 0
                                        ; implicit-def: $vgpr4_vgpr5
	s_and_saveexec_b32 s27, s2
	s_cbranch_execz .LBB109_11
; %bb.7:                                ;   in Loop: Header=BB109_4 Depth=1
	v_cmp_eq_f64_e64 s28, s[24:25], 0
	v_mov_b32_e32 v4, 0
	v_mov_b32_e32 v5, 0
	s_and_b32 vcc_lo, exec_lo, s28
	s_wait_alu 0xfffe
	s_cbranch_vccnz .LBB109_9
; %bb.8:                                ;   in Loop: Header=BB109_4 Depth=1
	v_add_co_u32 v4, vcc_lo, s20, v0
	s_wait_alu 0xfffd
	v_add_co_ci_u32_e64 v5, null, s21, v1, vcc_lo
	global_load_b64 v[4:5], v[4:5], off
	s_wait_loadcnt 0x0
	v_mul_f64_e32 v[4:5], s[24:25], v[4:5]
.LBB109_9:                              ;   in Loop: Header=BB109_4 Depth=1
	s_mov_b32 s28, exec_lo
	s_or_b32 exec_lo, exec_lo, s27
	s_delay_alu instid0(SALU_CYCLE_1)
	s_and_b32 vcc_lo, exec_lo, s26
	s_wait_alu 0xfffe
	s_cbranch_vccnz .LBB109_12
	s_branch .LBB109_21
.LBB109_10:                             ;   in Loop: Header=BB109_4 Depth=1
	s_mov_b32 s28, 0
                                        ; implicit-def: $vgpr4_vgpr5
	s_cbranch_execnz .LBB109_12
	s_branch .LBB109_21
.LBB109_11:                             ;   in Loop: Header=BB109_4 Depth=1
	s_or_b32 exec_lo, exec_lo, s27
	s_delay_alu instid0(SALU_CYCLE_1)
	s_and_b32 vcc_lo, exec_lo, s26
	s_wait_alu 0xfffe
	s_cbranch_vccz .LBB109_21
.LBB109_12:                             ;   in Loop: Header=BB109_4 Depth=1
                                        ; implicit-def: $vgpr4_vgpr5
	s_and_saveexec_b32 s29, s2
	s_cbranch_execz .LBB109_20
; %bb.13:                               ;   in Loop: Header=BB109_4 Depth=1
	s_load_b32 s26, s[0:1], 0x0
	v_mov_b32_e32 v6, 0
	v_mov_b32_e32 v7, 0
	s_wait_kmcnt 0x0
	s_cmp_ge_i32 ttmp9, s26
	s_cbranch_scc1 .LBB109_16
; %bb.14:                               ;   in Loop: Header=BB109_4 Depth=1
	s_mov_b32 s27, s17
	s_mov_b32 s30, ttmp9
	s_mul_u64 s[34:35], s[14:15], s[26:27]
	s_wait_alu 0xfffe
	v_mad_co_u64_u32 v[4:5], null, s34, s16, v[2:3]
	s_delay_alu instid0(VALU_DEP_1)
	v_mad_co_u64_u32 v[5:6], null, s35, s16, v[5:6]
	v_mov_b32_e32 v6, 0
	v_mov_b32_e32 v7, 0
.LBB109_15:                             ;   Parent Loop BB109_4 Depth=1
                                        ; =>  This Inner Loop Header: Depth=2
	global_load_b64 v[8:9], v[4:5], off
	v_add_co_u32 v4, vcc_lo, v4, s14
	s_wait_alu 0xfffd
	v_add_co_ci_u32_e64 v5, null, s15, v5, vcc_lo
	s_add_co_i32 s30, s30, 1
	s_delay_alu instid0(SALU_CYCLE_1)
	s_cmp_ge_i32 s30, s26
	s_wait_loadcnt 0x0
	v_add_f64_e32 v[6:7], v[6:7], v[8:9]
	s_cbranch_scc0 .LBB109_15
.LBB109_16:                             ;   in Loop: Header=BB109_4 Depth=1
	v_cmp_eq_f64_e64 s26, s[24:25], 0
	s_and_b32 vcc_lo, exec_lo, s26
	s_wait_alu 0xfffe
	s_cbranch_vccz .LBB109_23
; %bb.17:                               ;   in Loop: Header=BB109_4 Depth=1
	v_mul_f64_e32 v[4:5], s[22:23], v[6:7]
	s_cbranch_execnz .LBB109_19
.LBB109_18:                             ;   in Loop: Header=BB109_4 Depth=1
	v_add_co_u32 v4, vcc_lo, s20, v0
	s_wait_alu 0xfffd
	v_add_co_ci_u32_e64 v5, null, s21, v1, vcc_lo
	global_load_b64 v[4:5], v[4:5], off
	s_wait_loadcnt 0x0
	v_mul_f64_e32 v[4:5], s[24:25], v[4:5]
	s_delay_alu instid0(VALU_DEP_1)
	v_fma_f64 v[4:5], s[22:23], v[6:7], v[4:5]
.LBB109_19:                             ;   in Loop: Header=BB109_4 Depth=1
	s_or_b32 s28, s28, exec_lo
.LBB109_20:                             ;   in Loop: Header=BB109_4 Depth=1
	s_or_b32 exec_lo, exec_lo, s29
.LBB109_21:                             ;   in Loop: Header=BB109_4 Depth=1
	s_and_saveexec_b32 s22, s28
	s_cbranch_execz .LBB109_2
; %bb.22:                               ;   in Loop: Header=BB109_4 Depth=1
	v_add_co_u32 v6, vcc_lo, s20, v0
	s_wait_alu 0xfffd
	v_add_co_ci_u32_e64 v7, null, s21, v1, vcc_lo
	global_store_b64 v[6:7], v[4:5], off
	s_branch .LBB109_2
.LBB109_23:                             ;   in Loop: Header=BB109_4 Depth=1
                                        ; implicit-def: $vgpr4_vgpr5
	s_branch .LBB109_18
.LBB109_24:
	s_endpgm
	.section	.rodata,"a",@progbits
	.p2align	6, 0x0
	.amdhsa_kernel _ZL36rocblas_hemvn_kernel_lower_block_sumILi64EiPKdPddEviT1_lS3_lT2_lT0_lPT3_i
		.amdhsa_group_segment_fixed_size 0
		.amdhsa_private_segment_fixed_size 0
		.amdhsa_kernarg_size 344
		.amdhsa_user_sgpr_count 2
		.amdhsa_user_sgpr_dispatch_ptr 0
		.amdhsa_user_sgpr_queue_ptr 0
		.amdhsa_user_sgpr_kernarg_segment_ptr 1
		.amdhsa_user_sgpr_dispatch_id 0
		.amdhsa_user_sgpr_private_segment_size 0
		.amdhsa_wavefront_size32 1
		.amdhsa_uses_dynamic_stack 0
		.amdhsa_enable_private_segment 0
		.amdhsa_system_sgpr_workgroup_id_x 1
		.amdhsa_system_sgpr_workgroup_id_y 0
		.amdhsa_system_sgpr_workgroup_id_z 1
		.amdhsa_system_sgpr_workgroup_info 0
		.amdhsa_system_vgpr_workitem_id 0
		.amdhsa_next_free_vgpr 10
		.amdhsa_next_free_sgpr 36
		.amdhsa_reserve_vcc 1
		.amdhsa_float_round_mode_32 0
		.amdhsa_float_round_mode_16_64 0
		.amdhsa_float_denorm_mode_32 3
		.amdhsa_float_denorm_mode_16_64 3
		.amdhsa_fp16_overflow 0
		.amdhsa_workgroup_processor_mode 1
		.amdhsa_memory_ordered 1
		.amdhsa_forward_progress 1
		.amdhsa_inst_pref_size 6
		.amdhsa_round_robin_scheduling 0
		.amdhsa_exception_fp_ieee_invalid_op 0
		.amdhsa_exception_fp_denorm_src 0
		.amdhsa_exception_fp_ieee_div_zero 0
		.amdhsa_exception_fp_ieee_overflow 0
		.amdhsa_exception_fp_ieee_underflow 0
		.amdhsa_exception_fp_ieee_inexact 0
		.amdhsa_exception_int_div_zero 0
	.end_amdhsa_kernel
	.section	.text._ZL36rocblas_hemvn_kernel_lower_block_sumILi64EiPKdPddEviT1_lS3_lT2_lT0_lPT3_i,"axG",@progbits,_ZL36rocblas_hemvn_kernel_lower_block_sumILi64EiPKdPddEviT1_lS3_lT2_lT0_lPT3_i,comdat
.Lfunc_end109:
	.size	_ZL36rocblas_hemvn_kernel_lower_block_sumILi64EiPKdPddEviT1_lS3_lT2_lT0_lPT3_i, .Lfunc_end109-_ZL36rocblas_hemvn_kernel_lower_block_sumILi64EiPKdPddEviT1_lS3_lT2_lT0_lPT3_i
                                        ; -- End function
	.set _ZL36rocblas_hemvn_kernel_lower_block_sumILi64EiPKdPddEviT1_lS3_lT2_lT0_lPT3_i.num_vgpr, 10
	.set _ZL36rocblas_hemvn_kernel_lower_block_sumILi64EiPKdPddEviT1_lS3_lT2_lT0_lPT3_i.num_agpr, 0
	.set _ZL36rocblas_hemvn_kernel_lower_block_sumILi64EiPKdPddEviT1_lS3_lT2_lT0_lPT3_i.numbered_sgpr, 36
	.set _ZL36rocblas_hemvn_kernel_lower_block_sumILi64EiPKdPddEviT1_lS3_lT2_lT0_lPT3_i.num_named_barrier, 0
	.set _ZL36rocblas_hemvn_kernel_lower_block_sumILi64EiPKdPddEviT1_lS3_lT2_lT0_lPT3_i.private_seg_size, 0
	.set _ZL36rocblas_hemvn_kernel_lower_block_sumILi64EiPKdPddEviT1_lS3_lT2_lT0_lPT3_i.uses_vcc, 1
	.set _ZL36rocblas_hemvn_kernel_lower_block_sumILi64EiPKdPddEviT1_lS3_lT2_lT0_lPT3_i.uses_flat_scratch, 0
	.set _ZL36rocblas_hemvn_kernel_lower_block_sumILi64EiPKdPddEviT1_lS3_lT2_lT0_lPT3_i.has_dyn_sized_stack, 0
	.set _ZL36rocblas_hemvn_kernel_lower_block_sumILi64EiPKdPddEviT1_lS3_lT2_lT0_lPT3_i.has_recursion, 0
	.set _ZL36rocblas_hemvn_kernel_lower_block_sumILi64EiPKdPddEviT1_lS3_lT2_lT0_lPT3_i.has_indirect_call, 0
	.section	.AMDGPU.csdata,"",@progbits
; Kernel info:
; codeLenInByte = 764
; TotalNumSgprs: 38
; NumVgprs: 10
; ScratchSize: 0
; MemoryBound: 0
; FloatMode: 240
; IeeeMode: 1
; LDSByteSize: 0 bytes/workgroup (compile time only)
; SGPRBlocks: 0
; VGPRBlocks: 1
; NumSGPRsForWavesPerEU: 38
; NumVGPRsForWavesPerEU: 10
; Occupancy: 16
; WaveLimiterHint : 0
; COMPUTE_PGM_RSRC2:SCRATCH_EN: 0
; COMPUTE_PGM_RSRC2:USER_SGPR: 2
; COMPUTE_PGM_RSRC2:TRAP_HANDLER: 0
; COMPUTE_PGM_RSRC2:TGID_X_EN: 1
; COMPUTE_PGM_RSRC2:TGID_Y_EN: 0
; COMPUTE_PGM_RSRC2:TGID_Z_EN: 1
; COMPUTE_PGM_RSRC2:TIDIG_COMP_CNT: 0
	.section	.text._ZL26rocblas_hemvn_kernel_lowerILb0ELi64ELi4ELi33ELi32ELi16EldPKdPdEviT6_lT7_lT5_lS4_lS5_lS3_lT8_i,"axG",@progbits,_ZL26rocblas_hemvn_kernel_lowerILb0ELi64ELi4ELi33ELi32ELi16EldPKdPdEviT6_lT7_lT5_lS4_lS5_lS3_lT8_i,comdat
	.globl	_ZL26rocblas_hemvn_kernel_lowerILb0ELi64ELi4ELi33ELi32ELi16EldPKdPdEviT6_lT7_lT5_lS4_lS5_lS3_lT8_i ; -- Begin function _ZL26rocblas_hemvn_kernel_lowerILb0ELi64ELi4ELi33ELi32ELi16EldPKdPdEviT6_lT7_lT5_lS4_lS5_lS3_lT8_i
	.p2align	8
	.type	_ZL26rocblas_hemvn_kernel_lowerILb0ELi64ELi4ELi33ELi32ELi16EldPKdPdEviT6_lT7_lT5_lS4_lS5_lS3_lT8_i,@function
_ZL26rocblas_hemvn_kernel_lowerILb0ELi64ELi4ELi33ELi32ELi16EldPKdPdEviT6_lT7_lT5_lS4_lS5_lS3_lT8_i: ; @_ZL26rocblas_hemvn_kernel_lowerILb0ELi64ELi4ELi33ELi32ELi16EldPKdPdEviT6_lT7_lT5_lS4_lS5_lS3_lT8_i
; %bb.0:
	s_clause 0x1
	s_load_b64 s[2:3], s[0:1], 0x84
	s_load_b32 s33, s[0:1], 0x70
	s_lshr_b32 s34, ttmp7, 16
	s_wait_kmcnt 0x0
	s_lshr_b32 s4, s2, 16
	s_and_b32 s2, s2, 0xffff
	s_and_b32 s3, s3, 0xffff
	s_mul_i32 s2, s4, s2
	s_delay_alu instid0(SALU_CYCLE_1) | instskip(NEXT) | instid1(SALU_CYCLE_1)
	s_mul_i32 s2, s2, s3
	s_cmp_lg_u32 s2, 0x100
	s_cselect_b32 s2, -1, 0
	s_cmp_ge_u32 s34, s33
	s_cselect_b32 s3, -1, 0
	s_delay_alu instid0(SALU_CYCLE_1) | instskip(NEXT) | instid1(SALU_CYCLE_1)
	s_or_b32 s2, s2, s3
	s_and_b32 vcc_lo, exec_lo, s2
	s_cbranch_vccnz .LBB110_79
; %bb.1:
	s_clause 0x3
	s_load_b64 s[6:7], s[0:1], 0x58
	s_load_b64 s[8:9], s[0:1], 0x8
	s_load_b32 s4, s[0:1], 0x0
	s_load_b512 s[16:31], s[0:1], 0x18
	v_dual_mov_b32 v33, 0 :: v_dual_and_b32 v78, 0x3ff, v0
	v_bfe_u32 v11, v0, 10, 10
	s_add_nc_u64 s[10:11], s[0:1], 0x78
	s_load_b64 s[2:3], s[0:1], 0x68
	s_lshl_b32 s48, ttmp9, 6
	v_and_b32_e32 v32, 31, v0
	v_lshl_add_u32 v12, v11, 6, v78
	v_add_nc_u32_e32 v1, s48, v78
	s_load_b32 s36, s[10:11], 0x0
	s_mov_b32 s37, 0
	v_mul_u32_u24_e32 v20, 33, v32
	v_lshrrev_b32_e32 v10, 5, v12
	v_and_b32_e32 v16, 0x7fe0, v12
	v_cmp_eq_u32_e64 s0, 0, v11
	v_lshl_add_u32 v93, v11, 5, 0x2180
	s_wait_kmcnt 0x0
	v_cmp_neq_f64_e64 s1, s[6:7], 1.0
	v_cmp_neq_f64_e64 s7, s[8:9], 0
	s_ashr_i32 s5, s4, 31
	v_mad_co_u64_u32 v[3:4], null, s20, v10, v[32:33]
	v_mad_co_u64_u32 v[5:6], null, s28, v1, 0
	s_lshr_b32 s12, s5, 26
	s_lshl_b64 s[8:9], s[26:27], 3
	s_add_co_i32 s12, s4, s12
	s_lshl_b64 s[10:11], s[18:19], 3
	s_and_not1_b32 s12, s12, 63
	s_mul_i32 s6, s4, ttmp9
	v_mad_co_u64_u32 v[7:8], null, s21, v10, v[4:5]
	s_add_co_i32 s13, s36, -1
	s_wait_alu 0xfffe
	s_add_nc_u64 s[8:9], s[24:25], s[8:9]
	s_mul_u64 s[24:25], s[36:37], s[4:5]
	s_sub_co_i32 s4, s4, s12
	s_add_nc_u64 s[10:11], s[16:17], s[10:11]
	v_add_nc_u32_e32 v8, 16, v10
	v_mov_b32_e32 v4, v7
	v_ashrrev_i32_e32 v2, 31, v1
	v_mul_lo_u32 v13, s29, v1
	v_add_nc_u32_e32 v89, 0x2380, v16
	v_lshlrev_b32_e32 v21, 3, v10
	v_add_nc_u32_e32 v15, 24, v10
	v_mul_lo_u32 v9, s28, v2
	v_mul_u32_u24_e32 v14, 0x108, v10
	v_mul_u32_u24_e32 v18, 0x420, v10
	v_lshl_add_u32 v90, v20, 3, v21
	v_cmp_eq_u32_e64 s16, 1, v10
	v_lshlrev_b64_e32 v[40:41], 3, v[1:2]
	v_add_nc_u32_e32 v99, 0x2380, v21
	v_lshlrev_b32_e32 v105, 3, v32
	v_add3_u32 v6, v6, v9, v13
	v_lshlrev_b32_e32 v13, 3, v32
	v_lshlrev_b32_e32 v9, 2, v10
	v_mad_u32_u24 v91, v10, 24, v90
	s_or_b32 s86, s7, s1
	s_cmp_eq_u32 ttmp9, s13
	v_lshlrev_b64_e32 v[5:6], 3, v[5:6]
	s_cselect_b32 s26, s4, 0
	v_cndmask_b32_e64 v81, 0, 1, s7
	s_cmp_eq_u32 s26, 0
	v_lshl_or_b32 v87, v32, 8, v13
	s_cselect_b32 s1, -1, 0
	s_ashr_i32 s7, s6, 31
	s_ashr_i32 s49, s48, 31
	s_wait_alu 0xfffe
	v_add_co_u32 v82, vcc_lo, s8, v5
	s_lshl_b64 s[4:5], s[6:7], 3
	s_lshl_b64 s[6:7], s[48:49], 3
	v_lshlrev_b64_e32 v[4:5], 3, v[3:4]
	v_add_co_ci_u32_e64 v83, null, s9, v6, vcc_lo
	v_cmp_gt_i32_e32 vcc_lo, s26, v78
	s_add_nc_u64 s[38:39], s[2:3], s[4:5]
	s_wait_alu 0xfffe
	s_add_nc_u64 s[2:3], s[10:11], s[6:7]
	v_or_b32_e32 v17, 1, v9
	v_cmp_lt_u32_e64 s6, v9, v32
	v_or_b32_e32 v19, 2, v9
	v_or_b32_e32 v9, 3, v9
	s_mul_u64 s[18:19], s[20:21], s[48:49]
	s_or_b32 s87, s1, vcc_lo
	s_lshl_b64 s[4:5], s[18:19], 3
	v_add_co_u32 v4, vcc_lo, s2, v4
	v_add_nc_u32_e32 v88, v87, v16
	v_cmp_lt_u32_e64 s9, v9, v32
	v_or_b32_e32 v9, 32, v32
	v_lshlrev_b32_e32 v16, 2, v11
	s_cmp_lg_u32 s26, 0
	s_wait_alu 0xfffd
	v_add_co_ci_u32_e64 v5, null, s3, v5, vcc_lo
	s_cselect_b32 s17, -1, 0
	s_sub_co_i32 s15, s26, 32
	v_add_co_u32 v85, vcc_lo, v4, s4
	v_cmp_gt_i32_e64 s4, s26, v8
	v_cmp_gt_i32_e64 s11, s26, v9
	;; [unrolled: 1-line block ×3, first 2 shown]
	v_mad_co_u64_u32 v[8:9], null, s20, v16, 0
	v_add_nc_u32_e32 v6, 8, v10
	v_lshlrev_b32_e32 v79, 3, v78
	v_sub_co_u32 v4, s2, 0, v32
	s_wait_alu 0xfffd
	v_add_co_ci_u32_e64 v86, null, s5, v5, vcc_lo
	v_cmp_gt_i32_e64 s3, s26, v6
	v_cmp_gt_i32_e64 s13, s15, v6
	v_mov_b32_e32 v6, v9
	s_wait_alu 0xf1ff
	v_sub_co_ci_u32_e64 v5, null, 0, 0, s2
	v_cmp_gt_i32_e64 s2, s26, v10
	v_cmp_gt_i32_e64 s5, s26, v15
	;; [unrolled: 1-line block ×4, first 2 shown]
	v_mul_i32_i24_e32 v15, 0xffffffe8, v10
	v_mad_co_u64_u32 v[9:10], null, s21, v16, v[6:7]
	v_cmp_le_i32_e32 vcc_lo, s26, v78
	v_lshrrev_b32_e32 v10, 4, v12
	v_and_b32_e32 v16, 15, v0
	v_and_b32_e32 v0, 48, v0
	v_cmp_lt_u32_e64 s7, v17, v32
	s_and_b32 s17, s17, vcc_lo
	v_sub_co_u32 v6, vcc_lo, 0, v3
	v_lshlrev_b32_e32 v3, 5, v10
	s_wait_alu 0xfffd
	v_sub_co_ci_u32_e64 v7, null, 0, v7, vcc_lo
	v_mul_u32_u24_e32 v17, 0x108, v17
	v_cmp_lt_u32_e64 s8, v19, v32
	v_mad_u32_u24 v94, 0x860, v11, v79
	v_lshlrev_b32_e32 v0, 3, v0
	v_or_b32_e32 v19, 0x78, v79
	v_mad_u32_u24 v95, 0x218, v16, v3
	v_mul_i32_i24_e32 v3, 0xffffffe8, v10
	s_lshl_b64 s[46:47], s[20:21], 5
	s_mul_u64 s[48:49], s[28:29], s[48:49]
	v_lshlrev_b64_e32 v[34:35], 3, v[4:5]
	v_lshlrev_b64_e32 v[36:37], 3, v[6:7]
	;; [unrolled: 1-line block ×3, first 2 shown]
	v_add_nc_u32_e32 v80, 0x2380, v79
	v_cndmask_b32_e64 v84, 0, 1, s1
	s_lshl_b64 s[40:41], s[20:21], 6
	s_lshl_b64 s[42:43], s[20:21], 7
	v_cmp_gt_i32_e64 s1, s26, v32
	s_ashr_i32 s27, s26, 31
	v_cmp_gt_u32_e64 s10, 32, v12
	s_xor_b32 s35, s17, -1
	s_sub_nc_u64 s[82:83], 0, s[18:19]
	v_add_nc_u32_e32 v92, 0x2180, v79
	v_cmp_gt_u32_e64 s18, 64, v12
	v_mad_u32_u24 v96, 0x218, v16, v0
	v_mad_u32_u24 v97, 0x218, v16, v19
	v_mad_i32_i24 v98, 0xfffff9b8, v11, v94
	v_add_nc_u32_e32 v100, v13, v14
	v_add_nc_u32_e32 v101, v13, v18
	v_add_nc_u32_e32 v102, v13, v17
	v_add_nc_u32_e32 v103, v89, v15
	v_add_nc_u32_e32 v104, v95, v3
	s_sub_nc_u64 s[78:79], 0, s[46:47]
	s_cmp_gt_i32 ttmp9, 0
	s_wait_alu 0xfffe
	s_sub_nc_u64 s[80:81], 0, s[48:49]
	s_mul_u64 s[44:45], s[20:21], 0xc0
	s_cselect_b32 s88, -1, 0
	s_and_b32 s89, s0, s35
	s_sub_nc_u64 s[48:49], 0, s[26:27]
	s_lshl_b64 s[50:51], s[20:21], 3
	s_lshl_b64 s[52:53], s[20:21], 9
	;; [unrolled: 1-line block ×3, first 2 shown]
	s_mul_u64 s[56:57], s[20:21], 24
	s_mul_u64 s[58:59], s[20:21], 0x90
	;; [unrolled: 1-line block ×10, first 2 shown]
	s_lshl_b64 s[76:77], s[20:21], 8
	s_mul_u64 s[20:21], s[20:21], 0x88
	s_lshl_b64 s[78:79], s[78:79], 3
	s_lshl_b64 s[80:81], s[80:81], 3
	;; [unrolled: 1-line block ×3, first 2 shown]
	s_branch .LBB110_4
.LBB110_2:                              ;   in Loop: Header=BB110_4 Depth=1
	s_wait_alu 0xfffe
	s_or_b32 exec_lo, exec_lo, s19
.LBB110_3:                              ;   in Loop: Header=BB110_4 Depth=1
	s_add_co_i32 s34, s34, 0x10000
	s_delay_alu instid0(SALU_CYCLE_1)
	s_cmp_lt_u32 s34, s33
	s_cbranch_scc0 .LBB110_79
.LBB110_4:                              ; =>This Loop Header: Depth=1
                                        ;     Child Loop BB110_67 Depth 2
	s_and_not1_b32 vcc_lo, exec_lo, s86
	s_wait_alu 0xfffe
	s_cbranch_vccnz .LBB110_3
; %bb.5:                                ;   in Loop: Header=BB110_4 Depth=1
	v_cmp_ne_u32_e32 vcc_lo, 1, v81
	s_cbranch_vccnz .LBB110_3
; %bb.6:                                ;   in Loop: Header=BB110_4 Depth=1
	s_mov_b32 s35, s37
	s_delay_alu instid0(SALU_CYCLE_1)
	s_mul_u64 s[84:85], s[30:31], s[34:35]
	s_wait_alu 0xfffe
	s_lshl_b64 s[84:85], s[84:85], 3
	s_wait_alu 0xfffe
	v_add_co_u32 v16, vcc_lo, v82, s84
	s_wait_alu 0xfffd
	v_add_co_ci_u32_e64 v17, null, s85, v83, vcc_lo
	s_and_saveexec_b32 s19, s0
	s_cbranch_execz .LBB110_10
; %bb.7:                                ;   in Loop: Header=BB110_4 Depth=1
	v_mov_b32_e32 v0, 0
	v_mov_b32_e32 v1, 0
	s_and_saveexec_b32 s36, s87
	s_cbranch_execz .LBB110_9
; %bb.8:                                ;   in Loop: Header=BB110_4 Depth=1
	global_load_b64 v[0:1], v[16:17], off
.LBB110_9:                              ;   in Loop: Header=BB110_4 Depth=1
	s_wait_alu 0xfffe
	s_or_b32 exec_lo, exec_lo, s36
	s_wait_loadcnt 0x0
	ds_store_b64 v80, v[0:1]
.LBB110_10:                             ;   in Loop: Header=BB110_4 Depth=1
	s_wait_alu 0xfffe
	s_or_b32 exec_lo, exec_lo, s19
	s_mul_u64 s[84:85], s[22:23], s[34:35]
	v_cmp_ne_u32_e32 vcc_lo, 1, v84
	s_wait_alu 0xfffe
	s_lshl_b64 s[84:85], s[84:85], 3
	s_wait_alu 0xfffe
	v_add_co_u32 v0, s19, v85, s84
	s_wait_alu 0xf1ff
	v_add_co_ci_u32_e64 v1, null, s85, v86, s19
	s_mov_b32 s19, -1
	s_cbranch_vccnz .LBB110_12
; %bb.11:                               ;   in Loop: Header=BB110_4 Depth=1
	v_add_co_u32 v2, vcc_lo, v0, s40
	s_wait_alu 0xfffd
	v_add_co_ci_u32_e64 v3, null, s41, v1, vcc_lo
	s_mov_b32 s19, 0
	v_add_co_u32 v4, vcc_lo, v2, s40
	s_wait_alu 0xfffd
	v_add_co_ci_u32_e64 v5, null, s41, v3, vcc_lo
	s_delay_alu instid0(VALU_DEP_2) | instskip(SKIP_1) | instid1(VALU_DEP_2)
	v_add_co_u32 v6, vcc_lo, v4, s40
	s_wait_alu 0xfffd
	v_add_co_ci_u32_e64 v7, null, s41, v5, vcc_lo
	s_clause 0x3
	global_load_b64 v[8:9], v[0:1], off
	global_load_b64 v[2:3], v[2:3], off
	;; [unrolled: 1-line block ×4, first 2 shown]
	s_wait_loadcnt 0x3
	ds_store_b64 v100, v[8:9]
	s_wait_loadcnt 0x2
	ds_store_b64 v100, v[2:3] offset:2112
	s_wait_loadcnt 0x1
	ds_store_b64 v100, v[4:5] offset:4224
	;; [unrolled: 2-line block ×3, first 2 shown]
.LBB110_12:                             ;   in Loop: Header=BB110_4 Depth=1
	s_wait_alu 0xfffe
	s_and_not1_b32 vcc_lo, exec_lo, s19
	s_wait_alu 0xfffe
	s_cbranch_vccnz .LBB110_22
; %bb.13:                               ;   in Loop: Header=BB110_4 Depth=1
	v_add_co_u32 v2, vcc_lo, v0, v34
	s_wait_alu 0xfffd
	v_add_co_ci_u32_e64 v3, null, v1, v35, vcc_lo
	s_lshl_b64 s[84:85], s[26:27], 3
	v_mov_b32_e32 v6, 0
	s_wait_alu 0xfffe
	v_add_co_u32 v2, vcc_lo, v2, s84
	s_wait_alu 0xfffd
	v_add_co_ci_u32_e64 v3, null, s85, v3, vcc_lo
	v_dual_mov_b32 v7, 0 :: v_dual_mov_b32 v4, 0
	s_delay_alu instid0(VALU_DEP_3) | instskip(SKIP_1) | instid1(VALU_DEP_3)
	v_add_co_u32 v2, vcc_lo, v2, -8
	s_wait_alu 0xfffd
	v_add_co_ci_u32_e64 v3, null, -1, v3, vcc_lo
	v_mov_b32_e32 v5, 0
	s_delay_alu instid0(VALU_DEP_3) | instskip(NEXT) | instid1(VALU_DEP_3)
	v_cndmask_b32_e64 v2, v2, v0, s1
	v_cndmask_b32_e64 v3, v3, v1, s1
	s_and_saveexec_b32 s19, s2
	s_cbranch_execz .LBB110_15
; %bb.14:                               ;   in Loop: Header=BB110_4 Depth=1
	global_load_b64 v[4:5], v[2:3], off
.LBB110_15:                             ;   in Loop: Header=BB110_4 Depth=1
	s_wait_alu 0xfffe
	s_or_b32 exec_lo, exec_lo, s19
	s_wait_loadcnt 0x0
	ds_store_b64 v100, v[4:5]
	s_and_saveexec_b32 s19, s3
	s_cbranch_execz .LBB110_17
; %bb.16:                               ;   in Loop: Header=BB110_4 Depth=1
	v_add_co_u32 v4, vcc_lo, v2, s40
	s_wait_alu 0xfffd
	v_add_co_ci_u32_e64 v5, null, s41, v3, vcc_lo
	global_load_b64 v[6:7], v[4:5], off
.LBB110_17:                             ;   in Loop: Header=BB110_4 Depth=1
	s_wait_alu 0xfffe
	s_or_b32 exec_lo, exec_lo, s19
	v_mov_b32_e32 v4, 0
	v_dual_mov_b32 v5, 0 :: v_dual_mov_b32 v8, 0
	v_mov_b32_e32 v9, 0
	s_wait_loadcnt 0x0
	ds_store_b64 v100, v[6:7] offset:2112
	s_and_saveexec_b32 s19, s4
	s_cbranch_execz .LBB110_19
; %bb.18:                               ;   in Loop: Header=BB110_4 Depth=1
	v_add_co_u32 v6, vcc_lo, v2, s42
	s_wait_alu 0xfffd
	v_add_co_ci_u32_e64 v7, null, s43, v3, vcc_lo
	global_load_b64 v[8:9], v[6:7], off
.LBB110_19:                             ;   in Loop: Header=BB110_4 Depth=1
	s_wait_alu 0xfffe
	s_or_b32 exec_lo, exec_lo, s19
	s_wait_loadcnt 0x0
	ds_store_b64 v100, v[8:9] offset:4224
	s_and_saveexec_b32 s19, s5
	s_cbranch_execz .LBB110_21
; %bb.20:                               ;   in Loop: Header=BB110_4 Depth=1
	v_add_co_u32 v4, vcc_lo, v2, s44
	s_wait_alu 0xfffd
	v_add_co_ci_u32_e64 v5, null, s45, v3, vcc_lo
	global_load_b64 v[4:5], v[4:5], off
.LBB110_21:                             ;   in Loop: Header=BB110_4 Depth=1
	s_wait_alu 0xfffe
	s_or_b32 exec_lo, exec_lo, s19
	v_add_co_u32 v2, vcc_lo, v2, v105
	s_wait_alu 0xfffd
	v_add_co_ci_u32_e64 v3, null, 0, v3, vcc_lo
	s_lshl_b64 s[84:85], s[48:49], 3
	s_wait_loadcnt 0x0
	ds_store_b64 v100, v[4:5] offset:6336
	s_wait_alu 0xfffe
	v_add_co_u32 v2, vcc_lo, v2, s84
	s_wait_alu 0xfffd
	v_add_co_ci_u32_e64 v3, null, s85, v3, vcc_lo
	s_delay_alu instid0(VALU_DEP_2) | instskip(SKIP_1) | instid1(VALU_DEP_2)
	v_add_co_u32 v2, vcc_lo, v2, 8
	s_wait_alu 0xfffd
	v_add_co_ci_u32_e64 v3, null, 0, v3, vcc_lo
	s_delay_alu instid0(VALU_DEP_2) | instskip(NEXT) | instid1(VALU_DEP_2)
	v_cndmask_b32_e64 v0, v2, v0, s1
	v_cndmask_b32_e64 v1, v3, v1, s1
.LBB110_22:                             ;   in Loop: Header=BB110_4 Depth=1
	s_wait_dscnt 0x0
	s_barrier_signal -1
	s_barrier_wait -1
	global_inv scope:SCOPE_SE
	s_and_saveexec_b32 s19, s6
	s_cbranch_execnz .LBB110_73
; %bb.23:                               ;   in Loop: Header=BB110_4 Depth=1
	s_wait_alu 0xfffe
	s_or_b32 exec_lo, exec_lo, s19
	s_and_saveexec_b32 s19, s7
	s_cbranch_execnz .LBB110_74
.LBB110_24:                             ;   in Loop: Header=BB110_4 Depth=1
	s_wait_alu 0xfffe
	s_or_b32 exec_lo, exec_lo, s19
	s_and_saveexec_b32 s19, s8
	s_cbranch_execnz .LBB110_75
.LBB110_25:                             ;   in Loop: Header=BB110_4 Depth=1
	s_wait_alu 0xfffe
	s_or_b32 exec_lo, exec_lo, s19
	s_and_saveexec_b32 s19, s9
	s_cbranch_execz .LBB110_27
.LBB110_26:                             ;   in Loop: Header=BB110_4 Depth=1
	ds_load_b64 v[2:3], v102 offset:528
	s_wait_dscnt 0x0
	ds_store_b64 v88, v[2:3] offset:24
.LBB110_27:                             ;   in Loop: Header=BB110_4 Depth=1
	s_wait_alu 0xfffe
	s_or_b32 exec_lo, exec_lo, s19
	s_wait_loadcnt_dscnt 0x0
	s_barrier_signal -1
	s_barrier_wait -1
	global_inv scope:SCOPE_SE
	ds_load_b64 v[10:11], v101
	ds_load_b128 v[2:5], v89
	ds_load_b128 v[6:9], v89 offset:16
	ds_load_b64 v[14:15], v102 offset:528
	v_mov_b32_e32 v42, 0
	v_mov_b32_e32 v43, 0
	s_wait_dscnt 0x2
	v_fma_f64 v[2:3], v[10:11], v[2:3], 0
	ds_load_2addr_b64 v[10:13], v102 offset1:33
	s_wait_loadcnt_dscnt 0x0
	s_barrier_signal -1
	s_barrier_wait -1
	global_inv scope:SCOPE_SE
	v_fma_f64 v[2:3], v[10:11], v[4:5], v[2:3]
	s_delay_alu instid0(VALU_DEP_1) | instskip(NEXT) | instid1(VALU_DEP_1)
	v_fma_f64 v[2:3], v[12:13], v[6:7], v[2:3]
	v_fma_f64 v[2:3], v[14:15], v[8:9], v[2:3]
	ds_store_b64 v90, v[2:3]
	s_wait_loadcnt_dscnt 0x0
	s_barrier_signal -1
	s_barrier_wait -1
	global_inv scope:SCOPE_SE
	s_and_saveexec_b32 s19, s10
	s_cbranch_execz .LBB110_29
; %bb.28:                               ;   in Loop: Header=BB110_4 Depth=1
	ds_load_2addr_b64 v[2:5], v87 offset1:1
	ds_load_2addr_b64 v[6:9], v87 offset0:2 offset1:3
	s_wait_dscnt 0x1
	v_add_f64_e32 v[2:3], v[2:3], v[4:5]
	s_wait_dscnt 0x0
	s_delay_alu instid0(VALU_DEP_1) | instskip(NEXT) | instid1(VALU_DEP_1)
	v_add_f64_e32 v[2:3], v[2:3], v[6:7]
	v_add_f64_e32 v[10:11], v[2:3], v[8:9]
	ds_load_2addr_b64 v[2:5], v87 offset0:4 offset1:5
	ds_load_2addr_b64 v[6:9], v87 offset0:6 offset1:7
	s_wait_dscnt 0x1
	v_add_f64_e32 v[2:3], v[10:11], v[2:3]
	s_delay_alu instid0(VALU_DEP_1) | instskip(SKIP_1) | instid1(VALU_DEP_1)
	v_add_f64_e32 v[2:3], v[2:3], v[4:5]
	s_wait_dscnt 0x0
	v_add_f64_e32 v[2:3], v[2:3], v[6:7]
	s_delay_alu instid0(VALU_DEP_1)
	v_add_f64_e32 v[42:43], v[2:3], v[8:9]
.LBB110_29:                             ;   in Loop: Header=BB110_4 Depth=1
	s_wait_alu 0xfffe
	s_or_b32 exec_lo, exec_lo, s19
	s_lshl_b64 s[84:85], s[46:47], 3
	v_cmp_ne_u32_e32 vcc_lo, 1, v84
	s_wait_alu 0xfffe
	v_add_co_u32 v0, s19, v0, s84
	s_wait_alu 0xf1ff
	v_add_co_ci_u32_e64 v1, null, s85, v1, s19
	s_and_b32 vcc_lo, exec_lo, vcc_lo
	s_mov_b32 s19, -1
	s_wait_loadcnt 0x0
	s_barrier_signal -1
	s_barrier_wait -1
	global_inv scope:SCOPE_SE
	s_wait_alu 0xfffe
	s_cbranch_vccnz .LBB110_31
; %bb.30:                               ;   in Loop: Header=BB110_4 Depth=1
	v_add_co_u32 v2, vcc_lo, v0, s40
	s_wait_alu 0xfffd
	v_add_co_ci_u32_e64 v3, null, s41, v1, vcc_lo
	s_mov_b32 s19, 0
	v_add_co_u32 v4, vcc_lo, v2, s40
	s_wait_alu 0xfffd
	v_add_co_ci_u32_e64 v5, null, s41, v3, vcc_lo
	s_delay_alu instid0(VALU_DEP_2) | instskip(SKIP_1) | instid1(VALU_DEP_2)
	v_add_co_u32 v6, vcc_lo, v4, s40
	s_wait_alu 0xfffd
	v_add_co_ci_u32_e64 v7, null, s41, v5, vcc_lo
	s_clause 0x3
	global_load_b64 v[8:9], v[0:1], off offset:256
	global_load_b64 v[2:3], v[2:3], off offset:256
	;; [unrolled: 1-line block ×4, first 2 shown]
	s_wait_loadcnt 0x3
	ds_store_b64 v100, v[8:9]
	s_wait_loadcnt 0x2
	ds_store_b64 v100, v[2:3] offset:2112
	s_wait_loadcnt 0x1
	ds_store_b64 v100, v[4:5] offset:4224
	;; [unrolled: 2-line block ×3, first 2 shown]
.LBB110_31:                             ;   in Loop: Header=BB110_4 Depth=1
	v_add_co_u32 v8, vcc_lo, 0x100, v0
	s_wait_alu 0xfffd
	v_add_co_ci_u32_e64 v9, null, 0, v1, vcc_lo
	s_wait_alu 0xfffe
	s_and_not1_b32 vcc_lo, exec_lo, s19
	s_wait_alu 0xfffe
	s_cbranch_vccnz .LBB110_41
; %bb.32:                               ;   in Loop: Header=BB110_4 Depth=1
	v_add_co_u32 v0, vcc_lo, v0, v34
	s_wait_alu 0xfffd
	v_add_co_ci_u32_e64 v1, null, v1, v35, vcc_lo
	s_lshl_b64 s[84:85], s[26:27], 3
	v_mov_b32_e32 v4, 0
	s_wait_alu 0xfffe
	v_add_co_u32 v0, vcc_lo, v0, s84
	s_wait_alu 0xfffd
	v_add_co_ci_u32_e64 v1, null, s85, v1, vcc_lo
	v_dual_mov_b32 v5, 0 :: v_dual_mov_b32 v2, 0
	s_delay_alu instid0(VALU_DEP_3) | instskip(SKIP_1) | instid1(VALU_DEP_3)
	v_add_co_u32 v0, vcc_lo, v0, -8
	s_wait_alu 0xfffd
	v_add_co_ci_u32_e64 v1, null, -1, v1, vcc_lo
	v_mov_b32_e32 v3, 0
	s_delay_alu instid0(VALU_DEP_3) | instskip(NEXT) | instid1(VALU_DEP_3)
	v_cndmask_b32_e64 v0, v0, v8, s11
	v_cndmask_b32_e64 v1, v1, v9, s11
	s_and_saveexec_b32 s19, s12
	s_cbranch_execz .LBB110_34
; %bb.33:                               ;   in Loop: Header=BB110_4 Depth=1
	global_load_b64 v[2:3], v[0:1], off
.LBB110_34:                             ;   in Loop: Header=BB110_4 Depth=1
	s_wait_alu 0xfffe
	s_or_b32 exec_lo, exec_lo, s19
	s_wait_loadcnt 0x0
	ds_store_b64 v100, v[2:3]
	s_and_saveexec_b32 s19, s13
	s_cbranch_execz .LBB110_36
; %bb.35:                               ;   in Loop: Header=BB110_4 Depth=1
	v_add_co_u32 v2, vcc_lo, v0, s40
	s_wait_alu 0xfffd
	v_add_co_ci_u32_e64 v3, null, s41, v1, vcc_lo
	global_load_b64 v[4:5], v[2:3], off
.LBB110_36:                             ;   in Loop: Header=BB110_4 Depth=1
	s_wait_alu 0xfffe
	s_or_b32 exec_lo, exec_lo, s19
	v_mov_b32_e32 v2, 0
	v_dual_mov_b32 v3, 0 :: v_dual_mov_b32 v6, 0
	v_mov_b32_e32 v7, 0
	s_wait_loadcnt 0x0
	ds_store_b64 v100, v[4:5] offset:2112
	s_and_saveexec_b32 s19, s14
	s_cbranch_execz .LBB110_38
; %bb.37:                               ;   in Loop: Header=BB110_4 Depth=1
	v_add_co_u32 v4, vcc_lo, v0, s42
	s_wait_alu 0xfffd
	v_add_co_ci_u32_e64 v5, null, s43, v1, vcc_lo
	global_load_b64 v[6:7], v[4:5], off
.LBB110_38:                             ;   in Loop: Header=BB110_4 Depth=1
	s_wait_alu 0xfffe
	s_or_b32 exec_lo, exec_lo, s19
	s_wait_loadcnt 0x0
	ds_store_b64 v100, v[6:7] offset:4224
	s_and_saveexec_b32 s19, s15
	s_cbranch_execz .LBB110_40
; %bb.39:                               ;   in Loop: Header=BB110_4 Depth=1
	v_add_co_u32 v2, vcc_lo, v0, s44
	s_wait_alu 0xfffd
	v_add_co_ci_u32_e64 v3, null, s45, v1, vcc_lo
	global_load_b64 v[2:3], v[2:3], off
.LBB110_40:                             ;   in Loop: Header=BB110_4 Depth=1
	s_wait_alu 0xfffe
	s_or_b32 exec_lo, exec_lo, s19
	v_add_co_u32 v0, vcc_lo, v0, v105
	s_wait_alu 0xfffd
	v_add_co_ci_u32_e64 v1, null, 0, v1, vcc_lo
	s_lshl_b64 s[84:85], s[48:49], 3
	s_wait_loadcnt 0x0
	ds_store_b64 v100, v[2:3] offset:6336
	s_wait_alu 0xfffe
	v_add_co_u32 v0, vcc_lo, v0, s84
	s_wait_alu 0xfffd
	v_add_co_ci_u32_e64 v1, null, s85, v1, vcc_lo
	s_delay_alu instid0(VALU_DEP_2) | instskip(SKIP_1) | instid1(VALU_DEP_2)
	v_add_co_u32 v0, vcc_lo, 0x108, v0
	s_wait_alu 0xfffd
	v_add_co_ci_u32_e64 v1, null, 0, v1, vcc_lo
	s_delay_alu instid0(VALU_DEP_2) | instskip(NEXT) | instid1(VALU_DEP_2)
	v_cndmask_b32_e64 v8, v0, v8, s11
	v_cndmask_b32_e64 v9, v1, v9, s11
.LBB110_41:                             ;   in Loop: Header=BB110_4 Depth=1
	s_wait_loadcnt_dscnt 0x0
	s_barrier_signal -1
	s_barrier_wait -1
	global_inv scope:SCOPE_SE
	s_and_saveexec_b32 s19, s6
	s_cbranch_execnz .LBB110_76
; %bb.42:                               ;   in Loop: Header=BB110_4 Depth=1
	s_wait_alu 0xfffe
	s_or_b32 exec_lo, exec_lo, s19
	s_and_saveexec_b32 s19, s7
	s_cbranch_execnz .LBB110_77
.LBB110_43:                             ;   in Loop: Header=BB110_4 Depth=1
	s_wait_alu 0xfffe
	s_or_b32 exec_lo, exec_lo, s19
	s_and_saveexec_b32 s19, s8
	s_cbranch_execnz .LBB110_78
.LBB110_44:                             ;   in Loop: Header=BB110_4 Depth=1
	s_wait_alu 0xfffe
	s_or_b32 exec_lo, exec_lo, s19
	s_and_saveexec_b32 s19, s9
	s_cbranch_execz .LBB110_46
.LBB110_45:                             ;   in Loop: Header=BB110_4 Depth=1
	ds_load_b64 v[0:1], v102 offset:528
	s_wait_dscnt 0x0
	ds_store_b64 v88, v[0:1] offset:24
.LBB110_46:                             ;   in Loop: Header=BB110_4 Depth=1
	s_wait_alu 0xfffe
	s_or_b32 exec_lo, exec_lo, s19
	s_wait_loadcnt_dscnt 0x0
	s_barrier_signal -1
	s_barrier_wait -1
	global_inv scope:SCOPE_SE
	ds_load_b64 v[10:11], v101
	ds_load_b128 v[0:3], v89 offset:256
	ds_load_b128 v[4:7], v89 offset:272
	ds_load_b64 v[14:15], v102 offset:528
	s_wait_dscnt 0x2
	v_fma_f64 v[0:1], v[10:11], v[0:1], 0
	ds_load_2addr_b64 v[10:13], v102 offset1:33
	s_wait_loadcnt_dscnt 0x0
	s_barrier_signal -1
	s_barrier_wait -1
	global_inv scope:SCOPE_SE
	v_fma_f64 v[0:1], v[10:11], v[2:3], v[0:1]
	s_delay_alu instid0(VALU_DEP_1) | instskip(NEXT) | instid1(VALU_DEP_1)
	v_fma_f64 v[0:1], v[12:13], v[4:5], v[0:1]
	v_fma_f64 v[0:1], v[14:15], v[6:7], v[0:1]
	ds_store_b64 v90, v[0:1]
	s_wait_loadcnt_dscnt 0x0
	s_barrier_signal -1
	s_barrier_wait -1
	global_inv scope:SCOPE_SE
	s_and_saveexec_b32 s19, s16
	s_cbranch_execz .LBB110_48
; %bb.47:                               ;   in Loop: Header=BB110_4 Depth=1
	ds_load_2addr_b64 v[0:3], v87 offset1:1
	ds_load_2addr_b64 v[4:7], v87 offset0:2 offset1:3
	s_wait_dscnt 0x1
	v_add_f64_e32 v[0:1], v[0:1], v[2:3]
	s_wait_dscnt 0x0
	s_delay_alu instid0(VALU_DEP_1) | instskip(NEXT) | instid1(VALU_DEP_1)
	v_add_f64_e32 v[0:1], v[0:1], v[4:5]
	v_add_f64_e32 v[10:11], v[0:1], v[6:7]
	ds_load_2addr_b64 v[0:3], v87 offset0:4 offset1:5
	ds_load_2addr_b64 v[4:7], v87 offset0:6 offset1:7
	s_wait_dscnt 0x1
	v_add_f64_e32 v[0:1], v[10:11], v[0:1]
	s_delay_alu instid0(VALU_DEP_1) | instskip(SKIP_1) | instid1(VALU_DEP_1)
	v_add_f64_e32 v[0:1], v[0:1], v[2:3]
	s_wait_dscnt 0x0
	v_add_f64_e32 v[0:1], v[0:1], v[4:5]
	s_delay_alu instid0(VALU_DEP_1)
	v_add_f64_e32 v[42:43], v[0:1], v[6:7]
.LBB110_48:                             ;   in Loop: Header=BB110_4 Depth=1
	s_wait_alu 0xfffe
	s_or_b32 exec_lo, exec_lo, s19
	v_cmp_ne_u32_e32 vcc_lo, 1, v84
	v_add_co_u32 v18, s19, v8, s78
	s_wait_alu 0xf1ff
	v_add_co_ci_u32_e64 v19, null, s79, v9, s19
	s_and_b32 vcc_lo, exec_lo, vcc_lo
	s_mov_b32 s19, -1
	s_wait_loadcnt 0x0
	s_barrier_signal -1
	s_barrier_wait -1
	global_inv scope:SCOPE_SE
	s_wait_alu 0xfffe
	s_cbranch_vccnz .LBB110_50
; %bb.49:                               ;   in Loop: Header=BB110_4 Depth=1
	v_add_co_u32 v0, vcc_lo, v18, s40
	s_wait_alu 0xfffd
	v_add_co_ci_u32_e64 v1, null, s41, v19, vcc_lo
	s_mov_b32 s19, 0
	v_add_co_u32 v2, vcc_lo, v0, s40
	s_wait_alu 0xfffd
	v_add_co_ci_u32_e64 v3, null, s41, v1, vcc_lo
	s_delay_alu instid0(VALU_DEP_2) | instskip(SKIP_1) | instid1(VALU_DEP_2)
	v_add_co_u32 v4, vcc_lo, v2, s40
	s_wait_alu 0xfffd
	v_add_co_ci_u32_e64 v5, null, s41, v3, vcc_lo
	s_clause 0x3
	global_load_b64 v[6:7], v[18:19], off
	global_load_b64 v[0:1], v[0:1], off
	;; [unrolled: 1-line block ×4, first 2 shown]
	s_wait_loadcnt 0x3
	ds_store_b64 v100, v[6:7]
	s_wait_loadcnt 0x2
	ds_store_b64 v100, v[0:1] offset:2112
	s_wait_loadcnt 0x1
	ds_store_b64 v100, v[2:3] offset:4224
	;; [unrolled: 2-line block ×3, first 2 shown]
.LBB110_50:                             ;   in Loop: Header=BB110_4 Depth=1
	s_wait_alu 0xfffe
	s_and_not1_b32 vcc_lo, exec_lo, s19
	s_wait_alu 0xfffe
	s_cbranch_vccnz .LBB110_60
; %bb.51:                               ;   in Loop: Header=BB110_4 Depth=1
	v_add_co_u32 v0, vcc_lo, v18, v34
	s_wait_alu 0xfffd
	v_add_co_ci_u32_e64 v1, null, v19, v35, vcc_lo
	s_lshl_b64 s[84:85], s[26:27], 3
	v_mov_b32_e32 v4, 0
	s_wait_alu 0xfffe
	v_add_co_u32 v0, vcc_lo, v0, s84
	s_wait_alu 0xfffd
	v_add_co_ci_u32_e64 v1, null, s85, v1, vcc_lo
	v_dual_mov_b32 v5, 0 :: v_dual_mov_b32 v2, 0
	s_delay_alu instid0(VALU_DEP_3) | instskip(SKIP_1) | instid1(VALU_DEP_3)
	v_add_co_u32 v0, vcc_lo, 0xfffffef8, v0
	s_wait_alu 0xfffd
	v_add_co_ci_u32_e64 v1, null, -1, v1, vcc_lo
	v_mov_b32_e32 v3, 0
	s_delay_alu instid0(VALU_DEP_3) | instskip(NEXT) | instid1(VALU_DEP_3)
	v_cndmask_b32_e64 v0, v0, v18, s11
	v_cndmask_b32_e64 v1, v1, v19, s11
	s_and_saveexec_b32 s19, s2
	s_cbranch_execz .LBB110_53
; %bb.52:                               ;   in Loop: Header=BB110_4 Depth=1
	global_load_b64 v[2:3], v[0:1], off
.LBB110_53:                             ;   in Loop: Header=BB110_4 Depth=1
	s_wait_alu 0xfffe
	s_or_b32 exec_lo, exec_lo, s19
	s_wait_loadcnt 0x0
	ds_store_b64 v100, v[2:3]
	s_and_saveexec_b32 s19, s3
	s_cbranch_execz .LBB110_55
; %bb.54:                               ;   in Loop: Header=BB110_4 Depth=1
	v_add_co_u32 v2, vcc_lo, v0, s40
	s_wait_alu 0xfffd
	v_add_co_ci_u32_e64 v3, null, s41, v1, vcc_lo
	global_load_b64 v[4:5], v[2:3], off
.LBB110_55:                             ;   in Loop: Header=BB110_4 Depth=1
	s_wait_alu 0xfffe
	s_or_b32 exec_lo, exec_lo, s19
	v_mov_b32_e32 v2, 0
	v_dual_mov_b32 v3, 0 :: v_dual_mov_b32 v6, 0
	v_mov_b32_e32 v7, 0
	s_wait_loadcnt 0x0
	ds_store_b64 v100, v[4:5] offset:2112
	s_and_saveexec_b32 s19, s4
	s_cbranch_execz .LBB110_57
; %bb.56:                               ;   in Loop: Header=BB110_4 Depth=1
	v_add_co_u32 v4, vcc_lo, v0, s42
	s_wait_alu 0xfffd
	v_add_co_ci_u32_e64 v5, null, s43, v1, vcc_lo
	global_load_b64 v[6:7], v[4:5], off
.LBB110_57:                             ;   in Loop: Header=BB110_4 Depth=1
	s_wait_alu 0xfffe
	s_or_b32 exec_lo, exec_lo, s19
	s_wait_loadcnt 0x0
	ds_store_b64 v100, v[6:7] offset:4224
	s_and_saveexec_b32 s19, s5
	s_cbranch_execz .LBB110_59
; %bb.58:                               ;   in Loop: Header=BB110_4 Depth=1
	v_add_co_u32 v2, vcc_lo, v0, s44
	s_wait_alu 0xfffd
	v_add_co_ci_u32_e64 v3, null, s45, v1, vcc_lo
	global_load_b64 v[2:3], v[2:3], off
.LBB110_59:                             ;   in Loop: Header=BB110_4 Depth=1
	s_wait_alu 0xfffe
	s_or_b32 exec_lo, exec_lo, s19
	v_add_co_u32 v0, vcc_lo, v0, v105
	s_wait_alu 0xfffd
	v_add_co_ci_u32_e64 v1, null, 0, v1, vcc_lo
	s_lshl_b64 s[84:85], s[48:49], 3
	s_wait_loadcnt 0x0
	ds_store_b64 v100, v[2:3] offset:6336
	s_wait_alu 0xfffe
	v_add_co_u32 v0, vcc_lo, v0, s84
	s_wait_alu 0xfffd
	v_add_co_ci_u32_e64 v1, null, s85, v1, vcc_lo
	s_delay_alu instid0(VALU_DEP_2) | instskip(SKIP_1) | instid1(VALU_DEP_2)
	v_add_co_u32 v0, vcc_lo, 0x108, v0
	s_wait_alu 0xfffd
	v_add_co_ci_u32_e64 v1, null, 0, v1, vcc_lo
	s_delay_alu instid0(VALU_DEP_2) | instskip(NEXT) | instid1(VALU_DEP_2)
	v_cndmask_b32_e64 v18, v0, v18, s11
	v_cndmask_b32_e64 v19, v1, v19, s11
.LBB110_60:                             ;   in Loop: Header=BB110_4 Depth=1
	s_wait_loadcnt_dscnt 0x0
	s_barrier_signal -1
	s_barrier_wait -1
	global_inv scope:SCOPE_SE
	ds_load_b64 v[0:1], v100
	ds_load_b64 v[2:3], v103
	ds_load_b64 v[4:5], v100 offset:6336
	ds_load_b64 v[6:7], v100 offset:2112
	;; [unrolled: 1-line block ×4, first 2 shown]
	s_wait_dscnt 0x4
	v_fma_f64 v[12:13], v[0:1], v[2:3], 0
	ds_load_2addr_b64 v[0:3], v99 offset0:8 offset1:16
	s_wait_dscnt 0x0
	v_fma_f64 v[0:1], v[6:7], v[0:1], v[12:13]
	s_delay_alu instid0(VALU_DEP_1) | instskip(NEXT) | instid1(VALU_DEP_1)
	v_fma_f64 v[0:1], v[8:9], v[2:3], v[0:1]
	v_fma_f64 v[20:21], v[4:5], v[10:11], v[0:1]
	ds_load_b128 v[8:11], v89 offset:256
	ds_load_b128 v[0:3], v89 offset:272
	ds_load_2addr_b64 v[12:15], v91 offset1:1
	ds_load_2addr_b64 v[4:7], v91 offset0:2 offset1:3
	s_wait_loadcnt_dscnt 0x0
	s_barrier_signal -1
	s_barrier_wait -1
	global_inv scope:SCOPE_SE
	ds_store_b64 v90, v[20:21]
	s_wait_loadcnt_dscnt 0x0
	s_barrier_signal -1
	s_barrier_wait -1
	global_inv scope:SCOPE_SE
	s_and_saveexec_b32 s19, s16
	s_cbranch_execz .LBB110_62
; %bb.61:                               ;   in Loop: Header=BB110_4 Depth=1
	ds_load_2addr_b64 v[20:23], v87 offset1:1
	ds_load_2addr_b64 v[24:27], v87 offset0:2 offset1:3
	s_wait_dscnt 0x1
	v_add_f64_e32 v[20:21], v[42:43], v[20:21]
	s_delay_alu instid0(VALU_DEP_1) | instskip(SKIP_1) | instid1(VALU_DEP_1)
	v_add_f64_e32 v[20:21], v[20:21], v[22:23]
	s_wait_dscnt 0x0
	v_add_f64_e32 v[20:21], v[20:21], v[24:25]
	s_delay_alu instid0(VALU_DEP_1) | instskip(SKIP_4) | instid1(VALU_DEP_1)
	v_add_f64_e32 v[28:29], v[20:21], v[26:27]
	ds_load_2addr_b64 v[20:23], v87 offset0:4 offset1:5
	ds_load_2addr_b64 v[24:27], v87 offset0:6 offset1:7
	s_wait_dscnt 0x1
	v_add_f64_e32 v[20:21], v[28:29], v[20:21]
	v_add_f64_e32 v[20:21], v[20:21], v[22:23]
	s_wait_dscnt 0x0
	s_delay_alu instid0(VALU_DEP_1) | instskip(NEXT) | instid1(VALU_DEP_1)
	v_add_f64_e32 v[20:21], v[20:21], v[24:25]
	v_add_f64_e32 v[42:43], v[20:21], v[26:27]
.LBB110_62:                             ;   in Loop: Header=BB110_4 Depth=1
	s_wait_alu 0xfffe
	s_or_b32 exec_lo, exec_lo, s19
	v_fma_f64 v[8:9], v[12:13], v[8:9], 0
	s_wait_loadcnt 0x0
	s_barrier_signal -1
	s_barrier_wait -1
	global_inv scope:SCOPE_SE
	v_fma_f64 v[8:9], v[14:15], v[10:11], v[8:9]
	s_delay_alu instid0(VALU_DEP_1) | instskip(NEXT) | instid1(VALU_DEP_1)
	v_fma_f64 v[0:1], v[4:5], v[0:1], v[8:9]
	v_fma_f64 v[0:1], v[6:7], v[2:3], v[0:1]
	ds_store_b64 v90, v[0:1]
	s_wait_loadcnt_dscnt 0x0
	s_barrier_signal -1
	s_barrier_wait -1
	global_inv scope:SCOPE_SE
	s_and_saveexec_b32 s19, s10
	s_cbranch_execz .LBB110_64
; %bb.63:                               ;   in Loop: Header=BB110_4 Depth=1
	ds_load_2addr_b64 v[0:3], v87 offset1:1
	ds_load_2addr_b64 v[4:7], v87 offset0:2 offset1:3
	s_wait_dscnt 0x1
	v_add_f64_e32 v[0:1], v[42:43], v[0:1]
	s_delay_alu instid0(VALU_DEP_1) | instskip(SKIP_1) | instid1(VALU_DEP_1)
	v_add_f64_e32 v[0:1], v[0:1], v[2:3]
	s_wait_dscnt 0x0
	v_add_f64_e32 v[0:1], v[0:1], v[4:5]
	s_delay_alu instid0(VALU_DEP_1) | instskip(SKIP_4) | instid1(VALU_DEP_1)
	v_add_f64_e32 v[8:9], v[0:1], v[6:7]
	ds_load_2addr_b64 v[0:3], v87 offset0:4 offset1:5
	ds_load_2addr_b64 v[4:7], v87 offset0:6 offset1:7
	s_wait_dscnt 0x1
	v_add_f64_e32 v[0:1], v[8:9], v[0:1]
	v_add_f64_e32 v[0:1], v[0:1], v[2:3]
	s_wait_dscnt 0x0
	s_delay_alu instid0(VALU_DEP_1) | instskip(NEXT) | instid1(VALU_DEP_1)
	v_add_f64_e32 v[0:1], v[0:1], v[4:5]
	v_add_f64_e32 v[42:43], v[0:1], v[6:7]
.LBB110_64:                             ;   in Loop: Header=BB110_4 Depth=1
	s_wait_alu 0xfffe
	s_or_b32 exec_lo, exec_lo, s19
	s_mul_u64 s[84:85], s[24:25], s[34:35]
	s_and_not1_b32 vcc_lo, exec_lo, s88
	s_wait_alu 0xfffe
	s_lshl_b64 s[84:85], s[84:85], 3
	s_wait_loadcnt 0x0
	s_wait_alu 0xfffe
	s_add_nc_u64 s[84:85], s[38:39], s[84:85]
	s_barrier_signal -1
	s_barrier_wait -1
	global_inv scope:SCOPE_SE
	s_cbranch_vccnz .LBB110_71
; %bb.65:                               ;   in Loop: Header=BB110_4 Depth=1
	v_add_co_u32 v0, vcc_lo, v18, s82
	s_wait_alu 0xfffd
	v_add_co_ci_u32_e64 v1, null, s83, v19, vcc_lo
	v_lshlrev_b32_e32 v2, 3, v78
	s_delay_alu instid0(VALU_DEP_3) | instskip(SKIP_1) | instid1(VALU_DEP_3)
	v_add_co_u32 v0, vcc_lo, v0, v36
	s_wait_alu 0xfffd
	v_add_co_ci_u32_e64 v1, null, v1, v37, vcc_lo
	s_lshl_b64 s[90:91], s[26:27], 3
	v_add_co_u32 v0, vcc_lo, v0, v38
	s_wait_alu 0xfffd
	v_add_co_ci_u32_e64 v1, null, v1, v39, vcc_lo
	s_mov_b32 s19, ttmp9
	s_wait_alu 0xfffe
	v_add_co_u32 v3, vcc_lo, v0, s90
	s_wait_alu 0xfffd
	v_add_co_ci_u32_e64 v4, null, s91, v1, vcc_lo
	v_add_co_u32 v0, vcc_lo, v0, v2
	s_wait_alu 0xfffd
	v_add_co_ci_u32_e64 v1, null, 0, v1, vcc_lo
	v_add_co_u32 v2, vcc_lo, 0xfffffef8, v3
	s_wait_alu 0xfffd
	v_add_co_ci_u32_e64 v3, null, -1, v4, vcc_lo
	v_add_co_u32 v0, vcc_lo, 0xffffff00, v0
	s_wait_alu 0xfffd
	v_add_co_ci_u32_e64 v1, null, -1, v1, vcc_lo
	v_add_co_u32 v106, vcc_lo, v16, s80
	s_wait_alu 0xfffd
	v_add_co_ci_u32_e64 v107, null, s81, v17, vcc_lo
	s_delay_alu instid0(VALU_DEP_3)
	v_cndmask_b32_e64 v45, v1, v3, s17
	v_cndmask_b32_e64 v44, v0, v2, s17
	s_mov_b32 s36, 0
	s_branch .LBB110_67
.LBB110_66:                             ;   in Loop: Header=BB110_67 Depth=2
	s_or_b32 exec_lo, exec_lo, s35
	v_fma_f64 v[0:1], v[46:47], v[0:1], v[42:43]
	v_add_co_u32 v44, vcc_lo, v44, s52
	s_wait_alu 0xfffd
	v_add_co_ci_u32_e64 v45, null, s53, v45, vcc_lo
	s_wait_alu 0xfffe
	s_add_co_i32 s19, s19, -1
	s_add_co_i32 s36, s36, 64
	s_wait_alu 0xfffe
	s_cmp_eq_u32 s19, 0
	s_wait_loadcnt 0x0
	s_wait_storecnt 0x0
	s_barrier_signal -1
	s_barrier_wait -1
	global_inv scope:SCOPE_SE
	v_fma_f64 v[0:1], v[48:49], v[2:3], v[0:1]
	s_delay_alu instid0(VALU_DEP_1) | instskip(NEXT) | instid1(VALU_DEP_1)
	v_fma_f64 v[0:1], v[50:51], v[4:5], v[0:1]
	v_fma_f64 v[0:1], v[52:53], v[6:7], v[0:1]
	s_delay_alu instid0(VALU_DEP_1) | instskip(NEXT) | instid1(VALU_DEP_1)
	v_fma_f64 v[0:1], v[54:55], v[8:9], v[0:1]
	;; [unrolled: 3-line block ×7, first 2 shown]
	v_fma_f64 v[42:43], v[76:77], v[30:31], v[0:1]
	s_cbranch_scc1 .LBB110_71
.LBB110_67:                             ;   Parent Loop BB110_4 Depth=1
                                        ; =>  This Inner Loop Header: Depth=2
	s_and_saveexec_b32 s35, s0
	s_cbranch_execz .LBB110_69
; %bb.68:                               ;   in Loop: Header=BB110_67 Depth=2
	s_wait_alu 0xfffe
	s_mul_u64 s[90:91], s[28:29], s[36:37]
	s_wait_alu 0xfffe
	s_lshl_b64 s[90:91], s[90:91], 3
	s_wait_alu 0xfffe
	v_add_co_u32 v0, vcc_lo, v106, s90
	s_wait_alu 0xfffd
	v_add_co_ci_u32_e64 v1, null, s91, v107, vcc_lo
	global_load_b64 v[0:1], v[0:1], off
	s_wait_loadcnt 0x0
	ds_store_b64 v92, v[0:1]
.LBB110_69:                             ;   in Loop: Header=BB110_67 Depth=2
	s_or_b32 exec_lo, exec_lo, s35
	v_add_co_u32 v0, vcc_lo, v44, s50
	s_wait_alu 0xfffd
	v_add_co_ci_u32_e64 v1, null, s51, v45, vcc_lo
	v_add_co_u32 v2, vcc_lo, v44, s54
	s_wait_alu 0xfffd
	v_add_co_ci_u32_e64 v3, null, s55, v45, vcc_lo
	;; [unrolled: 3-line block ×3, first 2 shown]
	s_wait_loadcnt_dscnt 0x0
	s_barrier_signal -1
	s_barrier_wait -1
	global_inv scope:SCOPE_SE
	s_clause 0x3
	global_load_b64 v[46:47], v[44:45], off
	global_load_b64 v[48:49], v[0:1], off
	;; [unrolled: 1-line block ×4, first 2 shown]
	ds_load_b64 v[4:5], v80
	ds_load_b128 v[0:3], v93
	v_add_co_u32 v16, vcc_lo, v44, s42
	s_wait_alu 0xfffd
	v_add_co_ci_u32_e64 v17, null, s43, v45, vcc_lo
	v_add_co_u32 v18, vcc_lo, v44, s20
	s_wait_alu 0xfffd
	v_add_co_ci_u32_e64 v19, null, s21, v45, vcc_lo
	;; [unrolled: 3-line block ×12, first 2 shown]
	s_wait_loadcnt_dscnt 0x301
	v_mul_f64_e32 v[8:9], v[46:47], v[4:5]
	s_wait_loadcnt 0x2
	v_mul_f64_e32 v[10:11], v[48:49], v[4:5]
	s_wait_loadcnt 0x1
	v_mul_f64_e32 v[12:13], v[50:51], v[4:5]
	s_wait_loadcnt 0x0
	v_mul_f64_e32 v[14:15], v[52:53], v[4:5]
	ds_load_b128 v[4:7], v93 offset:16
	ds_store_2addr_b64 v94, v[8:9], v[10:11] offset1:67
	ds_store_2addr_b64 v94, v[12:13], v[14:15] offset0:134 offset1:201
	s_wait_dscnt 0x0
	s_barrier_signal -1
	s_barrier_wait -1
	global_inv scope:SCOPE_SE
	ds_load_2addr_b64 v[108:111], v95 offset1:1
	ds_load_2addr_b64 v[112:115], v95 offset0:2 offset1:3
	s_wait_loadcnt_dscnt 0x0
	s_barrier_signal -1
	s_barrier_wait -1
	global_inv scope:SCOPE_SE
	s_clause 0x3
	global_load_b64 v[54:55], v[16:17], off
	global_load_b64 v[56:57], v[18:19], off
	global_load_b64 v[58:59], v[20:21], off
	global_load_b64 v[60:61], v[22:23], off
	ds_load_b64 v[12:13], v80
	ds_load_b128 v[8:11], v93 offset:128
	v_add_f64_e32 v[108:109], 0, v[108:109]
	s_delay_alu instid0(VALU_DEP_1) | instskip(NEXT) | instid1(VALU_DEP_1)
	v_add_f64_e32 v[108:109], v[108:109], v[110:111]
	v_add_f64_e32 v[108:109], v[108:109], v[112:113]
	s_delay_alu instid0(VALU_DEP_1)
	v_add_f64_e32 v[108:109], v[108:109], v[114:115]
	s_wait_loadcnt_dscnt 0x301
	v_mul_f64_e32 v[16:17], v[54:55], v[12:13]
	s_wait_loadcnt 0x2
	v_mul_f64_e32 v[18:19], v[56:57], v[12:13]
	s_wait_loadcnt 0x1
	v_mul_f64_e32 v[20:21], v[58:59], v[12:13]
	s_wait_loadcnt 0x0
	v_mul_f64_e32 v[22:23], v[60:61], v[12:13]
	ds_load_b128 v[12:15], v93 offset:144
	ds_store_2addr_b64 v94, v[16:17], v[18:19] offset1:67
	ds_store_2addr_b64 v94, v[20:21], v[22:23] offset0:134 offset1:201
	s_wait_dscnt 0x0
	s_barrier_signal -1
	s_barrier_wait -1
	global_inv scope:SCOPE_SE
	ds_load_2addr_b64 v[116:119], v95 offset1:1
	ds_load_2addr_b64 v[120:123], v95 offset0:2 offset1:3
	s_wait_loadcnt_dscnt 0x0
	s_barrier_signal -1
	s_barrier_wait -1
	global_inv scope:SCOPE_SE
	s_clause 0x3
	global_load_b64 v[62:63], v[24:25], off
	global_load_b64 v[64:65], v[26:27], off
	global_load_b64 v[66:67], v[28:29], off
	global_load_b64 v[68:69], v[30:31], off
	ds_load_b64 v[20:21], v80
	ds_load_b128 v[16:19], v93 offset:256
	v_add_f64_e32 v[116:117], 0, v[116:117]
	s_delay_alu instid0(VALU_DEP_1) | instskip(NEXT) | instid1(VALU_DEP_1)
	v_add_f64_e32 v[110:111], v[116:117], v[118:119]
	v_add_f64_e32 v[110:111], v[110:111], v[120:121]
	s_delay_alu instid0(VALU_DEP_1)
	v_add_f64_e32 v[110:111], v[110:111], v[122:123]
	;; [unrolled: 34-line block ×3, first 2 shown]
	s_wait_loadcnt_dscnt 0x301
	v_mul_f64_e32 v[132:133], v[70:71], v[28:29]
	s_wait_loadcnt 0x2
	v_mul_f64_e32 v[134:135], v[72:73], v[28:29]
	s_wait_loadcnt 0x1
	v_mul_f64_e32 v[136:137], v[74:75], v[28:29]
	s_wait_loadcnt 0x0
	v_mul_f64_e32 v[138:139], v[76:77], v[28:29]
	ds_load_b128 v[28:31], v93 offset:400
	ds_store_2addr_b64 v94, v[132:133], v[134:135] offset1:67
	ds_store_2addr_b64 v94, v[136:137], v[138:139] offset0:134 offset1:201
	s_wait_dscnt 0x0
	s_barrier_signal -1
	s_barrier_wait -1
	global_inv scope:SCOPE_SE
	ds_load_2addr_b64 v[132:135], v95 offset1:1
	ds_load_2addr_b64 v[136:139], v95 offset0:2 offset1:3
	s_wait_loadcnt_dscnt 0x0
	s_barrier_signal -1
	s_barrier_wait -1
	global_inv scope:SCOPE_SE
	v_add_f64_e32 v[132:133], 0, v[132:133]
	s_delay_alu instid0(VALU_DEP_1) | instskip(NEXT) | instid1(VALU_DEP_1)
	v_add_f64_e32 v[118:119], v[132:133], v[134:135]
	v_add_f64_e32 v[116:117], v[118:119], v[136:137]
	s_delay_alu instid0(VALU_DEP_1)
	v_add_f64_e32 v[114:115], v[116:117], v[138:139]
	ds_store_2addr_b64 v104, v[108:109], v[110:111] offset1:16
	ds_store_2addr_b64 v104, v[112:113], v[114:115] offset0:32 offset1:48
	s_wait_loadcnt_dscnt 0x0
	s_barrier_signal -1
	s_barrier_wait -1
	global_inv scope:SCOPE_SE
	s_and_saveexec_b32 s35, s18
	s_cbranch_execz .LBB110_66
; %bb.70:                               ;   in Loop: Header=BB110_67 Depth=2
	ds_load_2addr_b64 v[108:111], v96 offset1:1
	ds_load_2addr_b64 v[112:115], v96 offset0:2 offset1:3
	s_wait_alu 0xfffe
	v_add_nc_u32_e32 v32, s36, v78
	s_wait_dscnt 0x1
	v_add_f64_e32 v[108:109], v[108:109], v[110:111]
	s_wait_dscnt 0x0
	s_delay_alu instid0(VALU_DEP_1) | instskip(NEXT) | instid1(VALU_DEP_1)
	v_add_f64_e32 v[108:109], v[108:109], v[112:113]
	v_add_f64_e32 v[116:117], v[108:109], v[114:115]
	ds_load_2addr_b64 v[108:111], v96 offset0:4 offset1:5
	ds_load_2addr_b64 v[112:115], v96 offset0:6 offset1:7
	s_wait_dscnt 0x1
	v_add_f64_e32 v[108:109], v[116:117], v[108:109]
	s_delay_alu instid0(VALU_DEP_1) | instskip(SKIP_1) | instid1(VALU_DEP_1)
	v_add_f64_e32 v[108:109], v[108:109], v[110:111]
	s_wait_dscnt 0x0
	v_add_f64_e32 v[108:109], v[108:109], v[112:113]
	s_delay_alu instid0(VALU_DEP_1) | instskip(SKIP_4) | instid1(VALU_DEP_1)
	v_add_f64_e32 v[116:117], v[108:109], v[114:115]
	ds_load_2addr_b64 v[108:111], v96 offset0:8 offset1:9
	ds_load_2addr_b64 v[112:115], v96 offset0:10 offset1:11
	s_wait_dscnt 0x1
	v_add_f64_e32 v[108:109], v[116:117], v[108:109]
	v_add_f64_e32 v[108:109], v[108:109], v[110:111]
	s_wait_dscnt 0x0
	s_delay_alu instid0(VALU_DEP_1) | instskip(NEXT) | instid1(VALU_DEP_1)
	v_add_f64_e32 v[108:109], v[108:109], v[112:113]
	v_add_f64_e32 v[112:113], v[108:109], v[114:115]
	ds_load_2addr_b64 v[108:111], v96 offset0:12 offset1:13
	ds_load_b64 v[114:115], v96 offset:112
	s_wait_dscnt 0x1
	v_add_f64_e32 v[108:109], v[112:113], v[108:109]
	s_delay_alu instid0(VALU_DEP_1) | instskip(SKIP_4) | instid1(VALU_DEP_1)
	v_add_f64_e32 v[108:109], v[108:109], v[110:111]
	ds_load_b64 v[110:111], v97
	s_wait_dscnt 0x1
	v_add_f64_e32 v[108:109], v[108:109], v[114:115]
	s_wait_dscnt 0x0
	v_add_f64_e32 v[108:109], v[108:109], v[110:111]
	v_lshlrev_b64_e32 v[110:111], 3, v[32:33]
	s_delay_alu instid0(VALU_DEP_1) | instskip(SKIP_1) | instid1(VALU_DEP_2)
	v_add_co_u32 v110, vcc_lo, s84, v110
	s_wait_alu 0xfffd
	v_add_co_ci_u32_e64 v111, null, s85, v111, vcc_lo
	global_store_b64 v[110:111], v[108:109], off
	s_branch .LBB110_66
.LBB110_71:                             ;   in Loop: Header=BB110_4 Depth=1
	ds_store_b64 v98, v[42:43]
	s_wait_loadcnt_dscnt 0x0
	s_barrier_signal -1
	s_barrier_wait -1
	global_inv scope:SCOPE_SE
	s_and_saveexec_b32 s19, s89
	s_cbranch_execz .LBB110_2
; %bb.72:                               ;   in Loop: Header=BB110_4 Depth=1
	ds_load_2addr_b64 v[0:3], v79 offset1:67
	s_wait_dscnt 0x0
	v_add_f64_e32 v[4:5], v[0:1], v[2:3]
	ds_load_2addr_b64 v[0:3], v79 offset0:134 offset1:201
	s_wait_dscnt 0x0
	v_add_f64_e32 v[0:1], v[4:5], v[0:1]
	s_delay_alu instid0(VALU_DEP_1)
	v_add_f64_e32 v[0:1], v[0:1], v[2:3]
	s_wait_alu 0xfffe
	v_add_co_u32 v2, vcc_lo, s84, v40
	s_wait_alu 0xfffd
	v_add_co_ci_u32_e64 v3, null, s85, v41, vcc_lo
	global_store_b64 v[2:3], v[0:1], off
	s_branch .LBB110_2
.LBB110_73:                             ;   in Loop: Header=BB110_4 Depth=1
	ds_load_b64 v[2:3], v101
	s_wait_dscnt 0x0
	ds_store_b64 v88, v[2:3]
	s_wait_alu 0xfffe
	s_or_b32 exec_lo, exec_lo, s19
	s_and_saveexec_b32 s19, s7
	s_cbranch_execz .LBB110_24
.LBB110_74:                             ;   in Loop: Header=BB110_4 Depth=1
	ds_load_b64 v[2:3], v102
	s_wait_dscnt 0x0
	ds_store_b64 v88, v[2:3] offset:8
	s_wait_alu 0xfffe
	s_or_b32 exec_lo, exec_lo, s19
	s_and_saveexec_b32 s19, s8
	s_cbranch_execz .LBB110_25
.LBB110_75:                             ;   in Loop: Header=BB110_4 Depth=1
	ds_load_b64 v[2:3], v102 offset:264
	s_wait_dscnt 0x0
	ds_store_b64 v88, v[2:3] offset:16
	s_wait_alu 0xfffe
	s_or_b32 exec_lo, exec_lo, s19
	s_and_saveexec_b32 s19, s9
	s_cbranch_execnz .LBB110_26
	s_branch .LBB110_27
.LBB110_76:                             ;   in Loop: Header=BB110_4 Depth=1
	ds_load_b64 v[0:1], v101
	s_wait_dscnt 0x0
	ds_store_b64 v88, v[0:1]
	s_wait_alu 0xfffe
	s_or_b32 exec_lo, exec_lo, s19
	s_and_saveexec_b32 s19, s7
	s_cbranch_execz .LBB110_43
.LBB110_77:                             ;   in Loop: Header=BB110_4 Depth=1
	ds_load_b64 v[0:1], v102
	s_wait_dscnt 0x0
	ds_store_b64 v88, v[0:1] offset:8
	s_wait_alu 0xfffe
	s_or_b32 exec_lo, exec_lo, s19
	s_and_saveexec_b32 s19, s8
	s_cbranch_execz .LBB110_44
.LBB110_78:                             ;   in Loop: Header=BB110_4 Depth=1
	ds_load_b64 v[0:1], v102 offset:264
	s_wait_dscnt 0x0
	ds_store_b64 v88, v[0:1] offset:16
	s_wait_alu 0xfffe
	s_or_b32 exec_lo, exec_lo, s19
	s_and_saveexec_b32 s19, s9
	s_cbranch_execnz .LBB110_45
	s_branch .LBB110_46
.LBB110_79:
	s_nop 0
	s_sendmsg sendmsg(MSG_DEALLOC_VGPRS)
	s_endpgm
	.section	.rodata,"a",@progbits
	.p2align	6, 0x0
	.amdhsa_kernel _ZL26rocblas_hemvn_kernel_lowerILb0ELi64ELi4ELi33ELi32ELi16EldPKdPdEviT6_lT7_lT5_lS4_lS5_lS3_lT8_i
		.amdhsa_group_segment_fixed_size 9600
		.amdhsa_private_segment_fixed_size 0
		.amdhsa_kernarg_size 376
		.amdhsa_user_sgpr_count 2
		.amdhsa_user_sgpr_dispatch_ptr 0
		.amdhsa_user_sgpr_queue_ptr 0
		.amdhsa_user_sgpr_kernarg_segment_ptr 1
		.amdhsa_user_sgpr_dispatch_id 0
		.amdhsa_user_sgpr_private_segment_size 0
		.amdhsa_wavefront_size32 1
		.amdhsa_uses_dynamic_stack 0
		.amdhsa_enable_private_segment 0
		.amdhsa_system_sgpr_workgroup_id_x 1
		.amdhsa_system_sgpr_workgroup_id_y 0
		.amdhsa_system_sgpr_workgroup_id_z 1
		.amdhsa_system_sgpr_workgroup_info 0
		.amdhsa_system_vgpr_workitem_id 1
		.amdhsa_next_free_vgpr 140
		.amdhsa_next_free_sgpr 92
		.amdhsa_reserve_vcc 1
		.amdhsa_float_round_mode_32 0
		.amdhsa_float_round_mode_16_64 0
		.amdhsa_float_denorm_mode_32 3
		.amdhsa_float_denorm_mode_16_64 3
		.amdhsa_fp16_overflow 0
		.amdhsa_workgroup_processor_mode 1
		.amdhsa_memory_ordered 1
		.amdhsa_forward_progress 1
		.amdhsa_inst_pref_size 56
		.amdhsa_round_robin_scheduling 0
		.amdhsa_exception_fp_ieee_invalid_op 0
		.amdhsa_exception_fp_denorm_src 0
		.amdhsa_exception_fp_ieee_div_zero 0
		.amdhsa_exception_fp_ieee_overflow 0
		.amdhsa_exception_fp_ieee_underflow 0
		.amdhsa_exception_fp_ieee_inexact 0
		.amdhsa_exception_int_div_zero 0
	.end_amdhsa_kernel
	.section	.text._ZL26rocblas_hemvn_kernel_lowerILb0ELi64ELi4ELi33ELi32ELi16EldPKdPdEviT6_lT7_lT5_lS4_lS5_lS3_lT8_i,"axG",@progbits,_ZL26rocblas_hemvn_kernel_lowerILb0ELi64ELi4ELi33ELi32ELi16EldPKdPdEviT6_lT7_lT5_lS4_lS5_lS3_lT8_i,comdat
.Lfunc_end110:
	.size	_ZL26rocblas_hemvn_kernel_lowerILb0ELi64ELi4ELi33ELi32ELi16EldPKdPdEviT6_lT7_lT5_lS4_lS5_lS3_lT8_i, .Lfunc_end110-_ZL26rocblas_hemvn_kernel_lowerILb0ELi64ELi4ELi33ELi32ELi16EldPKdPdEviT6_lT7_lT5_lS4_lS5_lS3_lT8_i
                                        ; -- End function
	.set _ZL26rocblas_hemvn_kernel_lowerILb0ELi64ELi4ELi33ELi32ELi16EldPKdPdEviT6_lT7_lT5_lS4_lS5_lS3_lT8_i.num_vgpr, 140
	.set _ZL26rocblas_hemvn_kernel_lowerILb0ELi64ELi4ELi33ELi32ELi16EldPKdPdEviT6_lT7_lT5_lS4_lS5_lS3_lT8_i.num_agpr, 0
	.set _ZL26rocblas_hemvn_kernel_lowerILb0ELi64ELi4ELi33ELi32ELi16EldPKdPdEviT6_lT7_lT5_lS4_lS5_lS3_lT8_i.numbered_sgpr, 92
	.set _ZL26rocblas_hemvn_kernel_lowerILb0ELi64ELi4ELi33ELi32ELi16EldPKdPdEviT6_lT7_lT5_lS4_lS5_lS3_lT8_i.num_named_barrier, 0
	.set _ZL26rocblas_hemvn_kernel_lowerILb0ELi64ELi4ELi33ELi32ELi16EldPKdPdEviT6_lT7_lT5_lS4_lS5_lS3_lT8_i.private_seg_size, 0
	.set _ZL26rocblas_hemvn_kernel_lowerILb0ELi64ELi4ELi33ELi32ELi16EldPKdPdEviT6_lT7_lT5_lS4_lS5_lS3_lT8_i.uses_vcc, 1
	.set _ZL26rocblas_hemvn_kernel_lowerILb0ELi64ELi4ELi33ELi32ELi16EldPKdPdEviT6_lT7_lT5_lS4_lS5_lS3_lT8_i.uses_flat_scratch, 0
	.set _ZL26rocblas_hemvn_kernel_lowerILb0ELi64ELi4ELi33ELi32ELi16EldPKdPdEviT6_lT7_lT5_lS4_lS5_lS3_lT8_i.has_dyn_sized_stack, 0
	.set _ZL26rocblas_hemvn_kernel_lowerILb0ELi64ELi4ELi33ELi32ELi16EldPKdPdEviT6_lT7_lT5_lS4_lS5_lS3_lT8_i.has_recursion, 0
	.set _ZL26rocblas_hemvn_kernel_lowerILb0ELi64ELi4ELi33ELi32ELi16EldPKdPdEviT6_lT7_lT5_lS4_lS5_lS3_lT8_i.has_indirect_call, 0
	.section	.AMDGPU.csdata,"",@progbits
; Kernel info:
; codeLenInByte = 7084
; TotalNumSgprs: 94
; NumVgprs: 140
; ScratchSize: 0
; MemoryBound: 0
; FloatMode: 240
; IeeeMode: 1
; LDSByteSize: 9600 bytes/workgroup (compile time only)
; SGPRBlocks: 0
; VGPRBlocks: 17
; NumSGPRsForWavesPerEU: 94
; NumVGPRsForWavesPerEU: 140
; Occupancy: 10
; WaveLimiterHint : 0
; COMPUTE_PGM_RSRC2:SCRATCH_EN: 0
; COMPUTE_PGM_RSRC2:USER_SGPR: 2
; COMPUTE_PGM_RSRC2:TRAP_HANDLER: 0
; COMPUTE_PGM_RSRC2:TGID_X_EN: 1
; COMPUTE_PGM_RSRC2:TGID_Y_EN: 0
; COMPUTE_PGM_RSRC2:TGID_Z_EN: 1
; COMPUTE_PGM_RSRC2:TIDIG_COMP_CNT: 1
	.section	.text._ZL36rocblas_hemvn_kernel_lower_block_sumILi64EldPddEviT1_lS1_lT2_lT0_lPT3_i,"axG",@progbits,_ZL36rocblas_hemvn_kernel_lower_block_sumILi64EldPddEviT1_lS1_lT2_lT0_lPT3_i,comdat
	.globl	_ZL36rocblas_hemvn_kernel_lower_block_sumILi64EldPddEviT1_lS1_lT2_lT0_lPT3_i ; -- Begin function _ZL36rocblas_hemvn_kernel_lower_block_sumILi64EldPddEviT1_lS1_lT2_lT0_lPT3_i
	.p2align	8
	.type	_ZL36rocblas_hemvn_kernel_lower_block_sumILi64EldPddEviT1_lS1_lT2_lT0_lPT3_i,@function
_ZL36rocblas_hemvn_kernel_lower_block_sumILi64EldPddEviT1_lS1_lT2_lT0_lPT3_i: ; @_ZL36rocblas_hemvn_kernel_lower_block_sumILi64EldPddEviT1_lS1_lT2_lT0_lPT3_i
; %bb.0:
	s_load_b32 s3, s[0:1], 0x50
	s_lshr_b32 s12, ttmp7, 16
	s_wait_kmcnt 0x0
	s_cmp_ge_u32 s12, s3
	s_cbranch_scc1 .LBB111_25
; %bb.1:
	s_clause 0x4
	s_load_b64 s[14:15], s[0:1], 0x8
	s_load_b64 s[16:17], s[0:1], 0x18
	s_load_b32 s18, s[0:1], 0x0
	s_load_b256 s[4:11], s[0:1], 0x30
	s_load_b64 s[22:23], s[0:1], 0x28
	s_lshl_b32 s2, ttmp9, 6
	s_add_nc_u64 s[0:1], s[0:1], 0x58
	v_or_b32_e32 v0, s2, v0
	s_wait_kmcnt 0x0
	v_cmp_neq_f64_e64 s13, s[14:15], 0
	v_cmp_neq_f64_e64 s24, s[16:17], 1.0
	v_cmp_eq_f64_e64 s20, s[16:17], 0
	s_lshl_b64 s[4:5], s[4:5], 3
	v_cmp_eq_f64_e64 s21, s[14:15], 0
	s_add_nc_u64 s[4:5], s[22:23], s[4:5]
	v_cmp_neq_f64_e64 s23, s[16:17], 0
	v_mad_co_u64_u32 v[1:2], null, s18, ttmp9, v[0:1]
	v_mul_lo_u32 v5, s7, v0
	v_mad_co_u64_u32 v[3:4], null, s6, v0, 0
	s_ashr_i32 s7, s2, 31
	v_cmp_gt_i32_e64 s2, s18, v0
	s_wait_alu 0xfffe
	s_mul_i32 s6, s6, s7
	v_ashrrev_i32_e32 v2, 31, v1
	s_ashr_i32 s19, s18, 31
	s_wait_alu 0xfffe
	v_add3_u32 v4, v4, s6, v5
	s_lshl_b64 s[6:7], s[18:19], 3
	v_lshlrev_b64_e32 v[5:6], 3, v[1:2]
	s_delay_alu instid0(VALU_DEP_2) | instskip(NEXT) | instid1(VALU_DEP_2)
	v_lshlrev_b64_e32 v[0:1], 3, v[3:4]
	v_add_co_u32 v2, vcc_lo, s10, v5
	s_delay_alu instid0(VALU_DEP_1)
	v_add_co_ci_u32_e64 v3, null, s11, v6, vcc_lo
	s_or_b32 s22, s13, s24
	s_mov_b32 s13, 0
	s_branch .LBB111_4
.LBB111_2:                              ;   in Loop: Header=BB111_4 Depth=1
	s_wait_alu 0xfffe
	s_or_b32 exec_lo, exec_lo, s18
.LBB111_3:                              ;   in Loop: Header=BB111_4 Depth=1
	s_add_co_i32 s12, s12, 0x10000
	s_wait_alu 0xfffe
	s_cmp_lt_u32 s12, s3
	s_cbranch_scc0 .LBB111_25
.LBB111_4:                              ; =>This Loop Header: Depth=1
                                        ;     Child Loop BB111_16 Depth 2
	s_and_not1_b32 vcc_lo, exec_lo, s22
	s_wait_alu 0xfffe
	s_cbranch_vccnz .LBB111_3
; %bb.5:                                ;   in Loop: Header=BB111_4 Depth=1
	s_mul_u64 s[10:11], s[8:9], s[12:13]
	s_and_not1_b32 vcc_lo, exec_lo, s21
	s_wait_alu 0xfffe
	s_lshl_b64 s[10:11], s[10:11], 3
	s_wait_alu 0xfffe
	s_add_nc_u64 s[10:11], s[4:5], s[10:11]
	s_cbranch_vccnz .LBB111_9
; %bb.6:                                ;   in Loop: Header=BB111_4 Depth=1
	s_mov_b32 s18, 0
	s_mov_b32 s24, 0
                                        ; implicit-def: $vgpr4_vgpr5
	s_and_saveexec_b32 s19, s2
	s_cbranch_execz .LBB111_10
; %bb.7:                                ;   in Loop: Header=BB111_4 Depth=1
	s_and_not1_b32 vcc_lo, exec_lo, s23
	s_wait_alu 0xfffe
	s_cbranch_vccnz .LBB111_11
; %bb.8:                                ;   in Loop: Header=BB111_4 Depth=1
	v_add_co_u32 v4, vcc_lo, s10, v0
	s_wait_alu 0xfffd
	v_add_co_ci_u32_e64 v5, null, s11, v1, vcc_lo
	global_load_b64 v[4:5], v[4:5], off
	s_wait_loadcnt 0x0
	v_mul_f64_e32 v[4:5], s[16:17], v[4:5]
	s_branch .LBB111_12
.LBB111_9:                              ;   in Loop: Header=BB111_4 Depth=1
	s_mov_b32 s24, 0
                                        ; implicit-def: $vgpr4_vgpr5
	s_cbranch_execnz .LBB111_13
	s_branch .LBB111_23
.LBB111_10:                             ;   in Loop: Header=BB111_4 Depth=1
	s_wait_alu 0xfffe
	s_or_b32 exec_lo, exec_lo, s19
	s_delay_alu instid0(SALU_CYCLE_1)
	s_and_b32 vcc_lo, exec_lo, s18
	s_wait_alu 0xfffe
	s_cbranch_vccnz .LBB111_13
	s_branch .LBB111_23
.LBB111_11:                             ;   in Loop: Header=BB111_4 Depth=1
	v_mov_b32_e32 v4, 0
	v_mov_b32_e32 v5, 0
.LBB111_12:                             ;   in Loop: Header=BB111_4 Depth=1
	s_mov_b32 s24, exec_lo
	s_or_b32 exec_lo, exec_lo, s19
	s_delay_alu instid0(SALU_CYCLE_1)
	s_and_b32 vcc_lo, exec_lo, s18
	s_wait_alu 0xfffe
	s_cbranch_vccz .LBB111_23
.LBB111_13:                             ;   in Loop: Header=BB111_4 Depth=1
                                        ; implicit-def: $vgpr4_vgpr5
	s_and_saveexec_b32 s25, s2
	s_cbranch_execz .LBB111_22
; %bb.14:                               ;   in Loop: Header=BB111_4 Depth=1
	s_load_b32 s18, s[0:1], 0x0
	v_mov_b32_e32 v6, 0
	v_mov_b32_e32 v7, 0
	s_wait_kmcnt 0x0
	s_cmp_ge_i32 ttmp9, s18
	s_cbranch_scc1 .LBB111_17
; %bb.15:                               ;   in Loop: Header=BB111_4 Depth=1
	s_mov_b32 s19, s13
	s_mov_b32 s26, ttmp9
	s_wait_alu 0xfffe
	s_mul_u64 s[28:29], s[6:7], s[18:19]
	s_wait_alu 0xfffe
	v_mad_co_u64_u32 v[4:5], null, s28, s12, v[2:3]
	s_delay_alu instid0(VALU_DEP_1)
	v_mad_co_u64_u32 v[5:6], null, s29, s12, v[5:6]
	v_mov_b32_e32 v6, 0
	v_mov_b32_e32 v7, 0
.LBB111_16:                             ;   Parent Loop BB111_4 Depth=1
                                        ; =>  This Inner Loop Header: Depth=2
	global_load_b64 v[8:9], v[4:5], off
	v_add_co_u32 v4, vcc_lo, v4, s6
	s_wait_alu 0xfffd
	v_add_co_ci_u32_e64 v5, null, s7, v5, vcc_lo
	s_add_co_i32 s26, s26, 1
	s_delay_alu instid0(SALU_CYCLE_1)
	s_cmp_ge_i32 s26, s18
	s_wait_loadcnt 0x0
	v_add_f64_e32 v[6:7], v[6:7], v[8:9]
	s_cbranch_scc0 .LBB111_16
.LBB111_17:                             ;   in Loop: Header=BB111_4 Depth=1
	s_and_b32 vcc_lo, exec_lo, s20
	s_mov_b32 s18, -1
                                        ; implicit-def: $vgpr4_vgpr5
	s_wait_alu 0xfffe
	s_cbranch_vccz .LBB111_19
; %bb.18:                               ;   in Loop: Header=BB111_4 Depth=1
	s_delay_alu instid0(VALU_DEP_1)
	v_mul_f64_e32 v[4:5], s[14:15], v[6:7]
	s_mov_b32 s18, 0
.LBB111_19:                             ;   in Loop: Header=BB111_4 Depth=1
	s_wait_alu 0xfffe
	s_and_not1_b32 vcc_lo, exec_lo, s18
	s_wait_alu 0xfffe
	s_cbranch_vccnz .LBB111_21
; %bb.20:                               ;   in Loop: Header=BB111_4 Depth=1
	v_add_co_u32 v4, vcc_lo, s10, v0
	s_wait_alu 0xfffd
	v_add_co_ci_u32_e64 v5, null, s11, v1, vcc_lo
	global_load_b64 v[4:5], v[4:5], off
	s_wait_loadcnt 0x0
	v_mul_f64_e32 v[4:5], s[16:17], v[4:5]
	s_delay_alu instid0(VALU_DEP_1)
	v_fma_f64 v[4:5], s[14:15], v[6:7], v[4:5]
.LBB111_21:                             ;   in Loop: Header=BB111_4 Depth=1
	s_or_b32 s24, s24, exec_lo
.LBB111_22:                             ;   in Loop: Header=BB111_4 Depth=1
	s_or_b32 exec_lo, exec_lo, s25
.LBB111_23:                             ;   in Loop: Header=BB111_4 Depth=1
	s_and_saveexec_b32 s18, s24
	s_cbranch_execz .LBB111_2
; %bb.24:                               ;   in Loop: Header=BB111_4 Depth=1
	s_wait_alu 0xfffe
	v_add_co_u32 v6, vcc_lo, s10, v0
	s_wait_alu 0xfffd
	v_add_co_ci_u32_e64 v7, null, s11, v1, vcc_lo
	global_store_b64 v[6:7], v[4:5], off
	s_branch .LBB111_2
.LBB111_25:
	s_endpgm
	.section	.rodata,"a",@progbits
	.p2align	6, 0x0
	.amdhsa_kernel _ZL36rocblas_hemvn_kernel_lower_block_sumILi64EldPddEviT1_lS1_lT2_lT0_lPT3_i
		.amdhsa_group_segment_fixed_size 0
		.amdhsa_private_segment_fixed_size 0
		.amdhsa_kernarg_size 344
		.amdhsa_user_sgpr_count 2
		.amdhsa_user_sgpr_dispatch_ptr 0
		.amdhsa_user_sgpr_queue_ptr 0
		.amdhsa_user_sgpr_kernarg_segment_ptr 1
		.amdhsa_user_sgpr_dispatch_id 0
		.amdhsa_user_sgpr_private_segment_size 0
		.amdhsa_wavefront_size32 1
		.amdhsa_uses_dynamic_stack 0
		.amdhsa_enable_private_segment 0
		.amdhsa_system_sgpr_workgroup_id_x 1
		.amdhsa_system_sgpr_workgroup_id_y 0
		.amdhsa_system_sgpr_workgroup_id_z 1
		.amdhsa_system_sgpr_workgroup_info 0
		.amdhsa_system_vgpr_workitem_id 0
		.amdhsa_next_free_vgpr 10
		.amdhsa_next_free_sgpr 30
		.amdhsa_reserve_vcc 1
		.amdhsa_float_round_mode_32 0
		.amdhsa_float_round_mode_16_64 0
		.amdhsa_float_denorm_mode_32 3
		.amdhsa_float_denorm_mode_16_64 3
		.amdhsa_fp16_overflow 0
		.amdhsa_workgroup_processor_mode 1
		.amdhsa_memory_ordered 1
		.amdhsa_forward_progress 1
		.amdhsa_inst_pref_size 6
		.amdhsa_round_robin_scheduling 0
		.amdhsa_exception_fp_ieee_invalid_op 0
		.amdhsa_exception_fp_denorm_src 0
		.amdhsa_exception_fp_ieee_div_zero 0
		.amdhsa_exception_fp_ieee_overflow 0
		.amdhsa_exception_fp_ieee_underflow 0
		.amdhsa_exception_fp_ieee_inexact 0
		.amdhsa_exception_int_div_zero 0
	.end_amdhsa_kernel
	.section	.text._ZL36rocblas_hemvn_kernel_lower_block_sumILi64EldPddEviT1_lS1_lT2_lT0_lPT3_i,"axG",@progbits,_ZL36rocblas_hemvn_kernel_lower_block_sumILi64EldPddEviT1_lS1_lT2_lT0_lPT3_i,comdat
.Lfunc_end111:
	.size	_ZL36rocblas_hemvn_kernel_lower_block_sumILi64EldPddEviT1_lS1_lT2_lT0_lPT3_i, .Lfunc_end111-_ZL36rocblas_hemvn_kernel_lower_block_sumILi64EldPddEviT1_lS1_lT2_lT0_lPT3_i
                                        ; -- End function
	.set _ZL36rocblas_hemvn_kernel_lower_block_sumILi64EldPddEviT1_lS1_lT2_lT0_lPT3_i.num_vgpr, 10
	.set _ZL36rocblas_hemvn_kernel_lower_block_sumILi64EldPddEviT1_lS1_lT2_lT0_lPT3_i.num_agpr, 0
	.set _ZL36rocblas_hemvn_kernel_lower_block_sumILi64EldPddEviT1_lS1_lT2_lT0_lPT3_i.numbered_sgpr, 30
	.set _ZL36rocblas_hemvn_kernel_lower_block_sumILi64EldPddEviT1_lS1_lT2_lT0_lPT3_i.num_named_barrier, 0
	.set _ZL36rocblas_hemvn_kernel_lower_block_sumILi64EldPddEviT1_lS1_lT2_lT0_lPT3_i.private_seg_size, 0
	.set _ZL36rocblas_hemvn_kernel_lower_block_sumILi64EldPddEviT1_lS1_lT2_lT0_lPT3_i.uses_vcc, 1
	.set _ZL36rocblas_hemvn_kernel_lower_block_sumILi64EldPddEviT1_lS1_lT2_lT0_lPT3_i.uses_flat_scratch, 0
	.set _ZL36rocblas_hemvn_kernel_lower_block_sumILi64EldPddEviT1_lS1_lT2_lT0_lPT3_i.has_dyn_sized_stack, 0
	.set _ZL36rocblas_hemvn_kernel_lower_block_sumILi64EldPddEviT1_lS1_lT2_lT0_lPT3_i.has_recursion, 0
	.set _ZL36rocblas_hemvn_kernel_lower_block_sumILi64EldPddEviT1_lS1_lT2_lT0_lPT3_i.has_indirect_call, 0
	.section	.AMDGPU.csdata,"",@progbits
; Kernel info:
; codeLenInByte = 756
; TotalNumSgprs: 32
; NumVgprs: 10
; ScratchSize: 0
; MemoryBound: 0
; FloatMode: 240
; IeeeMode: 1
; LDSByteSize: 0 bytes/workgroup (compile time only)
; SGPRBlocks: 0
; VGPRBlocks: 1
; NumSGPRsForWavesPerEU: 32
; NumVGPRsForWavesPerEU: 10
; Occupancy: 16
; WaveLimiterHint : 0
; COMPUTE_PGM_RSRC2:SCRATCH_EN: 0
; COMPUTE_PGM_RSRC2:USER_SGPR: 2
; COMPUTE_PGM_RSRC2:TRAP_HANDLER: 0
; COMPUTE_PGM_RSRC2:TGID_X_EN: 1
; COMPUTE_PGM_RSRC2:TGID_Y_EN: 0
; COMPUTE_PGM_RSRC2:TGID_Z_EN: 1
; COMPUTE_PGM_RSRC2:TIDIG_COMP_CNT: 0
	.section	.text._ZL26rocblas_hemvn_kernel_lowerILb0ELi64ELi4ELi33ELi32ELi16EidPKdPdEviT6_lT7_lT5_lS4_lS5_lS3_lT8_i,"axG",@progbits,_ZL26rocblas_hemvn_kernel_lowerILb0ELi64ELi4ELi33ELi32ELi16EidPKdPdEviT6_lT7_lT5_lS4_lS5_lS3_lT8_i,comdat
	.globl	_ZL26rocblas_hemvn_kernel_lowerILb0ELi64ELi4ELi33ELi32ELi16EidPKdPdEviT6_lT7_lT5_lS4_lS5_lS3_lT8_i ; -- Begin function _ZL26rocblas_hemvn_kernel_lowerILb0ELi64ELi4ELi33ELi32ELi16EidPKdPdEviT6_lT7_lT5_lS4_lS5_lS3_lT8_i
	.p2align	8
	.type	_ZL26rocblas_hemvn_kernel_lowerILb0ELi64ELi4ELi33ELi32ELi16EidPKdPdEviT6_lT7_lT5_lS4_lS5_lS3_lT8_i,@function
_ZL26rocblas_hemvn_kernel_lowerILb0ELi64ELi4ELi33ELi32ELi16EidPKdPdEviT6_lT7_lT5_lS4_lS5_lS3_lT8_i: ; @_ZL26rocblas_hemvn_kernel_lowerILb0ELi64ELi4ELi33ELi32ELi16EidPKdPdEviT6_lT7_lT5_lS4_lS5_lS3_lT8_i
; %bb.0:
	s_clause 0x1
	s_load_b64 s[2:3], s[0:1], 0x84
	s_load_b32 s33, s[0:1], 0x70
	s_lshr_b32 s22, ttmp7, 16
	s_wait_kmcnt 0x0
	s_lshr_b32 s4, s2, 16
	s_and_b32 s2, s2, 0xffff
	s_and_b32 s3, s3, 0xffff
	s_mul_i32 s2, s4, s2
	s_delay_alu instid0(SALU_CYCLE_1) | instskip(NEXT) | instid1(SALU_CYCLE_1)
	s_mul_i32 s2, s2, s3
	s_cmp_lg_u32 s2, 0x100
	s_cselect_b32 s2, -1, 0
	s_cmp_ge_u32 s22, s33
	s_cselect_b32 s3, -1, 0
	s_delay_alu instid0(SALU_CYCLE_1) | instskip(NEXT) | instid1(SALU_CYCLE_1)
	s_or_b32 s2, s2, s3
	s_and_b32 vcc_lo, exec_lo, s2
	s_cbranch_vccnz .LBB112_79
; %bb.1:
	s_clause 0x7
	s_load_b128 s[24:27], s[0:1], 0x50
	s_load_b64 s[10:11], s[0:1], 0x8
	s_load_b32 s8, s[0:1], 0x0
	s_load_b128 s[4:7], s[0:1], 0x18
	s_load_b32 s20, s[0:1], 0x28
	s_load_b96 s[16:18], s[0:1], 0x40
	s_load_b64 s[2:3], s[0:1], 0x68
	s_load_b128 s[28:31], s[0:1], 0x30
	s_add_nc_u64 s[0:1], s[0:1], 0x78
	v_dual_mov_b32 v33, 0 :: v_dual_and_b32 v80, 0x3ff, v0
	v_bfe_u32 v13, v0, 10, 10
	s_lshl_b32 s42, ttmp9, 6
	v_and_b32_e32 v1, 31, v0
	s_delay_alu instid0(VALU_DEP_3)
	v_add_nc_u32_e32 v2, s42, v80
	s_mov_b32 s23, 0
	v_lshl_add_u32 v14, v13, 6, v80
	v_and_b32_e32 v22, 15, v0
	v_mul_u32_u24_e32 v20, 33, v1
	v_lshlrev_b32_e32 v15, 3, v1
	s_wait_kmcnt 0x0
	v_cmp_neq_f64_e64 s19, s[26:27], 1.0
	v_cmp_neq_f64_e64 s34, s[10:11], 0
	s_load_b32 s10, s[0:1], 0x0
	v_lshrrev_b32_e32 v9, 5, v14
	s_ashr_i32 s9, s8, 31
	v_mul_lo_u32 v3, s18, v2
	s_lshr_b32 s1, s9, 26
	s_lshl_b64 s[14:15], s[6:7], 3
	v_mad_co_u64_u32 v[5:6], null, s20, v9, v[1:2]
	s_add_co_i32 s1, s8, s1
	s_ashr_i32 s21, s20, 31
	s_and_not1_b32 s1, s1, 63
	v_ashrrev_i32_e32 v4, 31, v3
	s_lshl_b64 s[12:13], s[16:17], 3
	s_sub_co_i32 s1, s8, s1
	v_ashrrev_i32_e32 v6, 31, v5
	s_add_nc_u64 s[12:13], s[30:31], s[12:13]
	v_lshlrev_b64_e32 v[3:4], 3, v[3:4]
	s_mul_i32 s6, s8, ttmp9
	s_mov_b32 s11, s23
	v_lshlrev_b64_e32 v[7:8], 3, v[5:6]
	s_wait_kmcnt 0x0
	s_add_co_i32 s7, s10, -1
	s_add_nc_u64 s[4:5], s[4:5], s[14:15]
	v_add_co_u32 v84, vcc_lo, s12, v3
	s_delay_alu instid0(VALU_DEP_1)
	v_add_co_ci_u32_e64 v85, null, s13, v4, vcc_lo
	s_wait_alu 0xfffe
	s_mul_u64 s[26:27], s[10:11], s[8:9]
	s_mul_i32 s44, s20, s42
	v_lshlrev_b32_e32 v10, 2, v9
	v_lshlrev_b32_e32 v21, 3, v9
	v_add_nc_u32_e32 v11, 24, v9
	v_lshl_or_b32 v89, v1, 8, v15
	v_and_b32_e32 v12, 0x7fe0, v14
	v_or_b32_e32 v17, 1, v10
	v_or_b32_e32 v19, 2, v10
	v_lshl_add_u32 v92, v20, 3, v21
	v_lshrrev_b32_e32 v20, 4, v14
	s_or_b32 s90, s34, s19
	s_cmp_eq_u32 ttmp9, s7
	v_cndmask_b32_e64 v83, 0, 1, s34
	s_cselect_b32 s30, s1, 0
	v_lshlrev_b32_e32 v81, 3, v80
	s_cmp_eq_u32 s30, 0
	v_cmp_gt_i32_e32 vcc_lo, s30, v80
	s_cselect_b32 s1, -1, 0
	s_ashr_i32 s7, s6, 31
	s_ashr_i32 s43, s42, 31
	s_lshl_b64 s[6:7], s[6:7], 3
	s_wait_alu 0xfffe
	s_lshl_b64 s[8:9], s[42:43], 3
	s_add_nc_u64 s[34:35], s[2:3], s[6:7]
	s_add_nc_u64 s[2:3], s[4:5], s[8:9]
	s_or_b32 s91, s1, vcc_lo
	v_add_co_u32 v3, vcc_lo, s2, v7
	s_ashr_i32 s45, s44, 31
	s_wait_alu 0xfffd
	v_add_co_ci_u32_e64 v4, null, s3, v8, vcc_lo
	s_lshl_b64 s[10:11], s[44:45], 3
	s_cmp_lg_u32 s30, 0
	s_wait_alu 0xfffe
	v_add_co_u32 v87, vcc_lo, v3, s10
	v_add_nc_u32_e32 v3, 8, v9
	s_cselect_b32 s17, -1, 0
	s_sub_co_i32 s15, s30, 32
	s_wait_alu 0xfffd
	v_add_co_ci_u32_e64 v88, null, s11, v4, vcc_lo
	v_cmp_gt_i32_e64 s3, s30, v3
	v_cmp_gt_i32_e64 s13, s15, v3
	v_mul_lo_u32 v3, v13, s20
	v_add_nc_u32_e32 v4, 16, v9
	v_cmp_lt_u32_e64 s6, v10, v1
	v_or_b32_e32 v10, 3, v10
	v_cmp_le_i32_e32 vcc_lo, s30, v80
	s_mul_i32 s42, s18, s42
	v_cmp_gt_i32_e64 s4, s30, v4
	v_cmp_gt_i32_e64 s14, s15, v4
	v_cmp_lt_u32_e64 s9, v10, v1
	v_or_b32_e32 v10, 32, v1
	v_lshl_add_u32 v4, v3, 2, v80
	v_lshlrev_b32_e32 v3, 5, v20
	v_sub_co_u32 v7, s2, 0, v1
	s_wait_alu 0xfffe
	s_ashr_i32 s43, s42, 31
	v_and_b32_e32 v0, 48, v0
	v_mul_u32_u24_e32 v16, 0x108, v9
	v_sub_co_ci_u32_e64 v8, null, 0, 0, s2
	v_cmp_gt_i32_e64 s2, s30, v9
	v_cmp_gt_i32_e64 s5, s30, v11
	v_mul_u32_u24_e32 v18, 0x420, v9
	v_cmp_lt_u32_e64 s8, v19, v1
	v_cmp_gt_i32_e64 s12, s15, v9
	v_cmp_gt_i32_e64 s15, s15, v11
	v_cmp_eq_u32_e64 s16, 1, v9
	v_mul_i32_i24_e32 v19, 0xffffffe8, v9
	s_and_b32 s17, s17, vcc_lo
	v_mad_u32_u24 v93, v9, 24, v92
	s_wait_alu 0xfffe
	s_sub_nc_u64 s[82:83], 0, s[42:43]
	v_sub_co_u32 v9, vcc_lo, 0, v5
	v_sub_co_u32 v11, s42, 0, v80
	v_add_nc_u32_e32 v90, v89, v12
	v_add_nc_u32_e32 v91, 0x2380, v12
	v_cmp_gt_i32_e64 s11, s30, v10
	s_wait_alu 0xfffd
	v_sub_co_ci_u32_e64 v10, null, 0, v6, vcc_lo
	v_ashrrev_i32_e32 v5, 31, v4
	s_wait_alu 0xf1ff
	v_sub_co_ci_u32_e64 v12, null, 0, 0, s42
	v_mad_u32_u24 v97, 0x218, v22, v3
	v_ashrrev_i32_e32 v3, 31, v2
	s_lshl_b32 s36, s20, 3
	s_lshl_b32 s38, s20, 4
	s_mul_i32 s40, s20, 24
	v_cmp_lt_u32_e64 s7, v17, v1
	v_mul_u32_u24_e32 v17, 0x108, v17
	s_lshl_b32 s78, s20, 5
	v_mad_u32_u24 v96, 0x860, v13, v81
	v_lshlrev_b32_e32 v0, 3, v0
	v_or_b32_e32 v6, 0x78, v81
	v_mul_i32_i24_e32 v20, 0xffffffe8, v20
	s_ashr_i32 s37, s36, 31
	s_ashr_i32 s39, s38, 31
	;; [unrolled: 1-line block ×5, first 2 shown]
	s_xor_b32 s19, s17, -1
	v_cmp_eq_u32_e64 s0, 0, v13
	s_cmp_gt_i32 ttmp9, 0
	v_lshlrev_b64_e32 v[34:35], 3, v[7:8]
	v_lshlrev_b64_e32 v[36:37], 3, v[9:10]
	;; [unrolled: 1-line block ×5, first 2 shown]
	v_add_nc_u32_e32 v82, 0x2380, v81
	v_cndmask_b32_e64 v86, 0, 1, s1
	v_cmp_gt_i32_e64 s1, s30, v1
	v_cmp_gt_u32_e64 s10, 32, v14
	s_cselect_b32 s92, -1, 0
	s_lshl_b32 s93, s18, 6
	v_add_nc_u32_e32 v94, 0x2180, v81
	v_lshl_add_u32 v95, v13, 5, 0x2180
	v_cmp_gt_u32_e64 s18, 64, v14
	v_mad_u32_u24 v98, 0x218, v22, v0
	v_mad_u32_u24 v99, 0x218, v22, v6
	v_mad_i32_i24 v100, 0xfffff9b8, v13, v96
	v_add_nc_u32_e32 v101, 0x2380, v21
	v_add_nc_u32_e32 v102, v15, v16
	;; [unrolled: 1-line block ×6, first 2 shown]
	v_lshlrev_b32_e32 v107, 3, v1
	s_sub_nc_u64 s[80:81], 0, s[78:79]
	s_sub_nc_u64 s[84:85], 0, s[44:45]
	s_wait_alu 0xfffe
	s_and_b32 s94, s0, s19
	s_lshl_b64 s[42:43], s[20:21], 6
	s_sub_nc_u64 s[44:45], 0, s[30:31]
	s_lshl_b64 s[46:47], s[20:21], 3
	s_lshl_b64 s[48:49], s[20:21], 9
	;; [unrolled: 1-line block ×3, first 2 shown]
	s_mul_u64 s[52:53], s[20:21], 24
	s_mul_u64 s[54:55], s[20:21], 0x90
	;; [unrolled: 1-line block ×10, first 2 shown]
	s_lshl_b64 s[72:73], s[20:21], 8
	s_mul_u64 s[74:75], s[20:21], 0x88
	s_lshl_b64 s[76:77], s[20:21], 7
	s_lshl_b64 s[78:79], s[78:79], 3
	;; [unrolled: 1-line block ×5, first 2 shown]
	s_branch .LBB112_4
.LBB112_2:                              ;   in Loop: Header=BB112_4 Depth=1
	s_wait_alu 0xfffe
	s_or_b32 exec_lo, exec_lo, s19
.LBB112_3:                              ;   in Loop: Header=BB112_4 Depth=1
	s_add_co_i32 s22, s22, 0x10000
	s_delay_alu instid0(SALU_CYCLE_1)
	s_cmp_lt_u32 s22, s33
	s_cbranch_scc0 .LBB112_79
.LBB112_4:                              ; =>This Loop Header: Depth=1
                                        ;     Child Loop BB112_67 Depth 2
	s_and_not1_b32 vcc_lo, exec_lo, s90
	s_wait_alu 0xfffe
	s_cbranch_vccnz .LBB112_3
; %bb.5:                                ;   in Loop: Header=BB112_4 Depth=1
	v_cmp_ne_u32_e32 vcc_lo, 1, v83
	s_cbranch_vccnz .LBB112_3
; %bb.6:                                ;   in Loop: Header=BB112_4 Depth=1
	s_mul_u64 s[20:21], s[24:25], s[22:23]
	s_wait_alu 0xfffe
	s_lshl_b64 s[20:21], s[20:21], 3
	s_wait_alu 0xfffe
	v_add_co_u32 v16, vcc_lo, v84, s20
	s_wait_alu 0xfffd
	v_add_co_ci_u32_e64 v17, null, s21, v85, vcc_lo
	s_and_saveexec_b32 s19, s0
	s_cbranch_execz .LBB112_10
; %bb.7:                                ;   in Loop: Header=BB112_4 Depth=1
	v_mov_b32_e32 v0, 0
	v_mov_b32_e32 v1, 0
	s_and_saveexec_b32 s20, s91
	s_cbranch_execz .LBB112_9
; %bb.8:                                ;   in Loop: Header=BB112_4 Depth=1
	global_load_b64 v[0:1], v[16:17], off
.LBB112_9:                              ;   in Loop: Header=BB112_4 Depth=1
	s_wait_alu 0xfffe
	s_or_b32 exec_lo, exec_lo, s20
	s_wait_loadcnt 0x0
	ds_store_b64 v82, v[0:1]
.LBB112_10:                             ;   in Loop: Header=BB112_4 Depth=1
	s_wait_alu 0xfffe
	s_or_b32 exec_lo, exec_lo, s19
	s_mul_u64 s[20:21], s[28:29], s[22:23]
	v_cmp_ne_u32_e32 vcc_lo, 1, v86
	s_wait_alu 0xfffe
	s_lshl_b64 s[20:21], s[20:21], 3
	s_wait_alu 0xfffe
	v_add_co_u32 v0, s19, v87, s20
	s_wait_alu 0xf1ff
	v_add_co_ci_u32_e64 v1, null, s21, v88, s19
	s_mov_b32 s19, -1
	s_cbranch_vccnz .LBB112_12
; %bb.11:                               ;   in Loop: Header=BB112_4 Depth=1
	s_lshl_b64 s[20:21], s[36:37], 3
	s_mov_b32 s19, 0
	s_wait_alu 0xfffe
	v_add_co_u32 v2, vcc_lo, v0, s20
	s_wait_alu 0xfffd
	v_add_co_ci_u32_e64 v3, null, s21, v1, vcc_lo
	s_delay_alu instid0(VALU_DEP_2) | instskip(SKIP_1) | instid1(VALU_DEP_2)
	v_add_co_u32 v4, vcc_lo, v2, s42
	s_wait_alu 0xfffd
	v_add_co_ci_u32_e64 v5, null, s43, v3, vcc_lo
	s_delay_alu instid0(VALU_DEP_2) | instskip(SKIP_1) | instid1(VALU_DEP_2)
	v_add_co_u32 v6, vcc_lo, v4, s42
	s_wait_alu 0xfffd
	v_add_co_ci_u32_e64 v7, null, s43, v5, vcc_lo
	s_clause 0x3
	global_load_b64 v[8:9], v[0:1], off
	global_load_b64 v[2:3], v[2:3], off
	;; [unrolled: 1-line block ×4, first 2 shown]
	s_wait_loadcnt 0x3
	ds_store_b64 v102, v[8:9]
	s_wait_loadcnt 0x2
	ds_store_b64 v102, v[2:3] offset:2112
	s_wait_loadcnt 0x1
	ds_store_b64 v102, v[4:5] offset:4224
	;; [unrolled: 2-line block ×3, first 2 shown]
.LBB112_12:                             ;   in Loop: Header=BB112_4 Depth=1
	s_wait_alu 0xfffe
	s_and_not1_b32 vcc_lo, exec_lo, s19
	s_wait_alu 0xfffe
	s_cbranch_vccnz .LBB112_22
; %bb.13:                               ;   in Loop: Header=BB112_4 Depth=1
	v_add_co_u32 v2, vcc_lo, v0, v34
	s_wait_alu 0xfffd
	v_add_co_ci_u32_e64 v3, null, v1, v35, vcc_lo
	s_lshl_b64 s[20:21], s[30:31], 3
	v_mov_b32_e32 v6, 0
	s_wait_alu 0xfffe
	v_add_co_u32 v2, vcc_lo, v2, s20
	s_wait_alu 0xfffd
	v_add_co_ci_u32_e64 v3, null, s21, v3, vcc_lo
	v_dual_mov_b32 v7, 0 :: v_dual_mov_b32 v4, 0
	s_delay_alu instid0(VALU_DEP_3) | instskip(SKIP_1) | instid1(VALU_DEP_3)
	v_add_co_u32 v2, vcc_lo, v2, -8
	s_wait_alu 0xfffd
	v_add_co_ci_u32_e64 v3, null, -1, v3, vcc_lo
	v_mov_b32_e32 v5, 0
	s_delay_alu instid0(VALU_DEP_3) | instskip(NEXT) | instid1(VALU_DEP_3)
	v_cndmask_b32_e64 v2, v2, v0, s1
	v_cndmask_b32_e64 v3, v3, v1, s1
	s_and_saveexec_b32 s19, s2
	s_cbranch_execz .LBB112_15
; %bb.14:                               ;   in Loop: Header=BB112_4 Depth=1
	global_load_b64 v[4:5], v[2:3], off
.LBB112_15:                             ;   in Loop: Header=BB112_4 Depth=1
	s_wait_alu 0xfffe
	s_or_b32 exec_lo, exec_lo, s19
	s_wait_loadcnt 0x0
	ds_store_b64 v102, v[4:5]
	s_and_saveexec_b32 s19, s3
	s_cbranch_execz .LBB112_17
; %bb.16:                               ;   in Loop: Header=BB112_4 Depth=1
	s_lshl_b64 s[20:21], s[36:37], 3
	s_wait_alu 0xfffe
	v_add_co_u32 v4, vcc_lo, v2, s20
	s_wait_alu 0xfffd
	v_add_co_ci_u32_e64 v5, null, s21, v3, vcc_lo
	global_load_b64 v[6:7], v[4:5], off
.LBB112_17:                             ;   in Loop: Header=BB112_4 Depth=1
	s_wait_alu 0xfffe
	s_or_b32 exec_lo, exec_lo, s19
	v_mov_b32_e32 v4, 0
	v_dual_mov_b32 v5, 0 :: v_dual_mov_b32 v8, 0
	v_mov_b32_e32 v9, 0
	s_wait_loadcnt 0x0
	ds_store_b64 v102, v[6:7] offset:2112
	s_and_saveexec_b32 s19, s4
	s_cbranch_execz .LBB112_19
; %bb.18:                               ;   in Loop: Header=BB112_4 Depth=1
	s_lshl_b64 s[20:21], s[38:39], 3
	s_wait_alu 0xfffe
	v_add_co_u32 v6, vcc_lo, v2, s20
	s_wait_alu 0xfffd
	v_add_co_ci_u32_e64 v7, null, s21, v3, vcc_lo
	global_load_b64 v[8:9], v[6:7], off
.LBB112_19:                             ;   in Loop: Header=BB112_4 Depth=1
	s_wait_alu 0xfffe
	s_or_b32 exec_lo, exec_lo, s19
	s_wait_loadcnt 0x0
	ds_store_b64 v102, v[8:9] offset:4224
	s_and_saveexec_b32 s19, s5
	s_cbranch_execz .LBB112_21
; %bb.20:                               ;   in Loop: Header=BB112_4 Depth=1
	s_lshl_b64 s[20:21], s[40:41], 3
	s_wait_alu 0xfffe
	v_add_co_u32 v4, vcc_lo, v2, s20
	s_wait_alu 0xfffd
	v_add_co_ci_u32_e64 v5, null, s21, v3, vcc_lo
	global_load_b64 v[4:5], v[4:5], off
.LBB112_21:                             ;   in Loop: Header=BB112_4 Depth=1
	s_wait_alu 0xfffe
	s_or_b32 exec_lo, exec_lo, s19
	v_add_co_u32 v2, vcc_lo, v2, v107
	s_wait_alu 0xfffd
	v_add_co_ci_u32_e64 v3, null, 0, v3, vcc_lo
	s_lshl_b64 s[20:21], s[44:45], 3
	s_wait_loadcnt 0x0
	ds_store_b64 v102, v[4:5] offset:6336
	s_wait_alu 0xfffe
	v_add_co_u32 v2, vcc_lo, v2, s20
	s_wait_alu 0xfffd
	v_add_co_ci_u32_e64 v3, null, s21, v3, vcc_lo
	s_delay_alu instid0(VALU_DEP_2) | instskip(SKIP_1) | instid1(VALU_DEP_2)
	v_add_co_u32 v2, vcc_lo, v2, 8
	s_wait_alu 0xfffd
	v_add_co_ci_u32_e64 v3, null, 0, v3, vcc_lo
	s_delay_alu instid0(VALU_DEP_2) | instskip(NEXT) | instid1(VALU_DEP_2)
	v_cndmask_b32_e64 v0, v2, v0, s1
	v_cndmask_b32_e64 v1, v3, v1, s1
.LBB112_22:                             ;   in Loop: Header=BB112_4 Depth=1
	s_wait_dscnt 0x0
	s_barrier_signal -1
	s_barrier_wait -1
	global_inv scope:SCOPE_SE
	s_and_saveexec_b32 s19, s6
	s_cbranch_execnz .LBB112_73
; %bb.23:                               ;   in Loop: Header=BB112_4 Depth=1
	s_wait_alu 0xfffe
	s_or_b32 exec_lo, exec_lo, s19
	s_and_saveexec_b32 s19, s7
	s_cbranch_execnz .LBB112_74
.LBB112_24:                             ;   in Loop: Header=BB112_4 Depth=1
	s_wait_alu 0xfffe
	s_or_b32 exec_lo, exec_lo, s19
	s_and_saveexec_b32 s19, s8
	s_cbranch_execnz .LBB112_75
.LBB112_25:                             ;   in Loop: Header=BB112_4 Depth=1
	s_wait_alu 0xfffe
	s_or_b32 exec_lo, exec_lo, s19
	s_and_saveexec_b32 s19, s9
	s_cbranch_execz .LBB112_27
.LBB112_26:                             ;   in Loop: Header=BB112_4 Depth=1
	ds_load_b64 v[2:3], v104 offset:528
	s_wait_dscnt 0x0
	ds_store_b64 v90, v[2:3] offset:24
.LBB112_27:                             ;   in Loop: Header=BB112_4 Depth=1
	s_wait_alu 0xfffe
	s_or_b32 exec_lo, exec_lo, s19
	s_wait_loadcnt_dscnt 0x0
	s_barrier_signal -1
	s_barrier_wait -1
	global_inv scope:SCOPE_SE
	ds_load_b64 v[10:11], v103
	ds_load_b128 v[2:5], v91
	ds_load_b128 v[6:9], v91 offset:16
	ds_load_b64 v[14:15], v104 offset:528
	v_mov_b32_e32 v44, 0
	v_mov_b32_e32 v45, 0
	s_wait_dscnt 0x2
	v_fma_f64 v[2:3], v[10:11], v[2:3], 0
	ds_load_2addr_b64 v[10:13], v104 offset1:33
	s_wait_loadcnt_dscnt 0x0
	s_barrier_signal -1
	s_barrier_wait -1
	global_inv scope:SCOPE_SE
	v_fma_f64 v[2:3], v[10:11], v[4:5], v[2:3]
	s_delay_alu instid0(VALU_DEP_1) | instskip(NEXT) | instid1(VALU_DEP_1)
	v_fma_f64 v[2:3], v[12:13], v[6:7], v[2:3]
	v_fma_f64 v[2:3], v[14:15], v[8:9], v[2:3]
	ds_store_b64 v92, v[2:3]
	s_wait_loadcnt_dscnt 0x0
	s_barrier_signal -1
	s_barrier_wait -1
	global_inv scope:SCOPE_SE
	s_and_saveexec_b32 s19, s10
	s_cbranch_execz .LBB112_29
; %bb.28:                               ;   in Loop: Header=BB112_4 Depth=1
	ds_load_2addr_b64 v[2:5], v89 offset1:1
	ds_load_2addr_b64 v[6:9], v89 offset0:2 offset1:3
	s_wait_dscnt 0x1
	v_add_f64_e32 v[2:3], v[2:3], v[4:5]
	s_wait_dscnt 0x0
	s_delay_alu instid0(VALU_DEP_1) | instskip(NEXT) | instid1(VALU_DEP_1)
	v_add_f64_e32 v[2:3], v[2:3], v[6:7]
	v_add_f64_e32 v[10:11], v[2:3], v[8:9]
	ds_load_2addr_b64 v[2:5], v89 offset0:4 offset1:5
	ds_load_2addr_b64 v[6:9], v89 offset0:6 offset1:7
	s_wait_dscnt 0x1
	v_add_f64_e32 v[2:3], v[10:11], v[2:3]
	s_delay_alu instid0(VALU_DEP_1) | instskip(SKIP_1) | instid1(VALU_DEP_1)
	v_add_f64_e32 v[2:3], v[2:3], v[4:5]
	s_wait_dscnt 0x0
	v_add_f64_e32 v[2:3], v[2:3], v[6:7]
	s_delay_alu instid0(VALU_DEP_1)
	v_add_f64_e32 v[44:45], v[2:3], v[8:9]
.LBB112_29:                             ;   in Loop: Header=BB112_4 Depth=1
	s_wait_alu 0xfffe
	s_or_b32 exec_lo, exec_lo, s19
	v_cmp_ne_u32_e32 vcc_lo, 1, v86
	v_add_co_u32 v0, s19, v0, s78
	s_wait_alu 0xf1ff
	v_add_co_ci_u32_e64 v1, null, s79, v1, s19
	s_and_b32 vcc_lo, exec_lo, vcc_lo
	s_mov_b32 s19, -1
	s_wait_loadcnt 0x0
	s_barrier_signal -1
	s_barrier_wait -1
	global_inv scope:SCOPE_SE
	s_wait_alu 0xfffe
	s_cbranch_vccnz .LBB112_31
; %bb.30:                               ;   in Loop: Header=BB112_4 Depth=1
	s_lshl_b64 s[20:21], s[36:37], 3
	s_mov_b32 s19, 0
	s_wait_alu 0xfffe
	v_add_co_u32 v2, vcc_lo, v0, s20
	s_wait_alu 0xfffd
	v_add_co_ci_u32_e64 v3, null, s21, v1, vcc_lo
	s_delay_alu instid0(VALU_DEP_2) | instskip(SKIP_1) | instid1(VALU_DEP_2)
	v_add_co_u32 v4, vcc_lo, v2, s42
	s_wait_alu 0xfffd
	v_add_co_ci_u32_e64 v5, null, s43, v3, vcc_lo
	s_delay_alu instid0(VALU_DEP_2) | instskip(SKIP_1) | instid1(VALU_DEP_2)
	v_add_co_u32 v6, vcc_lo, v4, s42
	s_wait_alu 0xfffd
	v_add_co_ci_u32_e64 v7, null, s43, v5, vcc_lo
	s_clause 0x3
	global_load_b64 v[8:9], v[0:1], off offset:256
	global_load_b64 v[2:3], v[2:3], off offset:256
	;; [unrolled: 1-line block ×4, first 2 shown]
	s_wait_loadcnt 0x3
	ds_store_b64 v102, v[8:9]
	s_wait_loadcnt 0x2
	ds_store_b64 v102, v[2:3] offset:2112
	s_wait_loadcnt 0x1
	ds_store_b64 v102, v[4:5] offset:4224
	s_wait_loadcnt 0x0
	ds_store_b64 v102, v[6:7] offset:6336
.LBB112_31:                             ;   in Loop: Header=BB112_4 Depth=1
	v_add_co_u32 v8, vcc_lo, 0x100, v0
	s_wait_alu 0xfffd
	v_add_co_ci_u32_e64 v9, null, 0, v1, vcc_lo
	s_and_not1_b32 vcc_lo, exec_lo, s19
	s_wait_alu 0xfffe
	s_cbranch_vccnz .LBB112_41
; %bb.32:                               ;   in Loop: Header=BB112_4 Depth=1
	v_add_co_u32 v0, vcc_lo, v0, v34
	s_wait_alu 0xfffd
	v_add_co_ci_u32_e64 v1, null, v1, v35, vcc_lo
	s_lshl_b64 s[20:21], s[30:31], 3
	v_mov_b32_e32 v4, 0
	s_wait_alu 0xfffe
	v_add_co_u32 v0, vcc_lo, v0, s20
	s_wait_alu 0xfffd
	v_add_co_ci_u32_e64 v1, null, s21, v1, vcc_lo
	v_dual_mov_b32 v5, 0 :: v_dual_mov_b32 v2, 0
	s_delay_alu instid0(VALU_DEP_3) | instskip(SKIP_1) | instid1(VALU_DEP_3)
	v_add_co_u32 v0, vcc_lo, v0, -8
	s_wait_alu 0xfffd
	v_add_co_ci_u32_e64 v1, null, -1, v1, vcc_lo
	v_mov_b32_e32 v3, 0
	s_delay_alu instid0(VALU_DEP_3) | instskip(NEXT) | instid1(VALU_DEP_3)
	v_cndmask_b32_e64 v0, v0, v8, s11
	v_cndmask_b32_e64 v1, v1, v9, s11
	s_and_saveexec_b32 s19, s12
	s_cbranch_execz .LBB112_34
; %bb.33:                               ;   in Loop: Header=BB112_4 Depth=1
	global_load_b64 v[2:3], v[0:1], off
.LBB112_34:                             ;   in Loop: Header=BB112_4 Depth=1
	s_wait_alu 0xfffe
	s_or_b32 exec_lo, exec_lo, s19
	s_wait_loadcnt 0x0
	ds_store_b64 v102, v[2:3]
	s_and_saveexec_b32 s19, s13
	s_cbranch_execz .LBB112_36
; %bb.35:                               ;   in Loop: Header=BB112_4 Depth=1
	s_lshl_b64 s[20:21], s[36:37], 3
	s_wait_alu 0xfffe
	v_add_co_u32 v2, vcc_lo, v0, s20
	s_wait_alu 0xfffd
	v_add_co_ci_u32_e64 v3, null, s21, v1, vcc_lo
	global_load_b64 v[4:5], v[2:3], off
.LBB112_36:                             ;   in Loop: Header=BB112_4 Depth=1
	s_wait_alu 0xfffe
	s_or_b32 exec_lo, exec_lo, s19
	v_mov_b32_e32 v2, 0
	v_dual_mov_b32 v3, 0 :: v_dual_mov_b32 v6, 0
	v_mov_b32_e32 v7, 0
	s_wait_loadcnt 0x0
	ds_store_b64 v102, v[4:5] offset:2112
	s_and_saveexec_b32 s19, s14
	s_cbranch_execz .LBB112_38
; %bb.37:                               ;   in Loop: Header=BB112_4 Depth=1
	s_lshl_b64 s[20:21], s[38:39], 3
	s_wait_alu 0xfffe
	v_add_co_u32 v4, vcc_lo, v0, s20
	s_wait_alu 0xfffd
	v_add_co_ci_u32_e64 v5, null, s21, v1, vcc_lo
	global_load_b64 v[6:7], v[4:5], off
.LBB112_38:                             ;   in Loop: Header=BB112_4 Depth=1
	s_wait_alu 0xfffe
	s_or_b32 exec_lo, exec_lo, s19
	s_wait_loadcnt 0x0
	ds_store_b64 v102, v[6:7] offset:4224
	s_and_saveexec_b32 s19, s15
	s_cbranch_execz .LBB112_40
; %bb.39:                               ;   in Loop: Header=BB112_4 Depth=1
	s_lshl_b64 s[20:21], s[40:41], 3
	s_wait_alu 0xfffe
	v_add_co_u32 v2, vcc_lo, v0, s20
	s_wait_alu 0xfffd
	v_add_co_ci_u32_e64 v3, null, s21, v1, vcc_lo
	global_load_b64 v[2:3], v[2:3], off
.LBB112_40:                             ;   in Loop: Header=BB112_4 Depth=1
	s_wait_alu 0xfffe
	s_or_b32 exec_lo, exec_lo, s19
	v_add_co_u32 v0, vcc_lo, v0, v107
	s_wait_alu 0xfffd
	v_add_co_ci_u32_e64 v1, null, 0, v1, vcc_lo
	s_lshl_b64 s[20:21], s[44:45], 3
	s_wait_loadcnt 0x0
	ds_store_b64 v102, v[2:3] offset:6336
	s_wait_alu 0xfffe
	v_add_co_u32 v0, vcc_lo, v0, s20
	s_wait_alu 0xfffd
	v_add_co_ci_u32_e64 v1, null, s21, v1, vcc_lo
	s_delay_alu instid0(VALU_DEP_2) | instskip(SKIP_1) | instid1(VALU_DEP_2)
	v_add_co_u32 v0, vcc_lo, 0x108, v0
	s_wait_alu 0xfffd
	v_add_co_ci_u32_e64 v1, null, 0, v1, vcc_lo
	s_delay_alu instid0(VALU_DEP_2) | instskip(NEXT) | instid1(VALU_DEP_2)
	v_cndmask_b32_e64 v8, v0, v8, s11
	v_cndmask_b32_e64 v9, v1, v9, s11
.LBB112_41:                             ;   in Loop: Header=BB112_4 Depth=1
	s_wait_loadcnt_dscnt 0x0
	s_barrier_signal -1
	s_barrier_wait -1
	global_inv scope:SCOPE_SE
	s_and_saveexec_b32 s19, s6
	s_cbranch_execnz .LBB112_76
; %bb.42:                               ;   in Loop: Header=BB112_4 Depth=1
	s_wait_alu 0xfffe
	s_or_b32 exec_lo, exec_lo, s19
	s_and_saveexec_b32 s19, s7
	s_cbranch_execnz .LBB112_77
.LBB112_43:                             ;   in Loop: Header=BB112_4 Depth=1
	s_wait_alu 0xfffe
	s_or_b32 exec_lo, exec_lo, s19
	s_and_saveexec_b32 s19, s8
	s_cbranch_execnz .LBB112_78
.LBB112_44:                             ;   in Loop: Header=BB112_4 Depth=1
	s_wait_alu 0xfffe
	s_or_b32 exec_lo, exec_lo, s19
	s_and_saveexec_b32 s19, s9
	s_cbranch_execz .LBB112_46
.LBB112_45:                             ;   in Loop: Header=BB112_4 Depth=1
	ds_load_b64 v[0:1], v104 offset:528
	s_wait_dscnt 0x0
	ds_store_b64 v90, v[0:1] offset:24
.LBB112_46:                             ;   in Loop: Header=BB112_4 Depth=1
	s_wait_alu 0xfffe
	s_or_b32 exec_lo, exec_lo, s19
	s_wait_loadcnt_dscnt 0x0
	s_barrier_signal -1
	s_barrier_wait -1
	global_inv scope:SCOPE_SE
	ds_load_b64 v[10:11], v103
	ds_load_b128 v[0:3], v91 offset:256
	ds_load_b128 v[4:7], v91 offset:272
	ds_load_b64 v[14:15], v104 offset:528
	s_wait_dscnt 0x2
	v_fma_f64 v[0:1], v[10:11], v[0:1], 0
	ds_load_2addr_b64 v[10:13], v104 offset1:33
	s_wait_loadcnt_dscnt 0x0
	s_barrier_signal -1
	s_barrier_wait -1
	global_inv scope:SCOPE_SE
	v_fma_f64 v[0:1], v[10:11], v[2:3], v[0:1]
	s_delay_alu instid0(VALU_DEP_1) | instskip(NEXT) | instid1(VALU_DEP_1)
	v_fma_f64 v[0:1], v[12:13], v[4:5], v[0:1]
	v_fma_f64 v[0:1], v[14:15], v[6:7], v[0:1]
	ds_store_b64 v92, v[0:1]
	s_wait_loadcnt_dscnt 0x0
	s_barrier_signal -1
	s_barrier_wait -1
	global_inv scope:SCOPE_SE
	s_and_saveexec_b32 s19, s16
	s_cbranch_execz .LBB112_48
; %bb.47:                               ;   in Loop: Header=BB112_4 Depth=1
	ds_load_2addr_b64 v[0:3], v89 offset1:1
	ds_load_2addr_b64 v[4:7], v89 offset0:2 offset1:3
	s_wait_dscnt 0x1
	v_add_f64_e32 v[0:1], v[0:1], v[2:3]
	s_wait_dscnt 0x0
	s_delay_alu instid0(VALU_DEP_1) | instskip(NEXT) | instid1(VALU_DEP_1)
	v_add_f64_e32 v[0:1], v[0:1], v[4:5]
	v_add_f64_e32 v[10:11], v[0:1], v[6:7]
	ds_load_2addr_b64 v[0:3], v89 offset0:4 offset1:5
	ds_load_2addr_b64 v[4:7], v89 offset0:6 offset1:7
	s_wait_dscnt 0x1
	v_add_f64_e32 v[0:1], v[10:11], v[0:1]
	s_delay_alu instid0(VALU_DEP_1) | instskip(SKIP_1) | instid1(VALU_DEP_1)
	v_add_f64_e32 v[0:1], v[0:1], v[2:3]
	s_wait_dscnt 0x0
	v_add_f64_e32 v[0:1], v[0:1], v[4:5]
	s_delay_alu instid0(VALU_DEP_1)
	v_add_f64_e32 v[44:45], v[0:1], v[6:7]
.LBB112_48:                             ;   in Loop: Header=BB112_4 Depth=1
	s_wait_alu 0xfffe
	s_or_b32 exec_lo, exec_lo, s19
	v_cmp_ne_u32_e32 vcc_lo, 1, v86
	v_add_co_u32 v18, s19, v8, s80
	s_wait_alu 0xf1ff
	v_add_co_ci_u32_e64 v19, null, s81, v9, s19
	s_and_b32 vcc_lo, exec_lo, vcc_lo
	s_mov_b32 s19, -1
	s_wait_loadcnt 0x0
	s_barrier_signal -1
	s_barrier_wait -1
	global_inv scope:SCOPE_SE
	s_wait_alu 0xfffe
	s_cbranch_vccnz .LBB112_50
; %bb.49:                               ;   in Loop: Header=BB112_4 Depth=1
	s_lshl_b64 s[20:21], s[36:37], 3
	s_mov_b32 s19, 0
	s_wait_alu 0xfffe
	v_add_co_u32 v0, vcc_lo, v18, s20
	s_wait_alu 0xfffd
	v_add_co_ci_u32_e64 v1, null, s21, v19, vcc_lo
	s_delay_alu instid0(VALU_DEP_2) | instskip(SKIP_1) | instid1(VALU_DEP_2)
	v_add_co_u32 v2, vcc_lo, v0, s42
	s_wait_alu 0xfffd
	v_add_co_ci_u32_e64 v3, null, s43, v1, vcc_lo
	s_delay_alu instid0(VALU_DEP_2) | instskip(SKIP_1) | instid1(VALU_DEP_2)
	v_add_co_u32 v4, vcc_lo, v2, s42
	s_wait_alu 0xfffd
	v_add_co_ci_u32_e64 v5, null, s43, v3, vcc_lo
	s_clause 0x3
	global_load_b64 v[6:7], v[18:19], off
	global_load_b64 v[0:1], v[0:1], off
	;; [unrolled: 1-line block ×4, first 2 shown]
	s_wait_loadcnt 0x3
	ds_store_b64 v102, v[6:7]
	s_wait_loadcnt 0x2
	ds_store_b64 v102, v[0:1] offset:2112
	s_wait_loadcnt 0x1
	ds_store_b64 v102, v[2:3] offset:4224
	;; [unrolled: 2-line block ×3, first 2 shown]
.LBB112_50:                             ;   in Loop: Header=BB112_4 Depth=1
	s_and_not1_b32 vcc_lo, exec_lo, s19
	s_wait_alu 0xfffe
	s_cbranch_vccnz .LBB112_60
; %bb.51:                               ;   in Loop: Header=BB112_4 Depth=1
	v_add_co_u32 v0, vcc_lo, v18, v34
	s_wait_alu 0xfffd
	v_add_co_ci_u32_e64 v1, null, v19, v35, vcc_lo
	s_lshl_b64 s[20:21], s[30:31], 3
	v_mov_b32_e32 v4, 0
	s_wait_alu 0xfffe
	v_add_co_u32 v0, vcc_lo, v0, s20
	s_wait_alu 0xfffd
	v_add_co_ci_u32_e64 v1, null, s21, v1, vcc_lo
	v_dual_mov_b32 v5, 0 :: v_dual_mov_b32 v2, 0
	s_delay_alu instid0(VALU_DEP_3) | instskip(SKIP_1) | instid1(VALU_DEP_3)
	v_add_co_u32 v0, vcc_lo, 0xfffffef8, v0
	s_wait_alu 0xfffd
	v_add_co_ci_u32_e64 v1, null, -1, v1, vcc_lo
	v_mov_b32_e32 v3, 0
	s_delay_alu instid0(VALU_DEP_3) | instskip(NEXT) | instid1(VALU_DEP_3)
	v_cndmask_b32_e64 v0, v0, v18, s11
	v_cndmask_b32_e64 v1, v1, v19, s11
	s_and_saveexec_b32 s19, s2
	s_cbranch_execz .LBB112_53
; %bb.52:                               ;   in Loop: Header=BB112_4 Depth=1
	global_load_b64 v[2:3], v[0:1], off
.LBB112_53:                             ;   in Loop: Header=BB112_4 Depth=1
	s_wait_alu 0xfffe
	s_or_b32 exec_lo, exec_lo, s19
	s_wait_loadcnt 0x0
	ds_store_b64 v102, v[2:3]
	s_and_saveexec_b32 s19, s3
	s_cbranch_execz .LBB112_55
; %bb.54:                               ;   in Loop: Header=BB112_4 Depth=1
	s_lshl_b64 s[20:21], s[36:37], 3
	s_wait_alu 0xfffe
	v_add_co_u32 v2, vcc_lo, v0, s20
	s_wait_alu 0xfffd
	v_add_co_ci_u32_e64 v3, null, s21, v1, vcc_lo
	global_load_b64 v[4:5], v[2:3], off
.LBB112_55:                             ;   in Loop: Header=BB112_4 Depth=1
	s_wait_alu 0xfffe
	s_or_b32 exec_lo, exec_lo, s19
	v_mov_b32_e32 v2, 0
	v_dual_mov_b32 v3, 0 :: v_dual_mov_b32 v6, 0
	v_mov_b32_e32 v7, 0
	s_wait_loadcnt 0x0
	ds_store_b64 v102, v[4:5] offset:2112
	s_and_saveexec_b32 s19, s4
	s_cbranch_execz .LBB112_57
; %bb.56:                               ;   in Loop: Header=BB112_4 Depth=1
	s_lshl_b64 s[20:21], s[38:39], 3
	s_wait_alu 0xfffe
	v_add_co_u32 v4, vcc_lo, v0, s20
	s_wait_alu 0xfffd
	v_add_co_ci_u32_e64 v5, null, s21, v1, vcc_lo
	global_load_b64 v[6:7], v[4:5], off
.LBB112_57:                             ;   in Loop: Header=BB112_4 Depth=1
	s_wait_alu 0xfffe
	s_or_b32 exec_lo, exec_lo, s19
	s_wait_loadcnt 0x0
	ds_store_b64 v102, v[6:7] offset:4224
	s_and_saveexec_b32 s19, s5
	s_cbranch_execz .LBB112_59
; %bb.58:                               ;   in Loop: Header=BB112_4 Depth=1
	s_lshl_b64 s[20:21], s[40:41], 3
	s_wait_alu 0xfffe
	v_add_co_u32 v2, vcc_lo, v0, s20
	s_wait_alu 0xfffd
	v_add_co_ci_u32_e64 v3, null, s21, v1, vcc_lo
	global_load_b64 v[2:3], v[2:3], off
.LBB112_59:                             ;   in Loop: Header=BB112_4 Depth=1
	s_wait_alu 0xfffe
	s_or_b32 exec_lo, exec_lo, s19
	v_add_co_u32 v0, vcc_lo, v0, v107
	s_wait_alu 0xfffd
	v_add_co_ci_u32_e64 v1, null, 0, v1, vcc_lo
	s_lshl_b64 s[20:21], s[44:45], 3
	s_wait_loadcnt 0x0
	ds_store_b64 v102, v[2:3] offset:6336
	s_wait_alu 0xfffe
	v_add_co_u32 v0, vcc_lo, v0, s20
	s_wait_alu 0xfffd
	v_add_co_ci_u32_e64 v1, null, s21, v1, vcc_lo
	s_delay_alu instid0(VALU_DEP_2) | instskip(SKIP_1) | instid1(VALU_DEP_2)
	v_add_co_u32 v0, vcc_lo, 0x108, v0
	s_wait_alu 0xfffd
	v_add_co_ci_u32_e64 v1, null, 0, v1, vcc_lo
	s_delay_alu instid0(VALU_DEP_2) | instskip(NEXT) | instid1(VALU_DEP_2)
	v_cndmask_b32_e64 v18, v0, v18, s11
	v_cndmask_b32_e64 v19, v1, v19, s11
.LBB112_60:                             ;   in Loop: Header=BB112_4 Depth=1
	s_wait_loadcnt_dscnt 0x0
	s_barrier_signal -1
	s_barrier_wait -1
	global_inv scope:SCOPE_SE
	ds_load_b64 v[0:1], v102
	ds_load_b64 v[2:3], v105
	ds_load_b64 v[4:5], v102 offset:6336
	ds_load_b64 v[6:7], v102 offset:2112
	;; [unrolled: 1-line block ×4, first 2 shown]
	s_wait_dscnt 0x4
	v_fma_f64 v[12:13], v[0:1], v[2:3], 0
	ds_load_2addr_b64 v[0:3], v101 offset0:8 offset1:16
	s_wait_dscnt 0x0
	v_fma_f64 v[0:1], v[6:7], v[0:1], v[12:13]
	s_delay_alu instid0(VALU_DEP_1) | instskip(NEXT) | instid1(VALU_DEP_1)
	v_fma_f64 v[0:1], v[8:9], v[2:3], v[0:1]
	v_fma_f64 v[20:21], v[4:5], v[10:11], v[0:1]
	ds_load_b128 v[8:11], v91 offset:256
	ds_load_b128 v[0:3], v91 offset:272
	ds_load_2addr_b64 v[12:15], v93 offset1:1
	ds_load_2addr_b64 v[4:7], v93 offset0:2 offset1:3
	s_wait_loadcnt_dscnt 0x0
	s_barrier_signal -1
	s_barrier_wait -1
	global_inv scope:SCOPE_SE
	ds_store_b64 v92, v[20:21]
	s_wait_loadcnt_dscnt 0x0
	s_barrier_signal -1
	s_barrier_wait -1
	global_inv scope:SCOPE_SE
	s_and_saveexec_b32 s19, s16
	s_cbranch_execz .LBB112_62
; %bb.61:                               ;   in Loop: Header=BB112_4 Depth=1
	ds_load_2addr_b64 v[20:23], v89 offset1:1
	ds_load_2addr_b64 v[24:27], v89 offset0:2 offset1:3
	s_wait_dscnt 0x1
	v_add_f64_e32 v[20:21], v[44:45], v[20:21]
	s_delay_alu instid0(VALU_DEP_1) | instskip(SKIP_1) | instid1(VALU_DEP_1)
	v_add_f64_e32 v[20:21], v[20:21], v[22:23]
	s_wait_dscnt 0x0
	v_add_f64_e32 v[20:21], v[20:21], v[24:25]
	s_delay_alu instid0(VALU_DEP_1) | instskip(SKIP_4) | instid1(VALU_DEP_1)
	v_add_f64_e32 v[28:29], v[20:21], v[26:27]
	ds_load_2addr_b64 v[20:23], v89 offset0:4 offset1:5
	ds_load_2addr_b64 v[24:27], v89 offset0:6 offset1:7
	s_wait_dscnt 0x1
	v_add_f64_e32 v[20:21], v[28:29], v[20:21]
	v_add_f64_e32 v[20:21], v[20:21], v[22:23]
	s_wait_dscnt 0x0
	s_delay_alu instid0(VALU_DEP_1) | instskip(NEXT) | instid1(VALU_DEP_1)
	v_add_f64_e32 v[20:21], v[20:21], v[24:25]
	v_add_f64_e32 v[44:45], v[20:21], v[26:27]
.LBB112_62:                             ;   in Loop: Header=BB112_4 Depth=1
	s_wait_alu 0xfffe
	s_or_b32 exec_lo, exec_lo, s19
	v_fma_f64 v[8:9], v[12:13], v[8:9], 0
	s_wait_loadcnt 0x0
	s_barrier_signal -1
	s_barrier_wait -1
	global_inv scope:SCOPE_SE
	v_fma_f64 v[8:9], v[14:15], v[10:11], v[8:9]
	s_delay_alu instid0(VALU_DEP_1) | instskip(NEXT) | instid1(VALU_DEP_1)
	v_fma_f64 v[0:1], v[4:5], v[0:1], v[8:9]
	v_fma_f64 v[0:1], v[6:7], v[2:3], v[0:1]
	ds_store_b64 v92, v[0:1]
	s_wait_loadcnt_dscnt 0x0
	s_barrier_signal -1
	s_barrier_wait -1
	global_inv scope:SCOPE_SE
	s_and_saveexec_b32 s19, s10
	s_cbranch_execz .LBB112_64
; %bb.63:                               ;   in Loop: Header=BB112_4 Depth=1
	ds_load_2addr_b64 v[0:3], v89 offset1:1
	ds_load_2addr_b64 v[4:7], v89 offset0:2 offset1:3
	s_wait_dscnt 0x1
	v_add_f64_e32 v[0:1], v[44:45], v[0:1]
	s_delay_alu instid0(VALU_DEP_1) | instskip(SKIP_1) | instid1(VALU_DEP_1)
	v_add_f64_e32 v[0:1], v[0:1], v[2:3]
	s_wait_dscnt 0x0
	v_add_f64_e32 v[0:1], v[0:1], v[4:5]
	s_delay_alu instid0(VALU_DEP_1) | instskip(SKIP_4) | instid1(VALU_DEP_1)
	v_add_f64_e32 v[8:9], v[0:1], v[6:7]
	ds_load_2addr_b64 v[0:3], v89 offset0:4 offset1:5
	ds_load_2addr_b64 v[4:7], v89 offset0:6 offset1:7
	s_wait_dscnt 0x1
	v_add_f64_e32 v[0:1], v[8:9], v[0:1]
	v_add_f64_e32 v[0:1], v[0:1], v[2:3]
	s_wait_dscnt 0x0
	s_delay_alu instid0(VALU_DEP_1) | instskip(NEXT) | instid1(VALU_DEP_1)
	v_add_f64_e32 v[0:1], v[0:1], v[4:5]
	v_add_f64_e32 v[44:45], v[0:1], v[6:7]
.LBB112_64:                             ;   in Loop: Header=BB112_4 Depth=1
	s_wait_alu 0xfffe
	s_or_b32 exec_lo, exec_lo, s19
	s_mul_u64 s[20:21], s[26:27], s[22:23]
	s_and_not1_b32 vcc_lo, exec_lo, s92
	s_wait_alu 0xfffe
	s_lshl_b64 s[20:21], s[20:21], 3
	s_wait_loadcnt 0x0
	s_wait_alu 0xfffe
	s_add_nc_u64 s[86:87], s[34:35], s[20:21]
	s_barrier_signal -1
	s_barrier_wait -1
	global_inv scope:SCOPE_SE
	s_cbranch_vccnz .LBB112_71
; %bb.65:                               ;   in Loop: Header=BB112_4 Depth=1
	v_add_co_u32 v0, vcc_lo, v18, s84
	s_wait_alu 0xfffd
	v_add_co_ci_u32_e64 v1, null, s85, v19, vcc_lo
	s_lshl_b64 s[20:21], s[30:31], 3
	v_add_co_u32 v0, vcc_lo, v0, v36
	s_wait_alu 0xfffd
	v_add_co_ci_u32_e64 v1, null, v1, v37, vcc_lo
	v_mov_b32_e32 v32, v80
	s_delay_alu instid0(VALU_DEP_3) | instskip(SKIP_1) | instid1(VALU_DEP_3)
	v_add_co_u32 v0, vcc_lo, v0, v38
	s_wait_alu 0xfffd
	v_add_co_ci_u32_e64 v1, null, v1, v39, vcc_lo
	s_mov_b32 s95, ttmp9
	v_add_co_u32 v2, vcc_lo, v0, v40
	s_wait_alu 0xfffd
	v_add_co_ci_u32_e64 v3, null, v1, v41, vcc_lo
	s_mov_b32 s88, 0
	s_wait_alu 0xfffe
	v_add_co_u32 v2, vcc_lo, v2, s20
	s_wait_alu 0xfffd
	v_add_co_ci_u32_e64 v3, null, s21, v3, vcc_lo
	v_add_co_u32 v0, vcc_lo, 0xffffff00, v0
	s_wait_alu 0xfffd
	v_add_co_ci_u32_e64 v1, null, -1, v1, vcc_lo
	v_add_co_u32 v2, vcc_lo, 0xfffffef8, v2
	s_wait_alu 0xfffd
	v_add_co_ci_u32_e64 v3, null, -1, v3, vcc_lo
	v_add_co_u32 v108, vcc_lo, v16, s82
	s_wait_alu 0xfffd
	v_add_co_ci_u32_e64 v109, null, s83, v17, vcc_lo
	s_delay_alu instid0(VALU_DEP_3)
	v_cndmask_b32_e64 v47, v1, v3, s17
	v_cndmask_b32_e64 v46, v0, v2, s17
	s_branch .LBB112_67
.LBB112_66:                             ;   in Loop: Header=BB112_67 Depth=2
	s_wait_alu 0xfffe
	s_or_b32 exec_lo, exec_lo, s19
	v_fma_f64 v[0:1], v[48:49], v[0:1], v[44:45]
	v_add_co_u32 v46, vcc_lo, v46, s48
	s_wait_alu 0xfffd
	v_add_co_ci_u32_e64 v47, null, s49, v47, vcc_lo
	v_add_nc_u32_e32 v32, 64, v32
	s_add_co_i32 s95, s95, -1
	s_add_co_i32 s88, s88, s93
	s_cmp_eq_u32 s95, 0
	s_wait_loadcnt 0x0
	s_wait_storecnt 0x0
	s_barrier_signal -1
	s_barrier_wait -1
	global_inv scope:SCOPE_SE
	v_fma_f64 v[0:1], v[50:51], v[2:3], v[0:1]
	s_delay_alu instid0(VALU_DEP_1) | instskip(NEXT) | instid1(VALU_DEP_1)
	v_fma_f64 v[0:1], v[52:53], v[4:5], v[0:1]
	v_fma_f64 v[0:1], v[54:55], v[6:7], v[0:1]
	s_delay_alu instid0(VALU_DEP_1) | instskip(NEXT) | instid1(VALU_DEP_1)
	v_fma_f64 v[0:1], v[56:57], v[8:9], v[0:1]
	;; [unrolled: 3-line block ×7, first 2 shown]
	v_fma_f64 v[44:45], v[78:79], v[30:31], v[0:1]
	s_cbranch_scc1 .LBB112_71
.LBB112_67:                             ;   Parent Loop BB112_4 Depth=1
                                        ; =>  This Inner Loop Header: Depth=2
	s_and_saveexec_b32 s19, s0
	s_cbranch_execz .LBB112_69
; %bb.68:                               ;   in Loop: Header=BB112_67 Depth=2
	s_ashr_i32 s89, s88, 31
	s_delay_alu instid0(SALU_CYCLE_1)
	s_lshl_b64 s[20:21], s[88:89], 3
	s_wait_alu 0xfffe
	v_add_co_u32 v0, vcc_lo, v108, s20
	s_wait_alu 0xfffd
	v_add_co_ci_u32_e64 v1, null, s21, v109, vcc_lo
	global_load_b64 v[0:1], v[0:1], off
	s_wait_loadcnt 0x0
	ds_store_b64 v94, v[0:1]
.LBB112_69:                             ;   in Loop: Header=BB112_67 Depth=2
	s_wait_alu 0xfffe
	s_or_b32 exec_lo, exec_lo, s19
	v_add_co_u32 v0, vcc_lo, v46, s46
	s_wait_alu 0xfffd
	v_add_co_ci_u32_e64 v1, null, s47, v47, vcc_lo
	v_add_co_u32 v2, vcc_lo, v46, s50
	s_wait_alu 0xfffd
	v_add_co_ci_u32_e64 v3, null, s51, v47, vcc_lo
	;; [unrolled: 3-line block ×3, first 2 shown]
	s_wait_loadcnt_dscnt 0x0
	s_barrier_signal -1
	s_barrier_wait -1
	global_inv scope:SCOPE_SE
	s_clause 0x3
	global_load_b64 v[48:49], v[46:47], off
	global_load_b64 v[50:51], v[0:1], off
	;; [unrolled: 1-line block ×4, first 2 shown]
	ds_load_b64 v[0:1], v82
	v_add_co_u32 v16, vcc_lo, v46, s76
	v_add_co_u32 v18, s19, v46, s74
	v_add_co_u32 v20, s20, v46, s54
	s_wait_alu 0xfffd
	v_add_co_ci_u32_e64 v17, null, s77, v47, vcc_lo
	v_add_co_u32 v22, s21, v46, s56
	s_wait_alu 0xf1ff
	v_add_co_ci_u32_e64 v19, null, s75, v47, s19
	v_add_co_ci_u32_e64 v21, null, s55, v47, s20
	v_add_co_ci_u32_e64 v23, null, s57, v47, s21
	v_add_co_u32 v24, vcc_lo, v46, s72
	v_add_co_u32 v26, s19, v46, s70
	v_add_co_u32 v28, s20, v46, s58
	s_wait_alu 0xfffd
	v_add_co_ci_u32_e64 v25, null, s73, v47, vcc_lo
	v_add_co_u32 v30, s21, v46, s60
	s_wait_alu 0xf1ff
	v_add_co_ci_u32_e64 v27, null, s71, v47, s19
	v_add_co_ci_u32_e64 v29, null, s59, v47, s20
	v_add_co_ci_u32_e64 v31, null, s61, v47, s21
	;; [unrolled: 10-line block ×3, first 2 shown]
	s_wait_loadcnt_dscnt 0x300
	v_mul_f64_e32 v[8:9], v[48:49], v[0:1]
	s_wait_loadcnt 0x2
	v_mul_f64_e32 v[10:11], v[50:51], v[0:1]
	s_wait_loadcnt 0x1
	;; [unrolled: 2-line block ×3, first 2 shown]
	v_mul_f64_e32 v[14:15], v[54:55], v[0:1]
	ds_load_b128 v[0:3], v95
	ds_load_b128 v[4:7], v95 offset:16
	ds_store_2addr_b64 v96, v[8:9], v[10:11] offset1:67
	ds_store_2addr_b64 v96, v[12:13], v[14:15] offset0:134 offset1:201
	s_wait_dscnt 0x0
	s_barrier_signal -1
	s_barrier_wait -1
	global_inv scope:SCOPE_SE
	ds_load_2addr_b64 v[110:113], v97 offset1:1
	ds_load_2addr_b64 v[114:117], v97 offset0:2 offset1:3
	s_wait_loadcnt_dscnt 0x0
	s_barrier_signal -1
	s_barrier_wait -1
	global_inv scope:SCOPE_SE
	s_clause 0x3
	global_load_b64 v[56:57], v[16:17], off
	global_load_b64 v[58:59], v[18:19], off
	;; [unrolled: 1-line block ×4, first 2 shown]
	ds_load_b64 v[8:9], v82
	v_add_f64_e32 v[110:111], 0, v[110:111]
	s_wait_loadcnt_dscnt 0x300
	v_mul_f64_e32 v[16:17], v[56:57], v[8:9]
	s_wait_loadcnt 0x2
	v_mul_f64_e32 v[18:19], v[58:59], v[8:9]
	s_wait_loadcnt 0x1
	v_mul_f64_e32 v[20:21], v[60:61], v[8:9]
	s_wait_loadcnt 0x0
	v_mul_f64_e32 v[22:23], v[62:63], v[8:9]
	ds_load_b128 v[8:11], v95 offset:128
	ds_load_b128 v[12:15], v95 offset:144
	ds_store_2addr_b64 v96, v[16:17], v[18:19] offset1:67
	ds_store_2addr_b64 v96, v[20:21], v[22:23] offset0:134 offset1:201
	s_wait_dscnt 0x0
	s_barrier_signal -1
	s_barrier_wait -1
	global_inv scope:SCOPE_SE
	ds_load_2addr_b64 v[118:121], v97 offset1:1
	ds_load_2addr_b64 v[122:125], v97 offset0:2 offset1:3
	s_wait_loadcnt_dscnt 0x0
	s_barrier_signal -1
	s_barrier_wait -1
	global_inv scope:SCOPE_SE
	s_clause 0x3
	global_load_b64 v[64:65], v[24:25], off
	global_load_b64 v[66:67], v[26:27], off
	;; [unrolled: 1-line block ×4, first 2 shown]
	ds_load_b64 v[16:17], v82
	v_add_f64_e32 v[118:119], 0, v[118:119]
	s_delay_alu instid0(VALU_DEP_1) | instskip(NEXT) | instid1(VALU_DEP_1)
	v_add_f64_e32 v[118:119], v[118:119], v[120:121]
	v_add_f64_e32 v[118:119], v[118:119], v[122:123]
	s_wait_loadcnt_dscnt 0x300
	v_mul_f64_e32 v[24:25], v[64:65], v[16:17]
	s_wait_loadcnt 0x2
	v_mul_f64_e32 v[26:27], v[66:67], v[16:17]
	s_wait_loadcnt 0x1
	;; [unrolled: 2-line block ×3, first 2 shown]
	v_mul_f64_e32 v[30:31], v[70:71], v[16:17]
	ds_load_b128 v[16:19], v95 offset:256
	ds_load_b128 v[20:23], v95 offset:272
	ds_store_2addr_b64 v96, v[24:25], v[26:27] offset1:67
	ds_store_2addr_b64 v96, v[28:29], v[30:31] offset0:134 offset1:201
	s_wait_dscnt 0x0
	s_barrier_signal -1
	s_barrier_wait -1
	global_inv scope:SCOPE_SE
	ds_load_2addr_b64 v[126:129], v97 offset1:1
	ds_load_2addr_b64 v[130:133], v97 offset0:2 offset1:3
	s_wait_loadcnt_dscnt 0x0
	s_barrier_signal -1
	s_barrier_wait -1
	global_inv scope:SCOPE_SE
	s_clause 0x3
	global_load_b64 v[72:73], v[72:73], off
	global_load_b64 v[74:75], v[74:75], off
	;; [unrolled: 1-line block ×4, first 2 shown]
	ds_load_b64 v[24:25], v82
	v_add_f64_e32 v[126:127], 0, v[126:127]
	s_delay_alu instid0(VALU_DEP_1) | instskip(NEXT) | instid1(VALU_DEP_1)
	v_add_f64_e32 v[120:121], v[126:127], v[128:129]
	v_add_f64_e32 v[120:121], v[120:121], v[130:131]
	s_wait_loadcnt_dscnt 0x300
	v_mul_f64_e32 v[134:135], v[72:73], v[24:25]
	s_wait_loadcnt 0x2
	v_mul_f64_e32 v[136:137], v[74:75], v[24:25]
	s_wait_loadcnt 0x1
	;; [unrolled: 2-line block ×3, first 2 shown]
	v_mul_f64_e32 v[140:141], v[78:79], v[24:25]
	ds_load_b128 v[24:27], v95 offset:384
	ds_load_b128 v[28:31], v95 offset:400
	ds_store_2addr_b64 v96, v[134:135], v[136:137] offset1:67
	ds_store_2addr_b64 v96, v[138:139], v[140:141] offset0:134 offset1:201
	s_wait_dscnt 0x0
	s_barrier_signal -1
	s_barrier_wait -1
	global_inv scope:SCOPE_SE
	ds_load_2addr_b64 v[134:137], v97 offset1:1
	v_add_f64_e32 v[138:139], v[110:111], v[112:113]
	ds_load_2addr_b64 v[110:113], v97 offset0:2 offset1:3
	s_wait_loadcnt_dscnt 0x0
	s_barrier_signal -1
	s_barrier_wait -1
	global_inv scope:SCOPE_SE
	v_add_f64_e32 v[134:135], 0, v[134:135]
	v_add_f64_e32 v[114:115], v[138:139], v[114:115]
	s_delay_alu instid0(VALU_DEP_2) | instskip(NEXT) | instid1(VALU_DEP_2)
	v_add_f64_e32 v[126:127], v[134:135], v[136:137]
	v_add_f64_e32 v[114:115], v[114:115], v[116:117]
	v_add_f64_e32 v[116:117], v[118:119], v[124:125]
	v_add_f64_e32 v[118:119], v[120:121], v[132:133]
	s_delay_alu instid0(VALU_DEP_4) | instskip(NEXT) | instid1(VALU_DEP_1)
	v_add_f64_e32 v[110:111], v[126:127], v[110:111]
	v_add_f64_e32 v[110:111], v[110:111], v[112:113]
	ds_store_2addr_b64 v106, v[114:115], v[116:117] offset1:16
	ds_store_2addr_b64 v106, v[118:119], v[110:111] offset0:32 offset1:48
	s_wait_loadcnt_dscnt 0x0
	s_barrier_signal -1
	s_barrier_wait -1
	global_inv scope:SCOPE_SE
	s_and_saveexec_b32 s19, s18
	s_cbranch_execz .LBB112_66
; %bb.70:                               ;   in Loop: Header=BB112_67 Depth=2
	ds_load_2addr_b64 v[110:113], v98 offset1:1
	ds_load_2addr_b64 v[114:117], v98 offset0:2 offset1:3
	s_wait_dscnt 0x1
	v_add_f64_e32 v[110:111], v[110:111], v[112:113]
	s_wait_dscnt 0x0
	s_delay_alu instid0(VALU_DEP_1) | instskip(NEXT) | instid1(VALU_DEP_1)
	v_add_f64_e32 v[110:111], v[110:111], v[114:115]
	v_add_f64_e32 v[118:119], v[110:111], v[116:117]
	ds_load_2addr_b64 v[110:113], v98 offset0:4 offset1:5
	ds_load_2addr_b64 v[114:117], v98 offset0:6 offset1:7
	s_wait_dscnt 0x1
	v_add_f64_e32 v[110:111], v[118:119], v[110:111]
	s_delay_alu instid0(VALU_DEP_1) | instskip(SKIP_1) | instid1(VALU_DEP_1)
	v_add_f64_e32 v[110:111], v[110:111], v[112:113]
	s_wait_dscnt 0x0
	v_add_f64_e32 v[110:111], v[110:111], v[114:115]
	s_delay_alu instid0(VALU_DEP_1) | instskip(SKIP_4) | instid1(VALU_DEP_1)
	v_add_f64_e32 v[118:119], v[110:111], v[116:117]
	ds_load_2addr_b64 v[110:113], v98 offset0:8 offset1:9
	ds_load_2addr_b64 v[114:117], v98 offset0:10 offset1:11
	s_wait_dscnt 0x1
	v_add_f64_e32 v[110:111], v[118:119], v[110:111]
	v_add_f64_e32 v[110:111], v[110:111], v[112:113]
	s_wait_dscnt 0x0
	s_delay_alu instid0(VALU_DEP_1) | instskip(NEXT) | instid1(VALU_DEP_1)
	v_add_f64_e32 v[110:111], v[110:111], v[114:115]
	v_add_f64_e32 v[114:115], v[110:111], v[116:117]
	ds_load_2addr_b64 v[110:113], v98 offset0:12 offset1:13
	ds_load_b64 v[116:117], v98 offset:112
	s_wait_dscnt 0x1
	v_add_f64_e32 v[110:111], v[114:115], v[110:111]
	s_delay_alu instid0(VALU_DEP_1) | instskip(SKIP_4) | instid1(VALU_DEP_1)
	v_add_f64_e32 v[110:111], v[110:111], v[112:113]
	ds_load_b64 v[112:113], v99
	s_wait_dscnt 0x1
	v_add_f64_e32 v[110:111], v[110:111], v[116:117]
	s_wait_dscnt 0x0
	v_add_f64_e32 v[110:111], v[110:111], v[112:113]
	v_lshlrev_b64_e32 v[112:113], 3, v[32:33]
	s_delay_alu instid0(VALU_DEP_1) | instskip(SKIP_1) | instid1(VALU_DEP_2)
	v_add_co_u32 v112, vcc_lo, s86, v112
	s_wait_alu 0xfffd
	v_add_co_ci_u32_e64 v113, null, s87, v113, vcc_lo
	global_store_b64 v[112:113], v[110:111], off
	s_branch .LBB112_66
.LBB112_71:                             ;   in Loop: Header=BB112_4 Depth=1
	ds_store_b64 v100, v[44:45]
	s_wait_loadcnt_dscnt 0x0
	s_barrier_signal -1
	s_barrier_wait -1
	global_inv scope:SCOPE_SE
	s_and_saveexec_b32 s19, s94
	s_cbranch_execz .LBB112_2
; %bb.72:                               ;   in Loop: Header=BB112_4 Depth=1
	ds_load_2addr_b64 v[0:3], v81 offset1:67
	s_wait_dscnt 0x0
	v_add_f64_e32 v[4:5], v[0:1], v[2:3]
	ds_load_2addr_b64 v[0:3], v81 offset0:134 offset1:201
	s_wait_dscnt 0x0
	v_add_f64_e32 v[0:1], v[4:5], v[0:1]
	s_delay_alu instid0(VALU_DEP_1)
	v_add_f64_e32 v[0:1], v[0:1], v[2:3]
	s_wait_alu 0xfffe
	v_add_co_u32 v2, vcc_lo, s86, v42
	s_wait_alu 0xfffd
	v_add_co_ci_u32_e64 v3, null, s87, v43, vcc_lo
	global_store_b64 v[2:3], v[0:1], off
	s_branch .LBB112_2
.LBB112_73:                             ;   in Loop: Header=BB112_4 Depth=1
	ds_load_b64 v[2:3], v103
	s_wait_dscnt 0x0
	ds_store_b64 v90, v[2:3]
	s_wait_alu 0xfffe
	s_or_b32 exec_lo, exec_lo, s19
	s_and_saveexec_b32 s19, s7
	s_cbranch_execz .LBB112_24
.LBB112_74:                             ;   in Loop: Header=BB112_4 Depth=1
	ds_load_b64 v[2:3], v104
	s_wait_dscnt 0x0
	ds_store_b64 v90, v[2:3] offset:8
	s_wait_alu 0xfffe
	s_or_b32 exec_lo, exec_lo, s19
	s_and_saveexec_b32 s19, s8
	s_cbranch_execz .LBB112_25
.LBB112_75:                             ;   in Loop: Header=BB112_4 Depth=1
	ds_load_b64 v[2:3], v104 offset:264
	s_wait_dscnt 0x0
	ds_store_b64 v90, v[2:3] offset:16
	s_wait_alu 0xfffe
	s_or_b32 exec_lo, exec_lo, s19
	s_and_saveexec_b32 s19, s9
	s_cbranch_execnz .LBB112_26
	s_branch .LBB112_27
.LBB112_76:                             ;   in Loop: Header=BB112_4 Depth=1
	ds_load_b64 v[0:1], v103
	s_wait_dscnt 0x0
	ds_store_b64 v90, v[0:1]
	s_wait_alu 0xfffe
	s_or_b32 exec_lo, exec_lo, s19
	s_and_saveexec_b32 s19, s7
	s_cbranch_execz .LBB112_43
.LBB112_77:                             ;   in Loop: Header=BB112_4 Depth=1
	ds_load_b64 v[0:1], v104
	s_wait_dscnt 0x0
	ds_store_b64 v90, v[0:1] offset:8
	s_wait_alu 0xfffe
	s_or_b32 exec_lo, exec_lo, s19
	s_and_saveexec_b32 s19, s8
	s_cbranch_execz .LBB112_44
.LBB112_78:                             ;   in Loop: Header=BB112_4 Depth=1
	ds_load_b64 v[0:1], v104 offset:264
	s_wait_dscnt 0x0
	ds_store_b64 v90, v[0:1] offset:16
	s_wait_alu 0xfffe
	s_or_b32 exec_lo, exec_lo, s19
	s_and_saveexec_b32 s19, s9
	s_cbranch_execnz .LBB112_45
	s_branch .LBB112_46
.LBB112_79:
	s_nop 0
	s_sendmsg sendmsg(MSG_DEALLOC_VGPRS)
	s_endpgm
	.section	.rodata,"a",@progbits
	.p2align	6, 0x0
	.amdhsa_kernel _ZL26rocblas_hemvn_kernel_lowerILb0ELi64ELi4ELi33ELi32ELi16EidPKdPdEviT6_lT7_lT5_lS4_lS5_lS3_lT8_i
		.amdhsa_group_segment_fixed_size 9600
		.amdhsa_private_segment_fixed_size 0
		.amdhsa_kernarg_size 376
		.amdhsa_user_sgpr_count 2
		.amdhsa_user_sgpr_dispatch_ptr 0
		.amdhsa_user_sgpr_queue_ptr 0
		.amdhsa_user_sgpr_kernarg_segment_ptr 1
		.amdhsa_user_sgpr_dispatch_id 0
		.amdhsa_user_sgpr_private_segment_size 0
		.amdhsa_wavefront_size32 1
		.amdhsa_uses_dynamic_stack 0
		.amdhsa_enable_private_segment 0
		.amdhsa_system_sgpr_workgroup_id_x 1
		.amdhsa_system_sgpr_workgroup_id_y 0
		.amdhsa_system_sgpr_workgroup_id_z 1
		.amdhsa_system_sgpr_workgroup_info 0
		.amdhsa_system_vgpr_workitem_id 1
		.amdhsa_next_free_vgpr 142
		.amdhsa_next_free_sgpr 96
		.amdhsa_reserve_vcc 1
		.amdhsa_float_round_mode_32 0
		.amdhsa_float_round_mode_16_64 0
		.amdhsa_float_denorm_mode_32 3
		.amdhsa_float_denorm_mode_16_64 3
		.amdhsa_fp16_overflow 0
		.amdhsa_workgroup_processor_mode 1
		.amdhsa_memory_ordered 1
		.amdhsa_forward_progress 1
		.amdhsa_inst_pref_size 57
		.amdhsa_round_robin_scheduling 0
		.amdhsa_exception_fp_ieee_invalid_op 0
		.amdhsa_exception_fp_denorm_src 0
		.amdhsa_exception_fp_ieee_div_zero 0
		.amdhsa_exception_fp_ieee_overflow 0
		.amdhsa_exception_fp_ieee_underflow 0
		.amdhsa_exception_fp_ieee_inexact 0
		.amdhsa_exception_int_div_zero 0
	.end_amdhsa_kernel
	.section	.text._ZL26rocblas_hemvn_kernel_lowerILb0ELi64ELi4ELi33ELi32ELi16EidPKdPdEviT6_lT7_lT5_lS4_lS5_lS3_lT8_i,"axG",@progbits,_ZL26rocblas_hemvn_kernel_lowerILb0ELi64ELi4ELi33ELi32ELi16EidPKdPdEviT6_lT7_lT5_lS4_lS5_lS3_lT8_i,comdat
.Lfunc_end112:
	.size	_ZL26rocblas_hemvn_kernel_lowerILb0ELi64ELi4ELi33ELi32ELi16EidPKdPdEviT6_lT7_lT5_lS4_lS5_lS3_lT8_i, .Lfunc_end112-_ZL26rocblas_hemvn_kernel_lowerILb0ELi64ELi4ELi33ELi32ELi16EidPKdPdEviT6_lT7_lT5_lS4_lS5_lS3_lT8_i
                                        ; -- End function
	.set _ZL26rocblas_hemvn_kernel_lowerILb0ELi64ELi4ELi33ELi32ELi16EidPKdPdEviT6_lT7_lT5_lS4_lS5_lS3_lT8_i.num_vgpr, 142
	.set _ZL26rocblas_hemvn_kernel_lowerILb0ELi64ELi4ELi33ELi32ELi16EidPKdPdEviT6_lT7_lT5_lS4_lS5_lS3_lT8_i.num_agpr, 0
	.set _ZL26rocblas_hemvn_kernel_lowerILb0ELi64ELi4ELi33ELi32ELi16EidPKdPdEviT6_lT7_lT5_lS4_lS5_lS3_lT8_i.numbered_sgpr, 96
	.set _ZL26rocblas_hemvn_kernel_lowerILb0ELi64ELi4ELi33ELi32ELi16EidPKdPdEviT6_lT7_lT5_lS4_lS5_lS3_lT8_i.num_named_barrier, 0
	.set _ZL26rocblas_hemvn_kernel_lowerILb0ELi64ELi4ELi33ELi32ELi16EidPKdPdEviT6_lT7_lT5_lS4_lS5_lS3_lT8_i.private_seg_size, 0
	.set _ZL26rocblas_hemvn_kernel_lowerILb0ELi64ELi4ELi33ELi32ELi16EidPKdPdEviT6_lT7_lT5_lS4_lS5_lS3_lT8_i.uses_vcc, 1
	.set _ZL26rocblas_hemvn_kernel_lowerILb0ELi64ELi4ELi33ELi32ELi16EidPKdPdEviT6_lT7_lT5_lS4_lS5_lS3_lT8_i.uses_flat_scratch, 0
	.set _ZL26rocblas_hemvn_kernel_lowerILb0ELi64ELi4ELi33ELi32ELi16EidPKdPdEviT6_lT7_lT5_lS4_lS5_lS3_lT8_i.has_dyn_sized_stack, 0
	.set _ZL26rocblas_hemvn_kernel_lowerILb0ELi64ELi4ELi33ELi32ELi16EidPKdPdEviT6_lT7_lT5_lS4_lS5_lS3_lT8_i.has_recursion, 0
	.set _ZL26rocblas_hemvn_kernel_lowerILb0ELi64ELi4ELi33ELi32ELi16EidPKdPdEviT6_lT7_lT5_lS4_lS5_lS3_lT8_i.has_indirect_call, 0
	.section	.AMDGPU.csdata,"",@progbits
; Kernel info:
; codeLenInByte = 7196
; TotalNumSgprs: 98
; NumVgprs: 142
; ScratchSize: 0
; MemoryBound: 0
; FloatMode: 240
; IeeeMode: 1
; LDSByteSize: 9600 bytes/workgroup (compile time only)
; SGPRBlocks: 0
; VGPRBlocks: 17
; NumSGPRsForWavesPerEU: 98
; NumVGPRsForWavesPerEU: 142
; Occupancy: 10
; WaveLimiterHint : 0
; COMPUTE_PGM_RSRC2:SCRATCH_EN: 0
; COMPUTE_PGM_RSRC2:USER_SGPR: 2
; COMPUTE_PGM_RSRC2:TRAP_HANDLER: 0
; COMPUTE_PGM_RSRC2:TGID_X_EN: 1
; COMPUTE_PGM_RSRC2:TGID_Y_EN: 0
; COMPUTE_PGM_RSRC2:TGID_Z_EN: 1
; COMPUTE_PGM_RSRC2:TIDIG_COMP_CNT: 1
	.section	.text._ZL36rocblas_hemvn_kernel_lower_block_sumILi64EidPddEviT1_lS1_lT2_lT0_lPT3_i,"axG",@progbits,_ZL36rocblas_hemvn_kernel_lower_block_sumILi64EidPddEviT1_lS1_lT2_lT0_lPT3_i,comdat
	.globl	_ZL36rocblas_hemvn_kernel_lower_block_sumILi64EidPddEviT1_lS1_lT2_lT0_lPT3_i ; -- Begin function _ZL36rocblas_hemvn_kernel_lower_block_sumILi64EidPddEviT1_lS1_lT2_lT0_lPT3_i
	.p2align	8
	.type	_ZL36rocblas_hemvn_kernel_lower_block_sumILi64EidPddEviT1_lS1_lT2_lT0_lPT3_i,@function
_ZL36rocblas_hemvn_kernel_lower_block_sumILi64EidPddEviT1_lS1_lT2_lT0_lPT3_i: ; @_ZL36rocblas_hemvn_kernel_lower_block_sumILi64EidPddEviT1_lS1_lT2_lT0_lPT3_i
; %bb.0:
	s_load_b32 s3, s[0:1], 0x50
	s_lshr_b32 s8, ttmp7, 16
	s_wait_kmcnt 0x0
	s_cmp_ge_u32 s8, s3
	s_cbranch_scc1 .LBB113_25
; %bb.1:
	s_clause 0x4
	s_load_b64 s[10:11], s[0:1], 0x8
	s_load_b64 s[12:13], s[0:1], 0x18
	s_load_b32 s24, s[0:1], 0x0
	s_load_b32 s2, s[0:1], 0x38
	s_load_b128 s[16:19], s[0:1], 0x28
	v_lshl_or_b32 v0, ttmp9, 6, v0
	s_load_b128 s[4:7], s[0:1], 0x40
	s_add_nc_u64 s[0:1], s[0:1], 0x58
	s_wait_kmcnt 0x0
	v_cmp_neq_f64_e64 s9, s[10:11], 0
	v_cmp_neq_f64_e64 s22, s[12:13], 1.0
	v_cmp_eq_f64_e64 s20, s[12:13], 0
	v_cmp_eq_f64_e64 s21, s[10:11], 0
	v_cmp_neq_f64_e64 s23, s[12:13], 0
	s_wait_alu 0xfffe
	v_mad_co_u64_u32 v[1:2], null, s24, ttmp9, v[0:1]
	v_mul_lo_u32 v3, s2, v0
	v_cmp_gt_i32_e64 s2, s24, v0
	s_lshl_b64 s[14:15], s[18:19], 3
	s_ashr_i32 s25, s24, 31
	s_add_nc_u64 s[14:15], s[16:17], s[14:15]
	v_ashrrev_i32_e32 v2, 31, v1
	v_ashrrev_i32_e32 v4, 31, v3
	s_delay_alu instid0(VALU_DEP_2) | instskip(NEXT) | instid1(VALU_DEP_2)
	v_lshlrev_b64_e32 v[5:6], 3, v[1:2]
	v_lshlrev_b64_e32 v[0:1], 3, v[3:4]
	s_delay_alu instid0(VALU_DEP_2) | instskip(NEXT) | instid1(VALU_DEP_1)
	v_add_co_u32 v2, vcc_lo, s6, v5
	v_add_co_ci_u32_e64 v3, null, s7, v6, vcc_lo
	s_wait_alu 0xfffe
	s_lshl_b64 s[6:7], s[24:25], 3
	s_or_b32 s22, s9, s22
	s_mov_b32 s9, 0
	s_branch .LBB113_4
.LBB113_2:                              ;   in Loop: Header=BB113_4 Depth=1
	s_or_b32 exec_lo, exec_lo, s18
.LBB113_3:                              ;   in Loop: Header=BB113_4 Depth=1
	s_add_co_i32 s8, s8, 0x10000
	s_wait_alu 0xfffe
	s_cmp_lt_u32 s8, s3
	s_cbranch_scc0 .LBB113_25
.LBB113_4:                              ; =>This Loop Header: Depth=1
                                        ;     Child Loop BB113_16 Depth 2
	s_and_not1_b32 vcc_lo, exec_lo, s22
	s_wait_alu 0xfffe
	s_cbranch_vccnz .LBB113_3
; %bb.5:                                ;   in Loop: Header=BB113_4 Depth=1
	s_mul_u64 s[16:17], s[4:5], s[8:9]
	s_and_not1_b32 vcc_lo, exec_lo, s21
	s_wait_alu 0xfffe
	s_lshl_b64 s[16:17], s[16:17], 3
	s_wait_alu 0xfffe
	s_add_nc_u64 s[16:17], s[14:15], s[16:17]
	s_cbranch_vccnz .LBB113_9
; %bb.6:                                ;   in Loop: Header=BB113_4 Depth=1
	s_mov_b32 s18, 0
	s_mov_b32 s24, 0
                                        ; implicit-def: $vgpr4_vgpr5
	s_and_saveexec_b32 s19, s2
	s_cbranch_execz .LBB113_10
; %bb.7:                                ;   in Loop: Header=BB113_4 Depth=1
	s_and_not1_b32 vcc_lo, exec_lo, s23
	s_wait_alu 0xfffe
	s_cbranch_vccnz .LBB113_11
; %bb.8:                                ;   in Loop: Header=BB113_4 Depth=1
	v_add_co_u32 v4, vcc_lo, s16, v0
	s_wait_alu 0xfffd
	v_add_co_ci_u32_e64 v5, null, s17, v1, vcc_lo
	global_load_b64 v[4:5], v[4:5], off
	s_wait_loadcnt 0x0
	v_mul_f64_e32 v[4:5], s[12:13], v[4:5]
	s_branch .LBB113_12
.LBB113_9:                              ;   in Loop: Header=BB113_4 Depth=1
	s_mov_b32 s24, 0
                                        ; implicit-def: $vgpr4_vgpr5
	s_cbranch_execnz .LBB113_13
	s_branch .LBB113_23
.LBB113_10:                             ;   in Loop: Header=BB113_4 Depth=1
	s_or_b32 exec_lo, exec_lo, s19
	s_delay_alu instid0(SALU_CYCLE_1)
	s_and_b32 vcc_lo, exec_lo, s18
	s_wait_alu 0xfffe
	s_cbranch_vccnz .LBB113_13
	s_branch .LBB113_23
.LBB113_11:                             ;   in Loop: Header=BB113_4 Depth=1
	v_mov_b32_e32 v4, 0
	v_mov_b32_e32 v5, 0
.LBB113_12:                             ;   in Loop: Header=BB113_4 Depth=1
	s_mov_b32 s24, exec_lo
	s_or_b32 exec_lo, exec_lo, s19
	s_delay_alu instid0(SALU_CYCLE_1)
	s_and_b32 vcc_lo, exec_lo, s18
	s_wait_alu 0xfffe
	s_cbranch_vccz .LBB113_23
.LBB113_13:                             ;   in Loop: Header=BB113_4 Depth=1
                                        ; implicit-def: $vgpr4_vgpr5
	s_and_saveexec_b32 s25, s2
	s_cbranch_execz .LBB113_22
; %bb.14:                               ;   in Loop: Header=BB113_4 Depth=1
	s_load_b32 s18, s[0:1], 0x0
	v_mov_b32_e32 v6, 0
	v_mov_b32_e32 v7, 0
	s_wait_kmcnt 0x0
	s_cmp_ge_i32 ttmp9, s18
	s_cbranch_scc1 .LBB113_17
; %bb.15:                               ;   in Loop: Header=BB113_4 Depth=1
	s_mov_b32 s19, s9
	s_mov_b32 s26, ttmp9
	s_mul_u64 s[28:29], s[6:7], s[18:19]
	s_wait_alu 0xfffe
	v_mad_co_u64_u32 v[4:5], null, s28, s8, v[2:3]
	s_delay_alu instid0(VALU_DEP_1)
	v_mad_co_u64_u32 v[5:6], null, s29, s8, v[5:6]
	v_mov_b32_e32 v6, 0
	v_mov_b32_e32 v7, 0
.LBB113_16:                             ;   Parent Loop BB113_4 Depth=1
                                        ; =>  This Inner Loop Header: Depth=2
	global_load_b64 v[8:9], v[4:5], off
	v_add_co_u32 v4, vcc_lo, v4, s6
	s_wait_alu 0xfffd
	v_add_co_ci_u32_e64 v5, null, s7, v5, vcc_lo
	s_add_co_i32 s26, s26, 1
	s_delay_alu instid0(SALU_CYCLE_1)
	s_cmp_ge_i32 s26, s18
	s_wait_loadcnt 0x0
	v_add_f64_e32 v[6:7], v[6:7], v[8:9]
	s_cbranch_scc0 .LBB113_16
.LBB113_17:                             ;   in Loop: Header=BB113_4 Depth=1
	s_and_b32 vcc_lo, exec_lo, s20
	s_mov_b32 s18, -1
                                        ; implicit-def: $vgpr4_vgpr5
	s_wait_alu 0xfffe
	s_cbranch_vccz .LBB113_19
; %bb.18:                               ;   in Loop: Header=BB113_4 Depth=1
	s_delay_alu instid0(VALU_DEP_1)
	v_mul_f64_e32 v[4:5], s[10:11], v[6:7]
	s_mov_b32 s18, 0
.LBB113_19:                             ;   in Loop: Header=BB113_4 Depth=1
	s_delay_alu instid0(SALU_CYCLE_1)
	s_and_not1_b32 vcc_lo, exec_lo, s18
	s_wait_alu 0xfffe
	s_cbranch_vccnz .LBB113_21
; %bb.20:                               ;   in Loop: Header=BB113_4 Depth=1
	v_add_co_u32 v4, vcc_lo, s16, v0
	s_wait_alu 0xfffd
	v_add_co_ci_u32_e64 v5, null, s17, v1, vcc_lo
	global_load_b64 v[4:5], v[4:5], off
	s_wait_loadcnt 0x0
	v_mul_f64_e32 v[4:5], s[12:13], v[4:5]
	s_delay_alu instid0(VALU_DEP_1)
	v_fma_f64 v[4:5], s[10:11], v[6:7], v[4:5]
.LBB113_21:                             ;   in Loop: Header=BB113_4 Depth=1
	s_or_b32 s24, s24, exec_lo
.LBB113_22:                             ;   in Loop: Header=BB113_4 Depth=1
	s_wait_alu 0xfffe
	s_or_b32 exec_lo, exec_lo, s25
.LBB113_23:                             ;   in Loop: Header=BB113_4 Depth=1
	s_wait_alu 0xfffe
	s_and_saveexec_b32 s18, s24
	s_cbranch_execz .LBB113_2
; %bb.24:                               ;   in Loop: Header=BB113_4 Depth=1
	v_add_co_u32 v6, vcc_lo, s16, v0
	s_wait_alu 0xfffd
	v_add_co_ci_u32_e64 v7, null, s17, v1, vcc_lo
	global_store_b64 v[6:7], v[4:5], off
	s_branch .LBB113_2
.LBB113_25:
	s_endpgm
	.section	.rodata,"a",@progbits
	.p2align	6, 0x0
	.amdhsa_kernel _ZL36rocblas_hemvn_kernel_lower_block_sumILi64EidPddEviT1_lS1_lT2_lT0_lPT3_i
		.amdhsa_group_segment_fixed_size 0
		.amdhsa_private_segment_fixed_size 0
		.amdhsa_kernarg_size 344
		.amdhsa_user_sgpr_count 2
		.amdhsa_user_sgpr_dispatch_ptr 0
		.amdhsa_user_sgpr_queue_ptr 0
		.amdhsa_user_sgpr_kernarg_segment_ptr 1
		.amdhsa_user_sgpr_dispatch_id 0
		.amdhsa_user_sgpr_private_segment_size 0
		.amdhsa_wavefront_size32 1
		.amdhsa_uses_dynamic_stack 0
		.amdhsa_enable_private_segment 0
		.amdhsa_system_sgpr_workgroup_id_x 1
		.amdhsa_system_sgpr_workgroup_id_y 0
		.amdhsa_system_sgpr_workgroup_id_z 1
		.amdhsa_system_sgpr_workgroup_info 0
		.amdhsa_system_vgpr_workitem_id 0
		.amdhsa_next_free_vgpr 10
		.amdhsa_next_free_sgpr 30
		.amdhsa_reserve_vcc 1
		.amdhsa_float_round_mode_32 0
		.amdhsa_float_round_mode_16_64 0
		.amdhsa_float_denorm_mode_32 3
		.amdhsa_float_denorm_mode_16_64 3
		.amdhsa_fp16_overflow 0
		.amdhsa_workgroup_processor_mode 1
		.amdhsa_memory_ordered 1
		.amdhsa_forward_progress 1
		.amdhsa_inst_pref_size 6
		.amdhsa_round_robin_scheduling 0
		.amdhsa_exception_fp_ieee_invalid_op 0
		.amdhsa_exception_fp_denorm_src 0
		.amdhsa_exception_fp_ieee_div_zero 0
		.amdhsa_exception_fp_ieee_overflow 0
		.amdhsa_exception_fp_ieee_underflow 0
		.amdhsa_exception_fp_ieee_inexact 0
		.amdhsa_exception_int_div_zero 0
	.end_amdhsa_kernel
	.section	.text._ZL36rocblas_hemvn_kernel_lower_block_sumILi64EidPddEviT1_lS1_lT2_lT0_lPT3_i,"axG",@progbits,_ZL36rocblas_hemvn_kernel_lower_block_sumILi64EidPddEviT1_lS1_lT2_lT0_lPT3_i,comdat
.Lfunc_end113:
	.size	_ZL36rocblas_hemvn_kernel_lower_block_sumILi64EidPddEviT1_lS1_lT2_lT0_lPT3_i, .Lfunc_end113-_ZL36rocblas_hemvn_kernel_lower_block_sumILi64EidPddEviT1_lS1_lT2_lT0_lPT3_i
                                        ; -- End function
	.set _ZL36rocblas_hemvn_kernel_lower_block_sumILi64EidPddEviT1_lS1_lT2_lT0_lPT3_i.num_vgpr, 10
	.set _ZL36rocblas_hemvn_kernel_lower_block_sumILi64EidPddEviT1_lS1_lT2_lT0_lPT3_i.num_agpr, 0
	.set _ZL36rocblas_hemvn_kernel_lower_block_sumILi64EidPddEviT1_lS1_lT2_lT0_lPT3_i.numbered_sgpr, 30
	.set _ZL36rocblas_hemvn_kernel_lower_block_sumILi64EidPddEviT1_lS1_lT2_lT0_lPT3_i.num_named_barrier, 0
	.set _ZL36rocblas_hemvn_kernel_lower_block_sumILi64EidPddEviT1_lS1_lT2_lT0_lPT3_i.private_seg_size, 0
	.set _ZL36rocblas_hemvn_kernel_lower_block_sumILi64EidPddEviT1_lS1_lT2_lT0_lPT3_i.uses_vcc, 1
	.set _ZL36rocblas_hemvn_kernel_lower_block_sumILi64EidPddEviT1_lS1_lT2_lT0_lPT3_i.uses_flat_scratch, 0
	.set _ZL36rocblas_hemvn_kernel_lower_block_sumILi64EidPddEviT1_lS1_lT2_lT0_lPT3_i.has_dyn_sized_stack, 0
	.set _ZL36rocblas_hemvn_kernel_lower_block_sumILi64EidPddEviT1_lS1_lT2_lT0_lPT3_i.has_recursion, 0
	.set _ZL36rocblas_hemvn_kernel_lower_block_sumILi64EidPddEviT1_lS1_lT2_lT0_lPT3_i.has_indirect_call, 0
	.section	.AMDGPU.csdata,"",@progbits
; Kernel info:
; codeLenInByte = 736
; TotalNumSgprs: 32
; NumVgprs: 10
; ScratchSize: 0
; MemoryBound: 0
; FloatMode: 240
; IeeeMode: 1
; LDSByteSize: 0 bytes/workgroup (compile time only)
; SGPRBlocks: 0
; VGPRBlocks: 1
; NumSGPRsForWavesPerEU: 32
; NumVGPRsForWavesPerEU: 10
; Occupancy: 16
; WaveLimiterHint : 0
; COMPUTE_PGM_RSRC2:SCRATCH_EN: 0
; COMPUTE_PGM_RSRC2:USER_SGPR: 2
; COMPUTE_PGM_RSRC2:TRAP_HANDLER: 0
; COMPUTE_PGM_RSRC2:TGID_X_EN: 1
; COMPUTE_PGM_RSRC2:TGID_Y_EN: 0
; COMPUTE_PGM_RSRC2:TGID_Z_EN: 1
; COMPUTE_PGM_RSRC2:TIDIG_COMP_CNT: 0
	.section	.text._ZL26rocblas_hemvn_kernel_upperILb0ELi64ELi4ELi33ELi32ELi16ElPK19rocblas_complex_numIfES3_PS1_EviT6_lT7_lT5_lS6_lS7_lS5_lT8_i,"axG",@progbits,_ZL26rocblas_hemvn_kernel_upperILb0ELi64ELi4ELi33ELi32ELi16ElPK19rocblas_complex_numIfES3_PS1_EviT6_lT7_lT5_lS6_lS7_lS5_lT8_i,comdat
	.globl	_ZL26rocblas_hemvn_kernel_upperILb0ELi64ELi4ELi33ELi32ELi16ElPK19rocblas_complex_numIfES3_PS1_EviT6_lT7_lT5_lS6_lS7_lS5_lT8_i ; -- Begin function _ZL26rocblas_hemvn_kernel_upperILb0ELi64ELi4ELi33ELi32ELi16ElPK19rocblas_complex_numIfES3_PS1_EviT6_lT7_lT5_lS6_lS7_lS5_lT8_i
	.p2align	8
	.type	_ZL26rocblas_hemvn_kernel_upperILb0ELi64ELi4ELi33ELi32ELi16ElPK19rocblas_complex_numIfES3_PS1_EviT6_lT7_lT5_lS6_lS7_lS5_lT8_i,@function
_ZL26rocblas_hemvn_kernel_upperILb0ELi64ELi4ELi33ELi32ELi16ElPK19rocblas_complex_numIfES3_PS1_EviT6_lT7_lT5_lS6_lS7_lS5_lT8_i: ; @_ZL26rocblas_hemvn_kernel_upperILb0ELi64ELi4ELi33ELi32ELi16ElPK19rocblas_complex_numIfES3_PS1_EviT6_lT7_lT5_lS6_lS7_lS5_lT8_i
; %bb.0:
	s_clause 0x1
	s_load_b64 s[2:3], s[0:1], 0x84
	s_load_b32 s33, s[0:1], 0x70
	s_lshr_b32 s28, ttmp7, 16
	s_wait_kmcnt 0x0
	s_lshr_b32 s4, s2, 16
	s_and_b32 s2, s2, 0xffff
	s_and_b32 s3, s3, 0xffff
	s_mul_i32 s2, s4, s2
	s_delay_alu instid0(SALU_CYCLE_1) | instskip(NEXT) | instid1(SALU_CYCLE_1)
	s_mul_i32 s2, s2, s3
	s_cmp_lg_u32 s2, 0x100
	s_cselect_b32 s2, -1, 0
	s_cmp_ge_u32 s28, s33
	s_cselect_b32 s3, -1, 0
	s_delay_alu instid0(SALU_CYCLE_1) | instskip(NEXT) | instid1(SALU_CYCLE_1)
	s_or_b32 s2, s2, s3
	s_and_b32 vcc_lo, exec_lo, s2
	s_cbranch_vccnz .LBB114_157
; %bb.1:
	s_clause 0x2
	s_load_b32 s2, s[0:1], 0x0
	s_load_b512 s[36:51], s[0:1], 0x8
	s_load_b256 s[20:27], s[0:1], 0x48
	v_and_b32_e32 v96, 0x3ff, v0
	s_lshl_b32 s18, ttmp9, 6
	v_bfe_u32 v10, v0, 10, 10
	s_add_nc_u64 s[6:7], s[0:1], 0x78
	s_delay_alu instid0(VALU_DEP_2) | instskip(SKIP_1) | instid1(VALU_DEP_2)
	v_dual_mov_b32 v56, 0 :: v_dual_add_nc_u32 v1, s18, v96
	s_load_b32 s30, s[6:7], 0x0
	v_lshl_add_u32 v9, v10, 6, v96
	v_and_b32_e32 v3, 31, v0
	s_load_b64 s[6:7], s[0:1], 0x68
	v_ashrrev_i32_e32 v2, 31, v1
	s_mov_b32 s4, ttmp9
	v_lshrrev_b32_e32 v11, 5, v9
	s_mov_b32 s29, 0
	v_and_b32_e32 v16, 0x7fe0, v9
	s_mov_b32 s31, s29
	v_lshlrev_b32_e32 v108, 2, v10
	s_wait_kmcnt 0x0
	s_ashr_i32 s3, s2, 31
	s_lshl_b64 s[0:1], s[50:51], 3
	v_mul_lo_u32 v4, s20, v2
	v_mul_lo_u32 v7, s21, v1
	v_mad_co_u64_u32 v[5:6], null, s20, v1, 0
	s_lshr_b32 s5, s3, 26
	s_add_nc_u64 s[0:1], s[48:49], s[0:1]
	s_add_co_i32 s5, s2, s5
	s_add_co_i32 s10, s30, -1
	s_and_not1_b32 s5, s5, 63
	s_lshl_b64 s[8:9], s[42:43], 3
	v_add3_u32 v6, v6, v4, v7
	v_mov_b32_e32 v4, v56
	s_sub_co_i32 s64, s2, s5
	s_cmp_eq_u32 ttmp9, s10
	s_add_nc_u64 s[8:9], s[40:41], s[8:9]
	v_lshlrev_b64_e32 v[5:6], 3, v[5:6]
	v_mad_co_u64_u32 v[7:8], null, s44, v11, v[3:4]
	s_cselect_b32 s34, s64, 0
	s_mul_u64 s[40:41], s[30:31], s[2:3]
	s_cmp_lg_u32 s34, 0
	v_add_co_u32 v97, vcc_lo, s0, v5
	v_dual_mov_b32 v4, v8 :: v_dual_lshlrev_b32 v99, 3, v96
	s_cselect_b32 s65, -1, 0
	s_cmp_eq_u32 s34, 0
	v_add_co_ci_u32_e64 v98, null, s1, v6, vcc_lo
	s_delay_alu instid0(VALU_DEP_2)
	v_mad_co_u64_u32 v[4:5], null, s45, v11, v[4:5]
	s_cselect_b32 s1, -1, 0
	s_ashr_i32 s5, ttmp9, 31
	s_ashr_i32 s19, s18, 31
	s_mul_u64 s[4:5], s[2:3], s[4:5]
	v_lshlrev_b32_e32 v19, 3, v3
	v_cmp_gt_i32_e32 vcc_lo, s34, v96
	v_mov_b32_e32 v8, v4
	s_lshl_b64 s[2:3], s[4:5], 3
	s_wait_alu 0xfffe
	s_lshl_b64 s[4:5], s[18:19], 3
	s_add_nc_u64 s[42:43], s[6:7], s[2:3]
	s_add_nc_u64 s[2:3], s[8:9], s[4:5]
	v_lshlrev_b64_e32 v[4:5], 3, v[7:8]
	s_or_b32 s60, s1, vcc_lo
	s_mul_u64 s[4:5], s[44:45], s[18:19]
	v_add_nc_u32_e32 v8, 8, v11
	v_lshlrev_b32_e32 v14, 2, v11
	v_lshl_or_b32 v15, v3, 8, v19
	v_add_co_u32 v6, vcc_lo, s2, v4
	s_wait_alu 0xfffd
	v_add_co_ci_u32_e64 v7, null, s3, v5, vcc_lo
	s_lshl_b64 s[2:3], s[4:5], 3
	s_sub_co_i32 s15, s34, 32
	s_wait_alu 0xfffe
	v_add_co_u32 v101, vcc_lo, v6, s2
	s_wait_alu 0xfffd
	v_add_co_ci_u32_e64 v102, null, s3, v7, vcc_lo
	v_add_nc_u32_e32 v12, 16, v11
	v_cmp_le_i32_e64 s3, s34, v8
	v_add_nc_u32_e32 v103, v15, v16
	v_or_b32_e32 v15, 1, v14
	v_or_b32_e32 v18, 2, v14
	v_cmp_le_i32_e64 s13, s15, v8
	v_lshrrev_b32_e32 v8, 4, v9
	v_sub_co_u32 v6, s2, 0, v3
	s_wait_alu 0xf1ff
	v_sub_co_ci_u32_e64 v7, null, 0, 0, s2
	v_cmp_le_i32_e64 s2, s34, v11
	v_mul_u32_u24_e32 v20, 0x108, v11
	v_cmp_le_i32_e64 s4, s34, v12
	v_add_nc_u32_e32 v13, 24, v11
	v_mul_u32_u24_e32 v21, 0x420, v11
	v_mul_u32_u24_e32 v22, 0x108, v15
	v_lshlrev_b32_e32 v15, 3, v11
	v_cmp_gt_u32_e64 s8, v18, v3
	v_cmp_le_i32_e64 s12, s15, v11
	v_cmp_le_i32_e64 s14, s15, v12
	v_cmp_eq_u32_e64 s16, 1, v11
	v_mul_i32_i24_e32 v107, 0xffffffe8, v11
	v_and_b32_e32 v11, 15, v0
	v_lshlrev_b32_e32 v18, 5, v10
	v_lshlrev_b32_e32 v12, 5, v8
	s_add_co_i32 s17, ttmp9, 1
	v_and_b32_e32 v0, 48, v0
	s_xor_b32 s66, s60, -1
	s_ashr_i32 s35, s34, 31
	v_mad_u32_u24 v112, 0x218, v11, v12
	v_add_nc_u32_e32 v12, 0x100, v18
	s_lshl_b64 s[48:49], s[44:45], 6
	s_lshl_b64 s[50:51], s[44:45], 7
	s_lshl_b64 s[56:57], s[44:45], 5
	v_cmp_gt_u32_e64 s10, 32, v9
	s_cmp_lt_u32 s17, s30
	v_mul_i32_i24_e32 v23, 0xffffffe8, v8
	v_cmp_gt_u32_e64 s17, 64, v9
	v_mad_co_u64_u32 v[8:9], null, s44, v12, 0
	v_lshlrev_b32_e32 v0, 3, v0
	v_add_nc_u32_e32 v105, 0x2380, v16
	v_add_nc_u32_e32 v16, 0x110, v18
	v_cmp_gt_u32_e64 s6, v14, v3
	v_cmp_ge_u32_e64 s7, v14, v3
	v_mad_u32_u24 v113, 0x218, v11, v0
	v_mov_b32_e32 v0, v9
	v_cmp_le_i32_e64 s5, s34, v13
	v_cmp_le_i32_e64 s15, s15, v13
	v_or_b32_e32 v13, 0x78, v99
	v_or_b32_e32 v14, 3, v14
	v_cmp_eq_u32_e64 s0, 0, v10
	v_mad_u32_u24 v111, 0x860, v10, v99
	v_mad_u32_u24 v130, 0x218, v10, v99
	;; [unrolled: 1-line block ×3, first 2 shown]
	v_mad_co_u64_u32 v[10:11], null, s44, v16, 0
	v_cmp_gt_u32_e64 s9, v14, v3
	v_or_b32_e32 v14, 32, v3
	v_add_nc_u32_e32 v9, 0x108, v18
	v_mul_u32_u24_e32 v17, 33, v3
	v_mad_co_u64_u32 v[12:13], null, s45, v12, v[0:1]
	s_delay_alu instid0(VALU_DEP_4) | instskip(NEXT) | instid1(VALU_DEP_4)
	v_cmp_gt_i32_e64 s11, s34, v14
	v_mad_co_u64_u32 v[13:14], null, s44, v9, 0
	s_delay_alu instid0(VALU_DEP_4)
	v_lshlrev_b32_e32 v104, 3, v17
	v_mov_b32_e32 v0, v11
	v_add_nc_u32_e32 v24, 0x118, v18
	v_add_nc_u32_e32 v131, 0x2380, v15
	v_sub_co_u32 v132, vcc_lo, v8, v4
	v_add_nc_u32_e32 v106, v104, v15
	v_mad_co_u64_u32 v[15:16], null, s45, v16, v[0:1]
	v_mad_co_u64_u32 v[16:17], null, s44, v24, 0
	v_mov_b32_e32 v0, v14
	s_wait_alu 0xfffd
	v_sub_co_ci_u32_e64 v133, null, v12, v5, vcc_lo
	v_sub_co_u32 v134, vcc_lo, v10, v4
	s_delay_alu instid0(VALU_DEP_3)
	v_mad_co_u64_u32 v[9:10], null, s45, v9, v[0:1]
	v_add_nc_u32_e32 v12, 0x180, v18
	v_mov_b32_e32 v8, v17
	s_wait_alu 0xfffd
	v_sub_co_ci_u32_e64 v135, null, v15, v5, vcc_lo
	v_sub_co_u32 v136, vcc_lo, v13, v4
	v_mad_co_u64_u32 v[10:11], null, s44, v12, 0
	v_mad_co_u64_u32 v[14:15], null, s45, v24, v[8:9]
	v_add_nc_u32_e32 v15, 0x188, v18
	v_add_nc_u32_e32 v109, 0x2180, v99
	s_wait_alu 0xfffd
	v_sub_co_ci_u32_e64 v137, null, v9, v5, vcc_lo
	v_mov_b32_e32 v0, v11
	v_mad_co_u64_u32 v[8:9], null, s44, v15, 0
	v_add_nc_u32_e32 v17, 0x190, v18
	v_add_nc_u32_e32 v24, 0x198, v18
	s_delay_alu instid0(VALU_DEP_4) | instskip(SKIP_1) | instid1(VALU_DEP_4)
	v_mad_co_u64_u32 v[11:12], null, s45, v12, v[0:1]
	v_sub_co_u32 v138, vcc_lo, v16, v4
	v_mad_co_u64_u32 v[12:13], null, s44, v17, 0
	v_mov_b32_e32 v0, v9
	s_wait_alu 0xfffd
	v_sub_co_ci_u32_e64 v139, null, v14, v5, vcc_lo
	v_add_nc_u32_e32 v119, 17, v108
	v_sub_co_u32 v140, vcc_lo, v10, v4
	v_mad_co_u64_u32 v[14:15], null, s45, v15, v[0:1]
	v_mad_co_u64_u32 v[15:16], null, s44, v24, 0
	v_dual_mov_b32 v0, v13 :: v_dual_add_nc_u32 v25, 0x200, v18
	v_add_nc_u32_e32 v121, 19, v108
	s_wait_alu 0xfffd
	v_sub_co_ci_u32_e64 v141, null, v11, v5, vcc_lo
	s_delay_alu instid0(VALU_DEP_3)
	v_mad_co_u64_u32 v[9:10], null, s45, v17, v[0:1]
	v_sub_co_u32 v142, vcc_lo, v8, v4
	v_mov_b32_e32 v8, v16
	v_mad_co_u64_u32 v[10:11], null, s44, v25, 0
	s_wait_alu 0xfffd
	v_sub_co_ci_u32_e64 v143, null, v14, v5, vcc_lo
	s_delay_alu instid0(VALU_DEP_3)
	v_mad_co_u64_u32 v[13:14], null, s45, v24, v[8:9]
	v_add_nc_u32_e32 v14, 0x208, v18
	v_sub_co_u32 v144, vcc_lo, v12, v4
	v_dual_mov_b32 v0, v11 :: v_dual_add_nc_u32 v123, 33, v108
	s_wait_alu 0xfffd
	v_sub_co_ci_u32_e64 v145, null, v9, v5, vcc_lo
	v_mad_co_u64_u32 v[8:9], null, s44, v14, 0
	v_add_nc_u32_e32 v17, 0x210, v18
	v_sub_co_u32 v146, vcc_lo, v15, v4
	v_mad_co_u64_u32 v[11:12], null, s45, v25, v[0:1]
	s_wait_alu 0xfffd
	v_sub_co_ci_u32_e64 v147, null, v13, v5, vcc_lo
	v_mad_co_u64_u32 v[12:13], null, s44, v17, 0
	v_dual_mov_b32 v0, v9 :: v_dual_add_nc_u32 v125, 35, v108
	v_add_nc_u32_e32 v24, 0x218, v18
	v_add_nc_u32_e32 v127, 49, v108
	v_sub_co_u32 v148, vcc_lo, v10, v4
	s_delay_alu instid0(VALU_DEP_4) | instskip(NEXT) | instid1(VALU_DEP_4)
	v_mad_co_u64_u32 v[14:15], null, s45, v14, v[0:1]
	v_mad_co_u64_u32 v[15:16], null, s44, v24, 0
	v_dual_mov_b32 v0, v13 :: v_dual_add_nc_u32 v129, 51, v108
	s_wait_alu 0xfffd
	v_sub_co_ci_u32_e64 v149, null, v11, v5, vcc_lo
	v_sub_co_u32 v150, vcc_lo, v8, v4
	s_delay_alu instid0(VALU_DEP_3)
	v_mad_co_u64_u32 v[9:10], null, s45, v17, v[0:1]
	v_dual_mov_b32 v8, v16 :: v_dual_add_nc_u32 v25, 0x280, v18
	s_wait_alu 0xfffd
	v_sub_co_ci_u32_e64 v151, null, v14, v5, vcc_lo
	v_add_nc_u32_e32 v26, 0x288, v18
	v_sub_co_u32 v152, vcc_lo, v12, v4
	v_mad_co_u64_u32 v[10:11], null, s45, v24, v[8:9]
	v_mad_co_u64_u32 v[13:14], null, s44, v25, 0
	v_add_nc_u32_e32 v24, 0x290, v18
	v_mad_co_u64_u32 v[16:17], null, s44, v26, 0
	s_wait_alu 0xfffd
	v_sub_co_ci_u32_e64 v153, null, v9, v5, vcc_lo
	v_sub_co_u32 v154, vcc_lo, v15, v4
	s_wait_alu 0xfffd
	v_sub_co_ci_u32_e64 v155, null, v10, v5, vcc_lo
	v_mov_b32_e32 v0, v14
	v_mad_co_u64_u32 v[9:10], null, s44, v24, 0
	v_add_nc_u32_e32 v27, 0x298, v18
	v_add_nc_u32_e32 v110, 0x2180, v18
	v_mov_b32_e32 v8, v17
	v_mad_co_u64_u32 v[11:12], null, s45, v25, v[0:1]
	s_delay_alu instid0(VALU_DEP_4)
	v_mad_co_u64_u32 v[17:18], null, s44, v27, 0
	v_mov_b32_e32 v0, v10
	v_sub_co_u32 v156, vcc_lo, v13, v4
	v_mad_co_u64_u32 v[14:15], null, s45, v26, v[8:9]
	s_wait_alu 0xfffd
	v_sub_co_ci_u32_e64 v157, null, v11, v5, vcc_lo
	v_mad_co_u64_u32 v[10:11], null, s45, v24, v[0:1]
	v_mov_b32_e32 v0, v18
	v_sub_co_u32 v158, vcc_lo, v16, v4
	s_wait_alu 0xfffd
	v_sub_co_ci_u32_e64 v159, null, v14, v5, vcc_lo
	s_delay_alu instid0(VALU_DEP_3)
	v_mad_co_u64_u32 v[11:12], null, s45, v27, v[0:1]
	v_sub_co_u32 v160, vcc_lo, v9, v4
	s_wait_alu 0xfffd
	v_sub_co_ci_u32_e64 v161, null, v10, v5, vcc_lo
	v_sub_co_u32 v162, vcc_lo, v17, v4
	s_mul_u64 s[54:55], s[20:21], s[18:19]
	v_lshlrev_b64_e32 v[58:59], 3, v[1:2]
	v_lshlrev_b64_e32 v[60:61], 3, v[6:7]
	v_add_nc_u32_e32 v100, 0x2380, v99
	v_cmp_gt_i32_e64 s1, s34, v3
	v_or_b32_e32 v115, 1, v108
	v_or_b32_e32 v116, 2, v108
	;; [unrolled: 1-line block ×3, first 2 shown]
	v_add_nc_u32_e32 v118, 16, v108
	v_add_nc_u32_e32 v120, 18, v108
	;; [unrolled: 1-line block ×6, first 2 shown]
	s_wait_alu 0xfffd
	v_sub_co_ci_u32_e64 v163, null, v11, v5, vcc_lo
	v_add_nc_u32_e32 v164, v112, v23
	v_add_nc_u32_e32 v165, v19, v20
	v_lshlrev_b32_e32 v166, 3, v3
	v_add_nc_u32_e32 v167, v19, v21
	v_add_nc_u32_e32 v168, v19, v22
	s_sub_nc_u64 s[58:59], 0, s[54:55]
	s_mul_u64 s[52:53], s[44:45], 0xc0
	s_cselect_b32 s31, -1, 0
	s_add_co_i32 s67, s30, -2
	s_and_b32 s68, s0, s60
	s_wait_alu 0xfffe
	s_sub_nc_u64 s[54:55], 0, s[34:35]
	s_add_co_i32 s69, s18, 64
	s_lshl_b64 s[44:45], s[44:45], 9
	s_lshl_b64 s[56:57], s[56:57], 3
	;; [unrolled: 1-line block ×3, first 2 shown]
	s_branch .LBB114_4
.LBB114_2:                              ;   in Loop: Header=BB114_4 Depth=1
	s_wait_alu 0xfffe
	s_or_b32 exec_lo, exec_lo, s18
.LBB114_3:                              ;   in Loop: Header=BB114_4 Depth=1
	s_add_co_i32 s28, s28, 0x10000
	s_delay_alu instid0(SALU_CYCLE_1)
	s_cmp_lt_u32 s28, s33
	s_cbranch_scc0 .LBB114_157
.LBB114_4:                              ; =>This Loop Header: Depth=1
                                        ;     Child Loop BB114_79 Depth 2
	s_mul_u64 s[18:19], s[38:39], s[28:29]
	s_wait_alu 0xfffe
	s_lshl_b64 s[18:19], s[18:19], 3
	s_wait_alu 0xfffe
	s_add_nc_u64 s[18:19], s[36:37], s[18:19]
	global_load_b64 v[0:1], v56, s[18:19]
	s_mov_b32 s19, -1
	s_wait_loadcnt 0x0
	v_or_b32_e32 v0, v0, v1
	s_delay_alu instid0(VALU_DEP_1) | instskip(NEXT) | instid1(VALU_DEP_1)
	v_and_b32_e32 v0, 0x7fffffff, v0
	v_cmp_ne_u32_e64 s18, 0, v0
	s_wait_alu 0xfffe
	s_and_b32 vcc_lo, exec_lo, s18
	s_wait_alu 0xfffe
	s_cbranch_vccnz .LBB114_6
; %bb.5:                                ;   in Loop: Header=BB114_4 Depth=1
	s_mul_u64 s[60:61], s[26:27], s[28:29]
	s_wait_alu 0xfffe
	s_lshl_b64 s[60:61], s[60:61], 3
	s_wait_alu 0xfffe
	s_add_nc_u64 s[60:61], s[24:25], s[60:61]
	global_load_b64 v[0:1], v56, s[60:61]
	s_wait_loadcnt 0x0
	v_cmp_neq_f32_e32 vcc_lo, 1.0, v0
	v_cmp_neq_f32_e64 s19, 0, v1
	s_or_b32 s19, vcc_lo, s19
.LBB114_6:                              ;   in Loop: Header=BB114_4 Depth=1
	s_wait_alu 0xfffe
	s_and_not1_b32 vcc_lo, exec_lo, s19
	s_wait_alu 0xfffe
	s_cbranch_vccnz .LBB114_3
; %bb.7:                                ;   in Loop: Header=BB114_4 Depth=1
	s_and_not1_b32 vcc_lo, exec_lo, s18
	s_wait_alu 0xfffe
	s_cbranch_vccnz .LBB114_3
; %bb.8:                                ;   in Loop: Header=BB114_4 Depth=1
	s_mul_u64 s[18:19], s[22:23], s[28:29]
	s_wait_alu 0xfffe
	s_lshl_b64 s[18:19], s[18:19], 3
	s_wait_alu 0xfffe
	v_add_co_u32 v12, vcc_lo, v97, s18
	s_wait_alu 0xfffd
	v_add_co_ci_u32_e64 v13, null, s19, v98, vcc_lo
	s_and_saveexec_b32 s18, s0
	s_cbranch_execz .LBB114_13
; %bb.9:                                ;   in Loop: Header=BB114_4 Depth=1
	s_and_saveexec_b32 s19, s66
	s_wait_alu 0xfffe
	s_xor_b32 s19, exec_lo, s19
; %bb.10:                               ;   in Loop: Header=BB114_4 Depth=1
	v_mov_b32_e32 v57, v56
	ds_store_b64 v100, v[56:57]
; %bb.11:                               ;   in Loop: Header=BB114_4 Depth=1
	s_wait_alu 0xfffe
	s_and_not1_saveexec_b32 s19, s19
	s_cbranch_execz .LBB114_13
; %bb.12:                               ;   in Loop: Header=BB114_4 Depth=1
	global_load_b64 v[0:1], v[12:13], off
	s_wait_loadcnt 0x0
	ds_store_b64 v100, v[0:1]
.LBB114_13:                             ;   in Loop: Header=BB114_4 Depth=1
	s_wait_alu 0xfffe
	s_or_b32 exec_lo, exec_lo, s18
	s_mul_u64 s[18:19], s[46:47], s[28:29]
                                        ; implicit-def: $vgpr0_vgpr1
	s_wait_alu 0xfffe
	s_lshl_b64 s[18:19], s[18:19], 3
	s_wait_alu 0xfffe
	v_add_co_u32 v2, vcc_lo, v101, s18
	s_wait_alu 0xfffd
	v_add_co_ci_u32_e64 v3, null, s19, v102, vcc_lo
	s_and_b32 vcc_lo, exec_lo, s65
	s_mov_b32 s18, -1
	s_wait_alu 0xfffe
	s_cbranch_vccz .LBB114_25
; %bb.14:                               ;   in Loop: Header=BB114_4 Depth=1
	s_and_saveexec_b32 s18, s2
	s_wait_alu 0xfffe
	s_xor_b32 s18, exec_lo, s18
; %bb.15:                               ;   in Loop: Header=BB114_4 Depth=1
	v_mov_b32_e32 v57, v56
	ds_store_b64 v165, v[56:57]
; %bb.16:                               ;   in Loop: Header=BB114_4 Depth=1
	s_wait_alu 0xfffe
	s_or_saveexec_b32 s18, s18
	v_add_co_u32 v0, vcc_lo, v2, v60
	s_wait_alu 0xfffd
	v_add_co_ci_u32_e64 v1, null, v3, v61, vcc_lo
	s_lshl_b64 s[60:61], s[34:35], 3
	s_wait_alu 0xfffe
	v_add_co_u32 v0, vcc_lo, v0, s60
	s_wait_alu 0xfffd
	v_add_co_ci_u32_e64 v1, null, s61, v1, vcc_lo
	s_delay_alu instid0(VALU_DEP_2) | instskip(SKIP_1) | instid1(VALU_DEP_2)
	v_add_co_u32 v0, vcc_lo, v0, -8
	s_wait_alu 0xfffd
	v_add_co_ci_u32_e64 v1, null, -1, v1, vcc_lo
	s_delay_alu instid0(VALU_DEP_2) | instskip(NEXT) | instid1(VALU_DEP_2)
	v_cndmask_b32_e64 v0, v0, v2, s1
	v_cndmask_b32_e64 v1, v1, v3, s1
	s_xor_b32 exec_lo, exec_lo, s18
	s_cbranch_execnz .LBB114_139
; %bb.17:                               ;   in Loop: Header=BB114_4 Depth=1
	s_or_b32 exec_lo, exec_lo, s18
	s_and_saveexec_b32 s18, s3
	s_wait_alu 0xfffe
	s_xor_b32 s18, exec_lo, s18
	s_cbranch_execnz .LBB114_140
.LBB114_18:                             ;   in Loop: Header=BB114_4 Depth=1
	s_wait_alu 0xfffe
	s_and_not1_saveexec_b32 s18, s18
	s_cbranch_execnz .LBB114_141
.LBB114_19:                             ;   in Loop: Header=BB114_4 Depth=1
	s_wait_alu 0xfffe
	s_or_b32 exec_lo, exec_lo, s18
	s_and_saveexec_b32 s18, s4
	s_wait_alu 0xfffe
	s_xor_b32 s18, exec_lo, s18
	s_cbranch_execnz .LBB114_142
.LBB114_20:                             ;   in Loop: Header=BB114_4 Depth=1
	s_wait_alu 0xfffe
	s_and_not1_saveexec_b32 s18, s18
	s_cbranch_execnz .LBB114_143
.LBB114_21:                             ;   in Loop: Header=BB114_4 Depth=1
	s_wait_alu 0xfffe
	s_or_b32 exec_lo, exec_lo, s18
	s_and_saveexec_b32 s18, s5
	s_wait_alu 0xfffe
	s_xor_b32 s18, exec_lo, s18
	s_cbranch_execnz .LBB114_144
.LBB114_22:                             ;   in Loop: Header=BB114_4 Depth=1
	s_wait_alu 0xfffe
	s_and_not1_saveexec_b32 s18, s18
	s_cbranch_execz .LBB114_24
.LBB114_23:                             ;   in Loop: Header=BB114_4 Depth=1
	v_add_co_u32 v4, vcc_lo, v0, s52
	s_wait_alu 0xfffd
	v_add_co_ci_u32_e64 v5, null, s53, v1, vcc_lo
	global_load_b64 v[4:5], v[4:5], off
	s_wait_loadcnt 0x0
	ds_store_b64 v165, v[4:5] offset:6336
.LBB114_24:                             ;   in Loop: Header=BB114_4 Depth=1
	s_wait_alu 0xfffe
	s_or_b32 exec_lo, exec_lo, s18
	v_add_co_u32 v0, vcc_lo, v0, v166
	s_wait_alu 0xfffd
	v_add_co_ci_u32_e64 v1, null, 0, v1, vcc_lo
	s_lshl_b64 s[18:19], s[54:55], 3
	s_wait_alu 0xfffe
	v_add_co_u32 v0, vcc_lo, v0, s18
	s_wait_alu 0xfffd
	v_add_co_ci_u32_e64 v1, null, s19, v1, vcc_lo
	s_mov_b32 s18, 0
	v_add_co_u32 v0, vcc_lo, v0, 8
	s_wait_alu 0xfffd
	v_add_co_ci_u32_e64 v1, null, 0, v1, vcc_lo
	s_delay_alu instid0(VALU_DEP_2) | instskip(NEXT) | instid1(VALU_DEP_2)
	v_cndmask_b32_e64 v0, v0, v2, s1
	v_cndmask_b32_e64 v1, v1, v3, s1
.LBB114_25:                             ;   in Loop: Header=BB114_4 Depth=1
	s_wait_alu 0xfffe
	s_and_b32 vcc_lo, exec_lo, s18
	s_wait_alu 0xfffe
	s_cbranch_vccz .LBB114_27
; %bb.26:                               ;   in Loop: Header=BB114_4 Depth=1
	v_add_co_u32 v0, vcc_lo, v2, s48
	s_wait_alu 0xfffd
	v_add_co_ci_u32_e64 v1, null, s49, v3, vcc_lo
	s_delay_alu instid0(VALU_DEP_2) | instskip(SKIP_1) | instid1(VALU_DEP_2)
	v_add_co_u32 v4, vcc_lo, v0, s48
	s_wait_alu 0xfffd
	v_add_co_ci_u32_e64 v5, null, s49, v1, vcc_lo
	s_delay_alu instid0(VALU_DEP_2) | instskip(SKIP_1) | instid1(VALU_DEP_2)
	v_add_co_u32 v6, vcc_lo, v4, s48
	s_wait_alu 0xfffd
	v_add_co_ci_u32_e64 v7, null, s49, v5, vcc_lo
	s_clause 0x3
	global_load_b64 v[8:9], v[2:3], off
	global_load_b64 v[10:11], v[0:1], off
	;; [unrolled: 1-line block ×4, first 2 shown]
	v_dual_mov_b32 v0, v2 :: v_dual_mov_b32 v1, v3
	s_wait_loadcnt 0x3
	ds_store_b64 v165, v[8:9]
	s_wait_loadcnt 0x2
	ds_store_b64 v165, v[10:11] offset:2112
	s_wait_loadcnt 0x1
	ds_store_b64 v165, v[4:5] offset:4224
	;; [unrolled: 2-line block ×3, first 2 shown]
.LBB114_27:                             ;   in Loop: Header=BB114_4 Depth=1
	s_wait_dscnt 0x0
	s_barrier_signal -1
	s_barrier_wait -1
	global_inv scope:SCOPE_SE
	s_and_saveexec_b32 s18, s6
	s_cbranch_execnz .LBB114_133
; %bb.28:                               ;   in Loop: Header=BB114_4 Depth=1
	s_wait_alu 0xfffe
	s_or_b32 exec_lo, exec_lo, s18
	s_and_saveexec_b32 s18, s7
	s_cbranch_execnz .LBB114_134
.LBB114_29:                             ;   in Loop: Header=BB114_4 Depth=1
	s_wait_alu 0xfffe
	s_or_b32 exec_lo, exec_lo, s18
	s_and_saveexec_b32 s18, s8
	s_cbranch_execnz .LBB114_135
.LBB114_30:                             ;   in Loop: Header=BB114_4 Depth=1
	s_wait_alu 0xfffe
	s_or_b32 exec_lo, exec_lo, s18
	s_and_saveexec_b32 s18, s9
	s_cbranch_execz .LBB114_32
.LBB114_31:                             ;   in Loop: Header=BB114_4 Depth=1
	ds_load_b64 v[2:3], v168 offset:528
	s_wait_dscnt 0x0
	ds_store_b64 v103, v[2:3] offset:24
.LBB114_32:                             ;   in Loop: Header=BB114_4 Depth=1
	s_wait_alu 0xfffe
	s_or_b32 exec_lo, exec_lo, s18
	s_wait_loadcnt_dscnt 0x0
	s_barrier_signal -1
	s_barrier_wait -1
	global_inv scope:SCOPE_SE
	ds_load_b64 v[10:11], v167
	ds_load_b128 v[2:5], v105
	ds_load_2addr_b64 v[6:9], v168 offset1:33
	ds_load_b128 v[14:17], v105 offset:16
	ds_load_b64 v[18:19], v168 offset:528
	s_wait_loadcnt_dscnt 0x0
	s_barrier_signal -1
	s_barrier_wait -1
	global_inv scope:SCOPE_SE
	v_dual_mov_b32 v63, 0 :: v_dual_mul_f32 v20, v3, v11
	v_dual_mul_f32 v11, v2, v11 :: v_dual_mul_f32 v22, v15, v9
	v_mul_f32_e32 v9, v14, v9
	s_delay_alu instid0(VALU_DEP_3) | instskip(SKIP_1) | instid1(VALU_DEP_4)
	v_fma_f32 v2, v2, v10, -v20
	v_mul_f32_e32 v21, v5, v7
	v_fmac_f32_e32 v11, v3, v10
	s_delay_alu instid0(VALU_DEP_4) | instskip(SKIP_3) | instid1(VALU_DEP_1)
	v_fmac_f32_e32 v9, v15, v8
	v_fma_f32 v10, v14, v8, -v22
	v_dual_add_f32 v2, 0, v2 :: v_dual_mul_f32 v7, v4, v7
	v_fma_f32 v4, v4, v6, -v21
	v_dual_add_f32 v2, v2, v4 :: v_dual_fmac_f32 v7, v5, v6
	v_mul_f32_e32 v6, v16, v19
	v_add_f32_e32 v5, 0, v11
	s_delay_alu instid0(VALU_DEP_3) | instskip(NEXT) | instid1(VALU_DEP_3)
	v_dual_mul_f32 v3, v17, v19 :: v_dual_add_f32 v2, v2, v10
	v_fmac_f32_e32 v6, v17, v18
	s_delay_alu instid0(VALU_DEP_3) | instskip(NEXT) | instid1(VALU_DEP_3)
	v_add_f32_e32 v4, v5, v7
	v_fma_f32 v3, v16, v18, -v3
	s_delay_alu instid0(VALU_DEP_2) | instskip(SKIP_1) | instid1(VALU_DEP_2)
	v_add_f32_e32 v4, v4, v9
	v_mov_b32_e32 v62, 0
	v_dual_add_f32 v2, v2, v3 :: v_dual_add_f32 v3, v4, v6
	ds_store_b64 v106, v[2:3]
	s_wait_loadcnt_dscnt 0x0
	s_barrier_signal -1
	s_barrier_wait -1
	global_inv scope:SCOPE_SE
	s_and_saveexec_b32 s18, s10
	s_cbranch_execz .LBB114_34
; %bb.33:                               ;   in Loop: Header=BB114_4 Depth=1
	ds_load_2addr_b64 v[2:5], v104 offset1:7
	ds_load_2addr_b64 v[6:9], v104 offset0:1 offset1:2
	ds_load_2addr_b64 v[14:17], v104 offset0:3 offset1:4
	;; [unrolled: 1-line block ×3, first 2 shown]
	s_wait_dscnt 0x2
	v_dual_add_f32 v2, v6, v2 :: v_dual_add_f32 v3, v7, v3
	s_delay_alu instid0(VALU_DEP_1) | instskip(SKIP_1) | instid1(VALU_DEP_1)
	v_dual_add_f32 v2, v8, v2 :: v_dual_add_f32 v3, v9, v3
	s_wait_dscnt 0x1
	v_dual_add_f32 v2, v2, v14 :: v_dual_add_f32 v3, v3, v15
	s_delay_alu instid0(VALU_DEP_1) | instskip(SKIP_1) | instid1(VALU_DEP_1)
	v_dual_add_f32 v2, v2, v16 :: v_dual_add_f32 v3, v3, v17
	s_wait_dscnt 0x0
	v_dual_add_f32 v2, v2, v18 :: v_dual_add_f32 v3, v3, v19
	s_delay_alu instid0(VALU_DEP_1) | instskip(NEXT) | instid1(VALU_DEP_1)
	v_dual_add_f32 v2, v2, v20 :: v_dual_add_f32 v3, v3, v21
	v_dual_add_f32 v62, v2, v4 :: v_dual_add_f32 v63, v3, v5
.LBB114_34:                             ;   in Loop: Header=BB114_4 Depth=1
	s_wait_alu 0xfffe
	s_or_b32 exec_lo, exec_lo, s18
	v_add_co_u32 v4, vcc_lo, v0, s56
	s_wait_alu 0xfffd
	v_add_co_ci_u32_e64 v5, null, s57, v1, vcc_lo
	s_mov_b32 s18, -1
	v_add_co_u32 v2, vcc_lo, 0x100, v4
	s_wait_alu 0xfffd
	v_add_co_ci_u32_e64 v3, null, 0, v5, vcc_lo
	s_and_b32 vcc_lo, exec_lo, s65
	s_wait_loadcnt 0x0
	s_barrier_signal -1
	s_barrier_wait -1
	global_inv scope:SCOPE_SE
                                        ; implicit-def: $vgpr0_vgpr1
	s_wait_alu 0xfffe
	s_cbranch_vccz .LBB114_46
; %bb.35:                               ;   in Loop: Header=BB114_4 Depth=1
	s_and_saveexec_b32 s18, s12
	s_wait_alu 0xfffe
	s_xor_b32 s18, exec_lo, s18
; %bb.36:                               ;   in Loop: Header=BB114_4 Depth=1
	v_mov_b32_e32 v57, v56
	ds_store_b64 v165, v[56:57]
; %bb.37:                               ;   in Loop: Header=BB114_4 Depth=1
	s_wait_alu 0xfffe
	s_or_saveexec_b32 s18, s18
	v_add_co_u32 v0, vcc_lo, v4, v60
	s_wait_alu 0xfffd
	v_add_co_ci_u32_e64 v1, null, v5, v61, vcc_lo
	s_lshl_b64 s[60:61], s[34:35], 3
	s_wait_alu 0xfffe
	v_add_co_u32 v0, vcc_lo, v0, s60
	s_wait_alu 0xfffd
	v_add_co_ci_u32_e64 v1, null, s61, v1, vcc_lo
	s_delay_alu instid0(VALU_DEP_2) | instskip(SKIP_1) | instid1(VALU_DEP_2)
	v_add_co_u32 v0, vcc_lo, v0, -8
	s_wait_alu 0xfffd
	v_add_co_ci_u32_e64 v1, null, -1, v1, vcc_lo
	s_delay_alu instid0(VALU_DEP_2) | instskip(NEXT) | instid1(VALU_DEP_2)
	v_cndmask_b32_e64 v0, v0, v2, s11
	v_cndmask_b32_e64 v1, v1, v3, s11
	s_xor_b32 exec_lo, exec_lo, s18
	s_cbranch_execnz .LBB114_145
; %bb.38:                               ;   in Loop: Header=BB114_4 Depth=1
	s_or_b32 exec_lo, exec_lo, s18
	s_and_saveexec_b32 s18, s13
	s_wait_alu 0xfffe
	s_xor_b32 s18, exec_lo, s18
	s_cbranch_execnz .LBB114_146
.LBB114_39:                             ;   in Loop: Header=BB114_4 Depth=1
	s_wait_alu 0xfffe
	s_and_not1_saveexec_b32 s18, s18
	s_cbranch_execnz .LBB114_147
.LBB114_40:                             ;   in Loop: Header=BB114_4 Depth=1
	s_wait_alu 0xfffe
	s_or_b32 exec_lo, exec_lo, s18
	s_and_saveexec_b32 s18, s14
	s_wait_alu 0xfffe
	s_xor_b32 s18, exec_lo, s18
	s_cbranch_execnz .LBB114_148
.LBB114_41:                             ;   in Loop: Header=BB114_4 Depth=1
	s_wait_alu 0xfffe
	s_and_not1_saveexec_b32 s18, s18
	s_cbranch_execnz .LBB114_149
.LBB114_42:                             ;   in Loop: Header=BB114_4 Depth=1
	s_wait_alu 0xfffe
	s_or_b32 exec_lo, exec_lo, s18
	s_and_saveexec_b32 s18, s15
	s_wait_alu 0xfffe
	s_xor_b32 s18, exec_lo, s18
	s_cbranch_execnz .LBB114_150
.LBB114_43:                             ;   in Loop: Header=BB114_4 Depth=1
	s_wait_alu 0xfffe
	s_and_not1_saveexec_b32 s18, s18
	s_cbranch_execz .LBB114_45
.LBB114_44:                             ;   in Loop: Header=BB114_4 Depth=1
	v_add_co_u32 v6, vcc_lo, v0, s52
	s_wait_alu 0xfffd
	v_add_co_ci_u32_e64 v7, null, s53, v1, vcc_lo
	global_load_b64 v[6:7], v[6:7], off
	s_wait_loadcnt 0x0
	ds_store_b64 v165, v[6:7] offset:6336
.LBB114_45:                             ;   in Loop: Header=BB114_4 Depth=1
	s_wait_alu 0xfffe
	s_or_b32 exec_lo, exec_lo, s18
	v_add_co_u32 v0, vcc_lo, v0, v166
	s_wait_alu 0xfffd
	v_add_co_ci_u32_e64 v1, null, 0, v1, vcc_lo
	s_lshl_b64 s[18:19], s[54:55], 3
	s_wait_alu 0xfffe
	v_add_co_u32 v0, vcc_lo, v0, s18
	s_wait_alu 0xfffd
	v_add_co_ci_u32_e64 v1, null, s19, v1, vcc_lo
	s_mov_b32 s18, 0
	v_add_co_u32 v0, vcc_lo, 0x108, v0
	s_wait_alu 0xfffd
	v_add_co_ci_u32_e64 v1, null, 0, v1, vcc_lo
	s_delay_alu instid0(VALU_DEP_2) | instskip(NEXT) | instid1(VALU_DEP_2)
	v_cndmask_b32_e64 v0, v0, v2, s11
	v_cndmask_b32_e64 v1, v1, v3, s11
.LBB114_46:                             ;   in Loop: Header=BB114_4 Depth=1
	s_wait_alu 0xfffe
	s_and_b32 vcc_lo, exec_lo, s18
	s_wait_alu 0xfffe
	s_cbranch_vccz .LBB114_48
; %bb.47:                               ;   in Loop: Header=BB114_4 Depth=1
	v_add_co_u32 v0, vcc_lo, v4, s48
	s_wait_alu 0xfffd
	v_add_co_ci_u32_e64 v1, null, s49, v5, vcc_lo
	s_delay_alu instid0(VALU_DEP_2) | instskip(SKIP_1) | instid1(VALU_DEP_2)
	v_add_co_u32 v6, vcc_lo, v0, s48
	s_wait_alu 0xfffd
	v_add_co_ci_u32_e64 v7, null, s49, v1, vcc_lo
	s_delay_alu instid0(VALU_DEP_2) | instskip(SKIP_1) | instid1(VALU_DEP_2)
	v_add_co_u32 v8, vcc_lo, v6, s48
	s_wait_alu 0xfffd
	v_add_co_ci_u32_e64 v9, null, s49, v7, vcc_lo
	s_clause 0x3
	global_load_b64 v[4:5], v[4:5], off offset:256
	global_load_b64 v[10:11], v[0:1], off offset:256
	;; [unrolled: 1-line block ×4, first 2 shown]
	v_dual_mov_b32 v0, v2 :: v_dual_mov_b32 v1, v3
	s_wait_loadcnt 0x3
	ds_store_b64 v165, v[4:5]
	s_wait_loadcnt 0x2
	ds_store_b64 v165, v[10:11] offset:2112
	s_wait_loadcnt 0x1
	ds_store_b64 v165, v[6:7] offset:4224
	;; [unrolled: 2-line block ×3, first 2 shown]
.LBB114_48:                             ;   in Loop: Header=BB114_4 Depth=1
	s_wait_loadcnt_dscnt 0x0
	s_barrier_signal -1
	s_barrier_wait -1
	global_inv scope:SCOPE_SE
	s_and_saveexec_b32 s18, s6
	s_cbranch_execnz .LBB114_136
; %bb.49:                               ;   in Loop: Header=BB114_4 Depth=1
	s_wait_alu 0xfffe
	s_or_b32 exec_lo, exec_lo, s18
	s_and_saveexec_b32 s18, s7
	s_cbranch_execnz .LBB114_137
.LBB114_50:                             ;   in Loop: Header=BB114_4 Depth=1
	s_wait_alu 0xfffe
	s_or_b32 exec_lo, exec_lo, s18
	s_and_saveexec_b32 s18, s8
	s_cbranch_execnz .LBB114_138
.LBB114_51:                             ;   in Loop: Header=BB114_4 Depth=1
	s_wait_alu 0xfffe
	s_or_b32 exec_lo, exec_lo, s18
	s_and_saveexec_b32 s18, s9
	s_cbranch_execz .LBB114_53
.LBB114_52:                             ;   in Loop: Header=BB114_4 Depth=1
	ds_load_b64 v[2:3], v168 offset:528
	s_wait_dscnt 0x0
	ds_store_b64 v103, v[2:3] offset:24
.LBB114_53:                             ;   in Loop: Header=BB114_4 Depth=1
	s_wait_alu 0xfffe
	s_or_b32 exec_lo, exec_lo, s18
	s_wait_loadcnt_dscnt 0x0
	s_barrier_signal -1
	s_barrier_wait -1
	global_inv scope:SCOPE_SE
	ds_load_b64 v[10:11], v167
	ds_load_b128 v[2:5], v105 offset:256
	ds_load_2addr_b64 v[6:9], v168 offset1:33
	ds_load_b128 v[14:17], v105 offset:272
	ds_load_b64 v[18:19], v168 offset:528
	s_wait_loadcnt_dscnt 0x0
	s_barrier_signal -1
	s_barrier_wait -1
	global_inv scope:SCOPE_SE
	v_mul_f32_e32 v20, v3, v11
	v_dual_mul_f32 v11, v2, v11 :: v_dual_mul_f32 v22, v15, v9
	v_mul_f32_e32 v9, v14, v9
	s_delay_alu instid0(VALU_DEP_3) | instskip(SKIP_1) | instid1(VALU_DEP_4)
	v_fma_f32 v2, v2, v10, -v20
	v_mul_f32_e32 v21, v5, v7
	v_fmac_f32_e32 v11, v3, v10
	s_delay_alu instid0(VALU_DEP_4) | instskip(SKIP_3) | instid1(VALU_DEP_1)
	v_fmac_f32_e32 v9, v15, v8
	v_fma_f32 v10, v14, v8, -v22
	v_dual_add_f32 v2, 0, v2 :: v_dual_mul_f32 v7, v4, v7
	v_fma_f32 v4, v4, v6, -v21
	v_dual_add_f32 v2, v2, v4 :: v_dual_fmac_f32 v7, v5, v6
	v_mul_f32_e32 v6, v16, v19
	v_add_f32_e32 v5, 0, v11
	s_delay_alu instid0(VALU_DEP_3) | instskip(NEXT) | instid1(VALU_DEP_3)
	v_dual_mul_f32 v3, v17, v19 :: v_dual_add_f32 v2, v2, v10
	v_fmac_f32_e32 v6, v17, v18
	s_delay_alu instid0(VALU_DEP_3) | instskip(NEXT) | instid1(VALU_DEP_3)
	v_add_f32_e32 v4, v5, v7
	v_fma_f32 v3, v16, v18, -v3
	s_delay_alu instid0(VALU_DEP_2) | instskip(NEXT) | instid1(VALU_DEP_1)
	v_add_f32_e32 v4, v4, v9
	v_dual_add_f32 v2, v2, v3 :: v_dual_add_f32 v3, v4, v6
	ds_store_b64 v106, v[2:3]
	s_wait_loadcnt_dscnt 0x0
	s_barrier_signal -1
	s_barrier_wait -1
	global_inv scope:SCOPE_SE
	s_and_saveexec_b32 s18, s16
	s_cbranch_execz .LBB114_55
; %bb.54:                               ;   in Loop: Header=BB114_4 Depth=1
	ds_load_2addr_b64 v[2:5], v104 offset1:7
	ds_load_2addr_b64 v[6:9], v104 offset0:1 offset1:2
	ds_load_2addr_b64 v[14:17], v104 offset0:3 offset1:4
	;; [unrolled: 1-line block ×3, first 2 shown]
	s_wait_dscnt 0x2
	v_dual_add_f32 v2, v6, v2 :: v_dual_add_f32 v3, v7, v3
	s_delay_alu instid0(VALU_DEP_1) | instskip(SKIP_1) | instid1(VALU_DEP_1)
	v_dual_add_f32 v2, v8, v2 :: v_dual_add_f32 v3, v9, v3
	s_wait_dscnt 0x1
	v_dual_add_f32 v2, v2, v14 :: v_dual_add_f32 v3, v3, v15
	s_delay_alu instid0(VALU_DEP_1) | instskip(SKIP_1) | instid1(VALU_DEP_1)
	v_dual_add_f32 v2, v2, v16 :: v_dual_add_f32 v3, v3, v17
	s_wait_dscnt 0x0
	v_dual_add_f32 v2, v2, v18 :: v_dual_add_f32 v3, v3, v19
	s_delay_alu instid0(VALU_DEP_1) | instskip(NEXT) | instid1(VALU_DEP_1)
	v_dual_add_f32 v2, v2, v20 :: v_dual_add_f32 v3, v3, v21
	v_dual_add_f32 v62, v2, v4 :: v_dual_add_f32 v63, v3, v5
.LBB114_55:                             ;   in Loop: Header=BB114_4 Depth=1
	s_wait_alu 0xfffe
	s_or_b32 exec_lo, exec_lo, s18
	v_add_co_u32 v2, vcc_lo, 0xffffff00, v0
	s_wait_alu 0xfffd
	v_add_co_ci_u32_e64 v3, null, -1, v1, vcc_lo
	s_and_b32 vcc_lo, exec_lo, s65
	s_mov_b32 s18, -1
	s_wait_loadcnt 0x0
	s_barrier_signal -1
	s_barrier_wait -1
	global_inv scope:SCOPE_SE
                                        ; implicit-def: $vgpr14_vgpr15
	s_wait_alu 0xfffe
	s_cbranch_vccz .LBB114_67
; %bb.56:                               ;   in Loop: Header=BB114_4 Depth=1
	s_and_saveexec_b32 s18, s12
	s_wait_alu 0xfffe
	s_xor_b32 s18, exec_lo, s18
; %bb.57:                               ;   in Loop: Header=BB114_4 Depth=1
	v_mov_b32_e32 v57, v56
	ds_store_b64 v165, v[56:57]
; %bb.58:                               ;   in Loop: Header=BB114_4 Depth=1
	s_wait_alu 0xfffe
	s_or_saveexec_b32 s18, s18
	v_add_co_u32 v4, vcc_lo, v0, v60
	s_wait_alu 0xfffd
	v_add_co_ci_u32_e64 v5, null, v1, v61, vcc_lo
	s_lshl_b64 s[60:61], s[34:35], 3
	s_wait_alu 0xfffe
	v_add_co_u32 v4, vcc_lo, v4, s60
	s_wait_alu 0xfffd
	v_add_co_ci_u32_e64 v5, null, s61, v5, vcc_lo
	s_delay_alu instid0(VALU_DEP_2) | instskip(SKIP_1) | instid1(VALU_DEP_2)
	v_add_co_u32 v4, vcc_lo, 0xfffffef8, v4
	s_wait_alu 0xfffd
	v_add_co_ci_u32_e64 v5, null, -1, v5, vcc_lo
	s_delay_alu instid0(VALU_DEP_2) | instskip(NEXT) | instid1(VALU_DEP_2)
	v_cndmask_b32_e64 v4, v4, v2, s1
	v_cndmask_b32_e64 v5, v5, v3, s1
	s_xor_b32 exec_lo, exec_lo, s18
	s_cbranch_execnz .LBB114_151
; %bb.59:                               ;   in Loop: Header=BB114_4 Depth=1
	s_or_b32 exec_lo, exec_lo, s18
	s_and_saveexec_b32 s18, s13
	s_wait_alu 0xfffe
	s_xor_b32 s18, exec_lo, s18
	s_cbranch_execnz .LBB114_152
.LBB114_60:                             ;   in Loop: Header=BB114_4 Depth=1
	s_wait_alu 0xfffe
	s_and_not1_saveexec_b32 s18, s18
	s_cbranch_execnz .LBB114_153
.LBB114_61:                             ;   in Loop: Header=BB114_4 Depth=1
	s_wait_alu 0xfffe
	s_or_b32 exec_lo, exec_lo, s18
	s_and_saveexec_b32 s18, s14
	s_wait_alu 0xfffe
	s_xor_b32 s18, exec_lo, s18
	s_cbranch_execnz .LBB114_154
.LBB114_62:                             ;   in Loop: Header=BB114_4 Depth=1
	s_wait_alu 0xfffe
	s_and_not1_saveexec_b32 s18, s18
	s_cbranch_execnz .LBB114_155
.LBB114_63:                             ;   in Loop: Header=BB114_4 Depth=1
	s_wait_alu 0xfffe
	s_or_b32 exec_lo, exec_lo, s18
	s_and_saveexec_b32 s18, s15
	s_wait_alu 0xfffe
	s_xor_b32 s18, exec_lo, s18
	s_cbranch_execnz .LBB114_156
.LBB114_64:                             ;   in Loop: Header=BB114_4 Depth=1
	s_wait_alu 0xfffe
	s_and_not1_saveexec_b32 s18, s18
	s_cbranch_execz .LBB114_66
.LBB114_65:                             ;   in Loop: Header=BB114_4 Depth=1
	v_add_co_u32 v6, vcc_lo, v4, s52
	s_wait_alu 0xfffd
	v_add_co_ci_u32_e64 v7, null, s53, v5, vcc_lo
	global_load_b64 v[6:7], v[6:7], off
	s_wait_loadcnt 0x0
	ds_store_b64 v165, v[6:7] offset:6336
.LBB114_66:                             ;   in Loop: Header=BB114_4 Depth=1
	s_wait_alu 0xfffe
	s_or_b32 exec_lo, exec_lo, s18
	v_add_co_u32 v4, vcc_lo, v4, v166
	s_wait_alu 0xfffd
	v_add_co_ci_u32_e64 v5, null, 0, v5, vcc_lo
	s_lshl_b64 s[18:19], s[54:55], 3
	s_wait_alu 0xfffe
	v_add_co_u32 v4, vcc_lo, v4, s18
	s_wait_alu 0xfffd
	v_add_co_ci_u32_e64 v5, null, s19, v5, vcc_lo
	s_mov_b32 s18, 0
	v_add_co_u32 v4, vcc_lo, v4, 8
	s_wait_alu 0xfffd
	v_add_co_ci_u32_e64 v5, null, 0, v5, vcc_lo
	s_delay_alu instid0(VALU_DEP_2) | instskip(NEXT) | instid1(VALU_DEP_2)
	v_cndmask_b32_e64 v14, v4, v2, s1
	v_cndmask_b32_e64 v15, v5, v3, s1
.LBB114_67:                             ;   in Loop: Header=BB114_4 Depth=1
	s_wait_alu 0xfffe
	s_and_b32 vcc_lo, exec_lo, s18
	s_wait_alu 0xfffe
	s_cbranch_vccz .LBB114_69
; %bb.68:                               ;   in Loop: Header=BB114_4 Depth=1
	v_add_co_u32 v4, vcc_lo, v0, s48
	s_wait_alu 0xfffd
	v_add_co_ci_u32_e64 v5, null, s49, v1, vcc_lo
	v_dual_mov_b32 v15, v3 :: v_dual_mov_b32 v14, v2
	s_delay_alu instid0(VALU_DEP_3) | instskip(SKIP_1) | instid1(VALU_DEP_3)
	v_add_co_u32 v6, vcc_lo, v4, s48
	s_wait_alu 0xfffd
	v_add_co_ci_u32_e64 v7, null, s49, v5, vcc_lo
	s_delay_alu instid0(VALU_DEP_2) | instskip(SKIP_1) | instid1(VALU_DEP_2)
	v_add_co_u32 v8, vcc_lo, v6, s48
	s_wait_alu 0xfffd
	v_add_co_ci_u32_e64 v9, null, s49, v7, vcc_lo
	s_clause 0x3
	global_load_b64 v[0:1], v[0:1], off offset:-256
	global_load_b64 v[4:5], v[4:5], off offset:-256
	;; [unrolled: 1-line block ×4, first 2 shown]
	s_wait_loadcnt 0x3
	ds_store_b64 v165, v[0:1]
	s_wait_loadcnt 0x2
	ds_store_b64 v165, v[4:5] offset:2112
	s_wait_loadcnt 0x1
	ds_store_b64 v165, v[6:7] offset:4224
	;; [unrolled: 2-line block ×3, first 2 shown]
.LBB114_69:                             ;   in Loop: Header=BB114_4 Depth=1
	v_add_nc_u32_e32 v0, v103, v107
	v_add_nc_u32_e32 v1, v105, v107
	s_wait_loadcnt_dscnt 0x0
	s_barrier_signal -1
	s_barrier_wait -1
	global_inv scope:SCOPE_SE
	ds_load_2addr_b64 v[20:23], v106 offset0:8 offset1:16
	ds_load_2addr_b64 v[24:27], v131 offset0:8 offset1:16
	ds_load_b64 v[28:29], v0
	ds_load_b64 v[30:31], v1
	ds_load_b64 v[32:33], v106 offset:192
	ds_load_b64 v[34:35], v131 offset:192
	ds_load_b128 v[8:11], v105 offset:256
	ds_load_b128 v[0:3], v105 offset:272
	ds_load_2addr_b64 v[4:7], v168 offset1:33
	ds_load_b64 v[18:19], v167
	ds_load_b64 v[16:17], v168 offset:528
	s_wait_loadcnt_dscnt 0x0
	s_barrier_signal -1
	s_barrier_wait -1
	global_inv scope:SCOPE_SE
	v_mul_f32_e32 v36, v25, v21
	v_dual_mul_f32 v38, v27, v23 :: v_dual_mul_f32 v21, v24, v21
	v_mul_f32_e32 v23, v26, v23
	s_delay_alu instid0(VALU_DEP_3) | instskip(SKIP_4) | instid1(VALU_DEP_4)
	v_fma_f32 v24, v24, v20, -v36
	v_mul_f32_e32 v37, v31, v29
	v_mul_f32_e32 v29, v30, v29
	v_fmac_f32_e32 v21, v25, v20
	v_fma_f32 v26, v26, v22, -v38
	v_fma_f32 v30, v30, v28, -v37
	s_delay_alu instid0(VALU_DEP_4) | instskip(SKIP_1) | instid1(VALU_DEP_3)
	v_fmac_f32_e32 v29, v31, v28
	v_mul_f32_e32 v28, v35, v33
	v_add_f32_e32 v20, 0, v30
	s_delay_alu instid0(VALU_DEP_1) | instskip(NEXT) | instid1(VALU_DEP_3)
	v_add_f32_e32 v20, v20, v24
	v_fma_f32 v24, v34, v32, -v28
	s_delay_alu instid0(VALU_DEP_2) | instskip(SKIP_1) | instid1(VALU_DEP_2)
	v_add_f32_e32 v20, v20, v26
	v_dual_fmac_f32 v23, v27, v22 :: v_dual_mul_f32 v22, v34, v33
	v_dual_add_f32 v25, 0, v29 :: v_dual_add_f32 v20, v20, v24
	s_delay_alu instid0(VALU_DEP_1) | instskip(NEXT) | instid1(VALU_DEP_1)
	v_dual_fmac_f32 v22, v35, v32 :: v_dual_add_f32 v21, v25, v21
	v_add_f32_e32 v21, v21, v23
	s_delay_alu instid0(VALU_DEP_1)
	v_add_f32_e32 v21, v21, v22
	ds_store_b64 v106, v[20:21]
	s_wait_loadcnt_dscnt 0x0
	s_barrier_signal -1
	s_barrier_wait -1
	global_inv scope:SCOPE_SE
	s_and_saveexec_b32 s18, s16
	s_cbranch_execz .LBB114_71
; %bb.70:                               ;   in Loop: Header=BB114_4 Depth=1
	ds_load_2addr_b64 v[20:23], v104 offset1:1
	ds_load_2addr_b64 v[24:27], v104 offset0:2 offset1:3
	ds_load_2addr_b64 v[28:31], v104 offset0:4 offset1:5
	s_wait_dscnt 0x2
	v_dual_add_f32 v20, v62, v20 :: v_dual_add_f32 v21, v63, v21
	s_delay_alu instid0(VALU_DEP_1) | instskip(SKIP_3) | instid1(VALU_DEP_1)
	v_dual_add_f32 v32, v20, v22 :: v_dual_add_f32 v33, v21, v23
	ds_load_2addr_b64 v[20:23], v104 offset0:6 offset1:7
	s_wait_dscnt 0x2
	v_dual_add_f32 v24, v32, v24 :: v_dual_add_f32 v25, v33, v25
	v_dual_add_f32 v24, v24, v26 :: v_dual_add_f32 v25, v25, v27
	s_wait_dscnt 0x1
	s_delay_alu instid0(VALU_DEP_1) | instskip(NEXT) | instid1(VALU_DEP_1)
	v_dual_add_f32 v24, v24, v28 :: v_dual_add_f32 v25, v25, v29
	v_dual_add_f32 v24, v24, v30 :: v_dual_add_f32 v25, v25, v31
	s_wait_dscnt 0x0
	s_delay_alu instid0(VALU_DEP_1) | instskip(NEXT) | instid1(VALU_DEP_1)
	v_dual_add_f32 v20, v24, v20 :: v_dual_add_f32 v21, v25, v21
	v_dual_add_f32 v62, v20, v22 :: v_dual_add_f32 v63, v21, v23
.LBB114_71:                             ;   in Loop: Header=BB114_4 Depth=1
	s_wait_alu 0xfffe
	s_or_b32 exec_lo, exec_lo, s18
	v_dual_mul_f32 v20, v9, v19 :: v_dual_mul_f32 v21, v11, v5
	v_mul_f32_e32 v19, v8, v19
	v_dual_mul_f32 v5, v10, v5 :: v_dual_mul_f32 v22, v1, v7
	s_delay_alu instid0(VALU_DEP_3) | instskip(NEXT) | instid1(VALU_DEP_4)
	v_fma_f32 v8, v8, v18, -v20
	v_fma_f32 v10, v10, v4, -v21
	v_mul_f32_e32 v7, v0, v7
	s_wait_loadcnt 0x0
	v_fma_f32 v0, v0, v6, -v22
	v_add_f32_e32 v8, 0, v8
	v_fmac_f32_e32 v5, v11, v4
	v_fmac_f32_e32 v7, v1, v6
	s_barrier_signal -1
	s_barrier_wait -1
	v_add_f32_e32 v8, v8, v10
	v_fmac_f32_e32 v19, v9, v18
	global_inv scope:SCOPE_SE
	v_dual_add_f32 v0, v8, v0 :: v_dual_mul_f32 v9, v3, v17
	v_dual_add_f32 v4, 0, v19 :: v_dual_mul_f32 v11, v2, v17
	s_delay_alu instid0(VALU_DEP_2) | instskip(NEXT) | instid1(VALU_DEP_2)
	v_fma_f32 v2, v2, v16, -v9
	v_add_f32_e32 v1, v4, v5
	s_delay_alu instid0(VALU_DEP_2) | instskip(NEXT) | instid1(VALU_DEP_2)
	v_dual_add_f32 v0, v0, v2 :: v_dual_fmac_f32 v11, v3, v16
	v_add_f32_e32 v1, v1, v7
	s_delay_alu instid0(VALU_DEP_1)
	v_add_f32_e32 v1, v1, v11
	ds_store_b64 v106, v[0:1]
	s_wait_loadcnt_dscnt 0x0
	s_barrier_signal -1
	s_barrier_wait -1
	global_inv scope:SCOPE_SE
	s_and_saveexec_b32 s18, s10
	s_cbranch_execz .LBB114_73
; %bb.72:                               ;   in Loop: Header=BB114_4 Depth=1
	ds_load_2addr_b64 v[0:3], v104 offset1:1
	ds_load_2addr_b64 v[4:7], v104 offset0:2 offset1:3
	ds_load_2addr_b64 v[8:11], v104 offset0:4 offset1:5
	s_wait_dscnt 0x2
	v_dual_add_f32 v0, v62, v0 :: v_dual_add_f32 v1, v63, v1
	s_delay_alu instid0(VALU_DEP_1) | instskip(SKIP_3) | instid1(VALU_DEP_1)
	v_dual_add_f32 v16, v0, v2 :: v_dual_add_f32 v17, v1, v3
	ds_load_2addr_b64 v[0:3], v104 offset0:6 offset1:7
	s_wait_dscnt 0x2
	v_dual_add_f32 v4, v16, v4 :: v_dual_add_f32 v5, v17, v5
	v_dual_add_f32 v4, v4, v6 :: v_dual_add_f32 v5, v5, v7
	s_wait_dscnt 0x1
	s_delay_alu instid0(VALU_DEP_1) | instskip(NEXT) | instid1(VALU_DEP_1)
	v_dual_add_f32 v4, v4, v8 :: v_dual_add_f32 v5, v5, v9
	v_dual_add_f32 v4, v4, v10 :: v_dual_add_f32 v5, v5, v11
	s_wait_dscnt 0x0
	s_delay_alu instid0(VALU_DEP_1) | instskip(NEXT) | instid1(VALU_DEP_1)
	v_dual_add_f32 v0, v4, v0 :: v_dual_add_f32 v1, v5, v1
	v_dual_add_f32 v62, v0, v2 :: v_dual_add_f32 v63, v1, v3
.LBB114_73:                             ;   in Loop: Header=BB114_4 Depth=1
	s_wait_alu 0xfffe
	s_or_b32 exec_lo, exec_lo, s18
	s_mul_u64 s[18:19], s[40:41], s[28:29]
	s_and_not1_b32 vcc_lo, exec_lo, s31
	s_wait_alu 0xfffe
	s_lshl_b64 s[18:19], s[18:19], 3
	s_wait_loadcnt 0x0
	s_wait_alu 0xfffe
	s_add_nc_u64 s[60:61], s[42:43], s[18:19]
	s_barrier_signal -1
	s_barrier_wait -1
	global_inv scope:SCOPE_SE
	s_cbranch_vccnz .LBB114_131
; %bb.74:                               ;   in Loop: Header=BB114_4 Depth=1
	v_add_co_u32 v169, vcc_lo, v12, s58
	s_wait_alu 0xfffd
	v_add_co_ci_u32_e64 v170, null, s59, v13, vcc_lo
	v_add_co_u32 v171, vcc_lo, v14, v132
	s_wait_alu 0xfffd
	v_add_co_ci_u32_e64 v172, null, v15, v133, vcc_lo
	;; [unrolled: 3-line block ×17, first 2 shown]
	s_mov_b32 s19, ttmp9
	s_mov_b32 s62, s69
	s_wait_alu 0xfffe
	s_cmp_eq_u32 s67, s19
	s_cselect_b32 s70, s64, 0
	s_and_saveexec_b32 s18, s0
	s_cbranch_execz .LBB114_79
.LBB114_75:                             ;   in Loop: Header=BB114_4 Depth=1
	s_wait_alu 0xfffe
	v_cmp_le_i32_e32 vcc_lo, s70, v96
	s_cmp_lg_u32 s70, 0
	s_cselect_b32 s63, -1, 0
	s_wait_alu 0xfffe
	s_and_b32 s63, s63, vcc_lo
	s_wait_alu 0xfffe
	s_and_saveexec_b32 s71, s63
	s_wait_alu 0xfffe
	s_xor_b32 s63, exec_lo, s71
; %bb.76:                               ;   in Loop: Header=BB114_4 Depth=1
	v_mov_b32_e32 v57, v56
	ds_store_b64 v109, v[56:57]
; %bb.77:                               ;   in Loop: Header=BB114_4 Depth=1
	s_wait_alu 0xfffe
	s_and_not1_saveexec_b32 s63, s63
	s_cbranch_execz .LBB114_79
; %bb.78:                               ;   in Loop: Header=BB114_4 Depth=1
	s_ashr_i32 s63, s62, 31
	s_wait_alu 0xfffe
	s_mul_u64 s[72:73], s[20:21], s[62:63]
	s_wait_alu 0xfffe
	s_lshl_b64 s[72:73], s[72:73], 3
	s_wait_alu 0xfffe
	v_add_co_u32 v0, vcc_lo, v169, s72
	s_wait_alu 0xfffd
	v_add_co_ci_u32_e64 v1, null, s73, v170, vcc_lo
	global_load_b64 v[0:1], v[0:1], off
	s_wait_loadcnt 0x0
	ds_store_b64 v109, v[0:1]
.LBB114_79:                             ;   Parent Loop BB114_4 Depth=1
                                        ; =>  This Inner Loop Header: Depth=2
	s_wait_alu 0xfffe
	s_or_b32 exec_lo, exec_lo, s18
	s_cmp_eq_u32 s70, 0
	v_add_co_u32 v0, vcc_lo, v171, v99
	s_cselect_b32 s63, -1, 0
	s_cmp_lg_u32 s70, 0
	s_wait_alu 0xfffd
	v_add_co_ci_u32_e64 v1, null, 0, v172, vcc_lo
	s_cselect_b32 s18, -1, 0
	s_wait_loadcnt_dscnt 0x0
	s_wait_alu 0xfffe
	s_and_b32 vcc_lo, exec_lo, s18
	s_barrier_signal -1
	s_barrier_wait -1
	global_inv scope:SCOPE_SE
	s_wait_alu 0xfffe
	s_cbranch_vccz .LBB114_87
; %bb.80:                               ;   in Loop: Header=BB114_79 Depth=2
	v_mov_b32_e32 v64, 0
	v_dual_mov_b32 v65, 0 :: v_dual_mov_b32 v66, 0
	v_mov_b32_e32 v67, 0
	s_mov_b32 s71, exec_lo
	v_cmpx_gt_i32_e64 s70, v108
	s_cbranch_execz .LBB114_82
; %bb.81:                               ;   in Loop: Header=BB114_79 Depth=2
	global_load_b64 v[66:67], v[0:1], off
.LBB114_82:                             ;   in Loop: Header=BB114_79 Depth=2
	s_wait_alu 0xfffe
	s_or_b32 exec_lo, exec_lo, s71
	s_delay_alu instid0(SALU_CYCLE_1)
	s_mov_b32 s71, exec_lo
	v_cmpx_gt_i32_e64 s70, v115
	s_cbranch_execz .LBB114_84
; %bb.83:                               ;   in Loop: Header=BB114_79 Depth=2
	v_add_co_u32 v2, vcc_lo, v175, v99
	s_wait_alu 0xfffd
	v_add_co_ci_u32_e64 v3, null, 0, v176, vcc_lo
	global_load_b64 v[64:65], v[2:3], off
.LBB114_84:                             ;   in Loop: Header=BB114_79 Depth=2
	s_wait_alu 0xfffe
	s_or_b32 exec_lo, exec_lo, s71
	v_mov_b32_e32 v68, 0
	v_mov_b32_e32 v69, 0
	s_mov_b32 s71, exec_lo
	v_cmpx_gt_i32_e64 s70, v116
	s_cbranch_execz .LBB114_86
; %bb.85:                               ;   in Loop: Header=BB114_79 Depth=2
	v_add_co_u32 v2, vcc_lo, v173, v99
	s_wait_alu 0xfffd
	v_add_co_ci_u32_e64 v3, null, 0, v174, vcc_lo
	global_load_b64 v[68:69], v[2:3], off
.LBB114_86:                             ;   in Loop: Header=BB114_79 Depth=2
	s_wait_alu 0xfffe
	s_or_b32 exec_lo, exec_lo, s71
	v_cmp_gt_i32_e64 s71, s70, v117
	s_branch .LBB114_89
.LBB114_87:                             ;   in Loop: Header=BB114_79 Depth=2
	s_mov_b32 s71, 0
                                        ; implicit-def: $vgpr68_vgpr69
                                        ; implicit-def: $vgpr64_vgpr65
                                        ; implicit-def: $vgpr66_vgpr67
	s_cbranch_execz .LBB114_89
; %bb.88:                               ;   in Loop: Header=BB114_79 Depth=2
	v_add_co_u32 v2, vcc_lo, v175, v99
	s_wait_alu 0xfffd
	v_add_co_ci_u32_e64 v3, null, 0, v176, vcc_lo
	v_add_co_u32 v4, vcc_lo, v173, v99
	s_wait_alu 0xfffd
	v_add_co_ci_u32_e64 v5, null, 0, v174, vcc_lo
	s_wait_loadcnt 0x0
	global_load_b64 v[66:67], v[0:1], off
	global_load_b64 v[64:65], v[2:3], off
	;; [unrolled: 1-line block ×3, first 2 shown]
	s_wait_alu 0xfffe
	s_or_b32 s71, s71, exec_lo
.LBB114_89:                             ;   in Loop: Header=BB114_79 Depth=2
	v_mov_b32_e32 v70, 0
	v_mov_b32_e32 v71, 0
	s_wait_alu 0xfffe
	s_and_saveexec_b32 s72, s71
	s_cbranch_execz .LBB114_91
; %bb.90:                               ;   in Loop: Header=BB114_79 Depth=2
	v_add_co_u32 v0, vcc_lo, v177, v99
	s_wait_alu 0xfffd
	v_add_co_ci_u32_e64 v1, null, 0, v178, vcc_lo
	global_load_b64 v[70:71], v[0:1], off
.LBB114_91:                             ;   in Loop: Header=BB114_79 Depth=2
	s_wait_alu 0xfffe
	s_or_b32 exec_lo, exec_lo, s72
	ds_load_b64 v[4:5], v100
	ds_load_b128 v[0:3], v110
	v_cndmask_b32_e64 v40, 0, 1, s18
	s_wait_loadcnt_dscnt 0x1
	v_mul_f32_e32 v9, v5, v66
	v_mul_f32_e32 v7, v5, v65
	;; [unrolled: 1-line block ×4, first 2 shown]
	v_dual_mul_f32 v12, v5, v69 :: v_dual_mul_f32 v15, v4, v71
	v_mul_f32_e32 v13, v5, v68
	v_mul_f32_e32 v14, v5, v71
	v_fmac_f32_e32 v9, v4, v67
	v_fma_f32 v10, v4, v64, -v7
	v_fmac_f32_e32 v11, v4, v65
	v_fma_f32 v8, v4, v66, -v6
	v_fma_f32 v12, v4, v68, -v12
	v_fmac_f32_e32 v13, v4, v69
	v_fma_f32 v14, v4, v70, -v14
	v_fmac_f32_e32 v15, v5, v70
	ds_load_b128 v[4:7], v110 offset:16
	ds_store_2addr_b64 v111, v[8:9], v[10:11] offset1:67
	ds_store_2addr_b64 v111, v[12:13], v[14:15] offset0:134 offset1:201
	s_wait_dscnt 0x0
	s_barrier_signal -1
	s_barrier_wait -1
	global_inv scope:SCOPE_SE
	ds_load_2addr_b64 v[20:23], v112 offset1:1
	ds_load_2addr_b64 v[16:19], v112 offset0:2 offset1:3
	v_add_co_u32 v8, vcc_lo, v179, v99
	s_wait_alu 0xfffd
	v_add_co_ci_u32_e64 v9, null, 0, v180, vcc_lo
	s_and_not1_b32 vcc_lo, exec_lo, s18
	s_wait_loadcnt_dscnt 0x0
	s_barrier_signal -1
	s_barrier_wait -1
	global_inv scope:SCOPE_SE
	s_wait_alu 0xfffe
	s_cbranch_vccnz .LBB114_99
; %bb.92:                               ;   in Loop: Header=BB114_79 Depth=2
	v_mov_b32_e32 v72, 0
	v_dual_mov_b32 v73, 0 :: v_dual_mov_b32 v74, 0
	v_mov_b32_e32 v75, 0
	s_mov_b32 s18, exec_lo
	v_cmpx_gt_i32_e64 s70, v118
	s_cbranch_execz .LBB114_94
; %bb.93:                               ;   in Loop: Header=BB114_79 Depth=2
	global_load_b64 v[74:75], v[8:9], off
.LBB114_94:                             ;   in Loop: Header=BB114_79 Depth=2
	s_wait_alu 0xfffe
	s_or_b32 exec_lo, exec_lo, s18
	s_delay_alu instid0(SALU_CYCLE_1)
	s_mov_b32 s18, exec_lo
	v_cmpx_gt_i32_e64 s70, v119
	s_cbranch_execz .LBB114_96
; %bb.95:                               ;   in Loop: Header=BB114_79 Depth=2
	v_add_co_u32 v10, vcc_lo, v181, v99
	s_wait_alu 0xfffd
	v_add_co_ci_u32_e64 v11, null, 0, v182, vcc_lo
	global_load_b64 v[72:73], v[10:11], off
.LBB114_96:                             ;   in Loop: Header=BB114_79 Depth=2
	s_wait_alu 0xfffe
	s_or_b32 exec_lo, exec_lo, s18
	v_mov_b32_e32 v76, 0
	v_mov_b32_e32 v77, 0
	s_mov_b32 s18, exec_lo
	v_cmpx_gt_i32_e64 s70, v120
	s_cbranch_execz .LBB114_98
; %bb.97:                               ;   in Loop: Header=BB114_79 Depth=2
	v_add_co_u32 v10, vcc_lo, v183, v99
	s_wait_alu 0xfffd
	v_add_co_ci_u32_e64 v11, null, 0, v184, vcc_lo
	global_load_b64 v[76:77], v[10:11], off
.LBB114_98:                             ;   in Loop: Header=BB114_79 Depth=2
	s_wait_alu 0xfffe
	s_or_b32 exec_lo, exec_lo, s18
	v_cmp_gt_i32_e64 s18, s70, v121
	s_branch .LBB114_101
.LBB114_99:                             ;   in Loop: Header=BB114_79 Depth=2
	s_mov_b32 s18, 0
                                        ; implicit-def: $vgpr76_vgpr77
                                        ; implicit-def: $vgpr72_vgpr73
                                        ; implicit-def: $vgpr74_vgpr75
	s_cbranch_execz .LBB114_101
; %bb.100:                              ;   in Loop: Header=BB114_79 Depth=2
	v_add_co_u32 v10, vcc_lo, v181, v99
	s_wait_alu 0xfffd
	v_add_co_ci_u32_e64 v11, null, 0, v182, vcc_lo
	v_add_co_u32 v12, vcc_lo, v183, v99
	s_wait_alu 0xfffd
	v_add_co_ci_u32_e64 v13, null, 0, v184, vcc_lo
	s_wait_loadcnt 0x0
	global_load_b64 v[74:75], v[8:9], off
	global_load_b64 v[72:73], v[10:11], off
	;; [unrolled: 1-line block ×3, first 2 shown]
	s_wait_alu 0xfffe
	s_or_b32 s18, s18, exec_lo
.LBB114_101:                            ;   in Loop: Header=BB114_79 Depth=2
	v_mov_b32_e32 v78, 0
	v_mov_b32_e32 v79, 0
	s_wait_alu 0xfffe
	s_and_saveexec_b32 s71, s18
	s_cbranch_execz .LBB114_103
; %bb.102:                              ;   in Loop: Header=BB114_79 Depth=2
	v_add_co_u32 v8, vcc_lo, v185, v99
	s_wait_alu 0xfffd
	v_add_co_ci_u32_e64 v9, null, 0, v186, vcc_lo
	global_load_b64 v[78:79], v[8:9], off
.LBB114_103:                            ;   in Loop: Header=BB114_79 Depth=2
	s_wait_alu 0xfffe
	s_or_b32 exec_lo, exec_lo, s71
	ds_load_b64 v[12:13], v100
	ds_load_b128 v[8:11], v110 offset:128
	v_cmp_ne_u32_e32 vcc_lo, 1, v40
	s_and_b32 vcc_lo, exec_lo, vcc_lo
	s_wait_loadcnt_dscnt 0x1
	v_mul_f32_e32 v25, v13, v74
	v_mul_f32_e32 v15, v13, v73
	v_mul_f32_e32 v27, v13, v72
	v_mul_f32_e32 v14, v13, v75
	v_dual_mul_f32 v28, v13, v77 :: v_dual_mul_f32 v31, v12, v79
	v_mul_f32_e32 v29, v13, v76
	v_mul_f32_e32 v30, v13, v79
	v_fmac_f32_e32 v25, v12, v75
	v_fma_f32 v26, v12, v72, -v15
	v_fmac_f32_e32 v27, v12, v73
	v_fma_f32 v24, v12, v74, -v14
	v_fma_f32 v28, v12, v76, -v28
	v_fmac_f32_e32 v29, v12, v77
	v_fma_f32 v30, v12, v78, -v30
	v_fmac_f32_e32 v31, v13, v78
	ds_load_b128 v[12:15], v110 offset:144
	ds_store_2addr_b64 v111, v[24:25], v[26:27] offset1:67
	ds_store_2addr_b64 v111, v[28:29], v[30:31] offset0:134 offset1:201
	s_wait_dscnt 0x0
	s_barrier_signal -1
	s_barrier_wait -1
	global_inv scope:SCOPE_SE
	ds_load_2addr_b64 v[36:39], v112 offset1:1
	ds_load_2addr_b64 v[32:35], v112 offset0:2 offset1:3
	v_add_co_u32 v24, s18, v187, v99
	s_wait_alu 0xf1ff
	v_add_co_ci_u32_e64 v25, null, 0, v188, s18
	s_wait_loadcnt_dscnt 0x0
	s_barrier_signal -1
	s_barrier_wait -1
	global_inv scope:SCOPE_SE
	s_wait_alu 0xfffe
	s_cbranch_vccnz .LBB114_111
; %bb.104:                              ;   in Loop: Header=BB114_79 Depth=2
	v_mov_b32_e32 v80, 0
	v_dual_mov_b32 v81, 0 :: v_dual_mov_b32 v82, 0
	v_mov_b32_e32 v83, 0
	s_mov_b32 s18, exec_lo
	v_cmpx_gt_i32_e64 s70, v122
	s_cbranch_execz .LBB114_106
; %bb.105:                              ;   in Loop: Header=BB114_79 Depth=2
	global_load_b64 v[82:83], v[24:25], off
.LBB114_106:                            ;   in Loop: Header=BB114_79 Depth=2
	s_wait_alu 0xfffe
	s_or_b32 exec_lo, exec_lo, s18
	s_delay_alu instid0(SALU_CYCLE_1)
	s_mov_b32 s18, exec_lo
	v_cmpx_gt_i32_e64 s70, v123
	s_cbranch_execz .LBB114_108
; %bb.107:                              ;   in Loop: Header=BB114_79 Depth=2
	v_add_co_u32 v26, vcc_lo, v189, v99
	s_wait_alu 0xfffd
	v_add_co_ci_u32_e64 v27, null, 0, v190, vcc_lo
	global_load_b64 v[80:81], v[26:27], off
.LBB114_108:                            ;   in Loop: Header=BB114_79 Depth=2
	s_wait_alu 0xfffe
	s_or_b32 exec_lo, exec_lo, s18
	v_mov_b32_e32 v84, 0
	v_mov_b32_e32 v85, 0
	s_mov_b32 s18, exec_lo
	v_cmpx_gt_i32_e64 s70, v124
	s_cbranch_execz .LBB114_110
; %bb.109:                              ;   in Loop: Header=BB114_79 Depth=2
	v_add_co_u32 v26, vcc_lo, v191, v99
	s_wait_alu 0xfffd
	v_add_co_ci_u32_e64 v27, null, 0, v192, vcc_lo
	global_load_b64 v[84:85], v[26:27], off
.LBB114_110:                            ;   in Loop: Header=BB114_79 Depth=2
	s_wait_alu 0xfffe
	s_or_b32 exec_lo, exec_lo, s18
	v_cmp_gt_i32_e64 s18, s70, v125
	s_branch .LBB114_113
.LBB114_111:                            ;   in Loop: Header=BB114_79 Depth=2
	s_mov_b32 s18, 0
                                        ; implicit-def: $vgpr84_vgpr85
                                        ; implicit-def: $vgpr80_vgpr81
                                        ; implicit-def: $vgpr82_vgpr83
	s_cbranch_execz .LBB114_113
; %bb.112:                              ;   in Loop: Header=BB114_79 Depth=2
	v_add_co_u32 v26, vcc_lo, v189, v99
	s_wait_alu 0xfffd
	v_add_co_ci_u32_e64 v27, null, 0, v190, vcc_lo
	v_add_co_u32 v28, vcc_lo, v191, v99
	s_wait_alu 0xfffd
	v_add_co_ci_u32_e64 v29, null, 0, v192, vcc_lo
	s_wait_loadcnt 0x0
	global_load_b64 v[82:83], v[24:25], off
	global_load_b64 v[80:81], v[26:27], off
	;; [unrolled: 1-line block ×3, first 2 shown]
	s_wait_alu 0xfffe
	s_or_b32 s18, s18, exec_lo
.LBB114_113:                            ;   in Loop: Header=BB114_79 Depth=2
	v_mov_b32_e32 v86, 0
	v_mov_b32_e32 v87, 0
	s_wait_alu 0xfffe
	s_and_saveexec_b32 s71, s18
	s_cbranch_execz .LBB114_115
; %bb.114:                              ;   in Loop: Header=BB114_79 Depth=2
	v_add_co_u32 v24, vcc_lo, v193, v99
	s_wait_alu 0xfffd
	v_add_co_ci_u32_e64 v25, null, 0, v194, vcc_lo
	global_load_b64 v[86:87], v[24:25], off
.LBB114_115:                            ;   in Loop: Header=BB114_79 Depth=2
	s_wait_alu 0xfffe
	s_or_b32 exec_lo, exec_lo, s71
	ds_load_b64 v[28:29], v100
	ds_load_b128 v[24:27], v110 offset:256
	v_cmp_ne_u32_e32 vcc_lo, 1, v40
	v_add_co_u32 v40, s18, v195, v99
	s_and_b32 vcc_lo, exec_lo, vcc_lo
	s_wait_loadcnt_dscnt 0x1
	v_mul_f32_e32 v30, v29, v83
	v_mul_f32_e32 v42, v29, v82
	v_dual_mul_f32 v31, v29, v81 :: v_dual_mul_f32 v48, v28, v87
	v_mul_f32_e32 v44, v29, v80
	s_delay_alu instid0(VALU_DEP_3) | instskip(SKIP_1) | instid1(VALU_DEP_3)
	v_dual_mul_f32 v45, v29, v85 :: v_dual_fmac_f32 v42, v28, v83
	v_mul_f32_e32 v46, v29, v84
	v_dual_mul_f32 v47, v29, v87 :: v_dual_fmac_f32 v44, v28, v81
	v_fma_f32 v41, v28, v82, -v30
	v_fma_f32 v43, v28, v80, -v31
	v_fma_f32 v45, v28, v84, -v45
	v_fmac_f32_e32 v46, v28, v85
	v_fma_f32 v47, v28, v86, -v47
	v_fmac_f32_e32 v48, v29, v86
	ds_load_b128 v[28:31], v110 offset:272
	ds_store_2addr_b64 v111, v[41:42], v[43:44] offset1:67
	ds_store_2addr_b64 v111, v[45:46], v[47:48] offset0:134 offset1:201
	s_wait_dscnt 0x0
	s_barrier_signal -1
	s_barrier_wait -1
	global_inv scope:SCOPE_SE
	ds_load_2addr_b64 v[52:55], v112 offset1:1
	ds_load_2addr_b64 v[48:51], v112 offset0:2 offset1:3
	s_wait_alu 0xf1ff
	v_add_co_ci_u32_e64 v41, null, 0, v196, s18
	s_wait_loadcnt_dscnt 0x0
	s_barrier_signal -1
	s_barrier_wait -1
	global_inv scope:SCOPE_SE
	s_wait_alu 0xfffe
	s_cbranch_vccnz .LBB114_123
; %bb.116:                              ;   in Loop: Header=BB114_79 Depth=2
	v_mov_b32_e32 v88, 0
	v_dual_mov_b32 v89, 0 :: v_dual_mov_b32 v90, 0
	v_mov_b32_e32 v91, 0
	s_mov_b32 s18, exec_lo
	v_cmpx_gt_i32_e64 s70, v126
	s_cbranch_execz .LBB114_118
; %bb.117:                              ;   in Loop: Header=BB114_79 Depth=2
	global_load_b64 v[90:91], v[40:41], off
.LBB114_118:                            ;   in Loop: Header=BB114_79 Depth=2
	s_wait_alu 0xfffe
	s_or_b32 exec_lo, exec_lo, s18
	s_delay_alu instid0(SALU_CYCLE_1)
	s_mov_b32 s18, exec_lo
	v_cmpx_gt_i32_e64 s70, v127
	s_cbranch_execz .LBB114_120
; %bb.119:                              ;   in Loop: Header=BB114_79 Depth=2
	v_add_co_u32 v42, vcc_lo, v197, v99
	s_wait_alu 0xfffd
	v_add_co_ci_u32_e64 v43, null, 0, v198, vcc_lo
	global_load_b64 v[88:89], v[42:43], off
.LBB114_120:                            ;   in Loop: Header=BB114_79 Depth=2
	s_wait_alu 0xfffe
	s_or_b32 exec_lo, exec_lo, s18
	v_mov_b32_e32 v92, 0
	v_mov_b32_e32 v93, 0
	s_mov_b32 s18, exec_lo
	v_cmpx_gt_i32_e64 s70, v128
	s_cbranch_execz .LBB114_122
; %bb.121:                              ;   in Loop: Header=BB114_79 Depth=2
	v_add_co_u32 v42, vcc_lo, v199, v99
	s_wait_alu 0xfffd
	v_add_co_ci_u32_e64 v43, null, 0, v200, vcc_lo
	global_load_b64 v[92:93], v[42:43], off
.LBB114_122:                            ;   in Loop: Header=BB114_79 Depth=2
	s_wait_alu 0xfffe
	s_or_b32 exec_lo, exec_lo, s18
	v_cmp_gt_i32_e64 s18, s70, v129
	s_branch .LBB114_125
.LBB114_123:                            ;   in Loop: Header=BB114_79 Depth=2
	s_mov_b32 s18, 0
                                        ; implicit-def: $vgpr92_vgpr93
                                        ; implicit-def: $vgpr88_vgpr89
                                        ; implicit-def: $vgpr90_vgpr91
	s_cbranch_execz .LBB114_125
; %bb.124:                              ;   in Loop: Header=BB114_79 Depth=2
	v_add_co_u32 v42, vcc_lo, v197, v99
	s_wait_alu 0xfffd
	v_add_co_ci_u32_e64 v43, null, 0, v198, vcc_lo
	v_add_co_u32 v44, vcc_lo, v199, v99
	s_wait_alu 0xfffd
	v_add_co_ci_u32_e64 v45, null, 0, v200, vcc_lo
	s_wait_loadcnt 0x0
	global_load_b64 v[90:91], v[40:41], off
	global_load_b64 v[88:89], v[42:43], off
	;; [unrolled: 1-line block ×3, first 2 shown]
	s_wait_alu 0xfffe
	s_or_b32 s18, s18, exec_lo
.LBB114_125:                            ;   in Loop: Header=BB114_79 Depth=2
	v_mov_b32_e32 v94, 0
	v_mov_b32_e32 v95, 0
	s_wait_alu 0xfffe
	s_and_saveexec_b32 s71, s18
	s_cbranch_execz .LBB114_127
; %bb.126:                              ;   in Loop: Header=BB114_79 Depth=2
	v_add_co_u32 v40, vcc_lo, v201, v99
	s_wait_alu 0xfffd
	v_add_co_ci_u32_e64 v41, null, 0, v202, vcc_lo
	global_load_b64 v[94:95], v[40:41], off
.LBB114_127:                            ;   in Loop: Header=BB114_79 Depth=2
	s_wait_alu 0xfffe
	s_or_b32 exec_lo, exec_lo, s71
	ds_load_b64 v[44:45], v100
	ds_load_b128 v[40:43], v110 offset:384
	v_cmp_gt_i32_e32 vcc_lo, s70, v96
	v_dual_add_f32 v37, 0, v37 :: v_dual_add_f32 v52, 0, v52
	v_add_f32_e32 v21, 0, v21
	v_dual_add_f32 v53, 0, v53 :: v_dual_add_f32 v36, 0, v36
	s_or_b32 s18, s63, vcc_lo
	s_delay_alu instid0(VALU_DEP_3) | instskip(NEXT) | instid1(VALU_DEP_3)
	v_dual_add_f32 v37, v37, v39 :: v_dual_add_f32 v20, 0, v20
	v_add_f32_e32 v21, v21, v23
	s_wait_alu 0xfffe
	s_and_b32 s63, s17, s18
	s_delay_alu instid0(VALU_DEP_2) | instskip(NEXT) | instid1(VALU_DEP_2)
	v_dual_add_f32 v33, v37, v33 :: v_dual_add_f32 v20, v20, v22
	v_add_f32_e32 v39, v21, v17
	s_delay_alu instid0(VALU_DEP_2)
	v_add_f32_e32 v21, v33, v35
	s_wait_loadcnt_dscnt 0x1
	v_mul_f32_e32 v204, v45, v90
	v_mul_f32_e32 v46, v45, v91
	v_dual_mul_f32 v47, v45, v89 :: v_dual_mul_f32 v210, v44, v95
	v_mul_f32_e32 v206, v45, v88
	s_delay_alu instid0(VALU_DEP_4) | instskip(SKIP_1) | instid1(VALU_DEP_3)
	v_dual_mul_f32 v57, v45, v93 :: v_dual_fmac_f32 v204, v44, v91
	v_mul_f32_e32 v208, v45, v92
	v_dual_mul_f32 v209, v45, v95 :: v_dual_fmac_f32 v206, v44, v89
	v_fma_f32 v203, v44, v90, -v46
	v_fma_f32 v205, v44, v88, -v47
	;; [unrolled: 1-line block ×3, first 2 shown]
	s_delay_alu instid0(VALU_DEP_4)
	v_fma_f32 v209, v44, v94, -v209
	v_fmac_f32_e32 v210, v45, v94
	v_add_f32_e32 v57, v52, v54
	v_fmac_f32_e32 v208, v44, v93
	ds_load_b128 v[44:47], v110 offset:400
	ds_store_2addr_b64 v111, v[203:204], v[205:206] offset1:67
	ds_store_2addr_b64 v111, v[207:208], v[209:210] offset0:134 offset1:201
	s_wait_dscnt 0x0
	s_barrier_signal -1
	s_barrier_wait -1
	global_inv scope:SCOPE_SE
	ds_load_2addr_b64 v[203:206], v112 offset1:1
	v_add_f32_e32 v207, v53, v55
	ds_load_2addr_b64 v[52:55], v112 offset0:2 offset1:3
	v_add_f32_e32 v36, v36, v38
	v_dual_add_f32 v38, v20, v16 :: v_dual_add_f32 v19, v39, v19
	v_dual_add_f32 v23, v207, v49 :: v_dual_add_f32 v22, v57, v48
	s_wait_loadcnt_dscnt 0x0
	s_delay_alu instid0(VALU_DEP_2) | instskip(SKIP_1) | instid1(VALU_DEP_2)
	v_add_f32_e32 v18, v38, v18
	s_barrier_signal -1
	v_dual_add_f32 v17, v23, v51 :: v_dual_add_f32 v16, v22, v50
	s_barrier_wait -1
	global_inv scope:SCOPE_SE
	v_add_f32_e32 v37, 0, v204
	v_add_f32_e32 v32, v36, v32
	;; [unrolled: 1-line block ×3, first 2 shown]
	s_delay_alu instid0(VALU_DEP_2) | instskip(NEXT) | instid1(VALU_DEP_2)
	v_add_f32_e32 v20, v32, v34
	v_add_f32_e32 v22, v36, v205
	;; [unrolled: 1-line block ×3, first 2 shown]
	s_delay_alu instid0(VALU_DEP_1) | instskip(NEXT) | instid1(VALU_DEP_1)
	v_add_f32_e32 v23, v36, v53
	v_dual_add_f32 v23, v23, v55 :: v_dual_add_f32 v22, v22, v52
	s_delay_alu instid0(VALU_DEP_1)
	v_add_f32_e32 v22, v22, v54
	ds_store_2addr_b64 v164, v[18:19], v[20:21] offset1:16
	ds_store_2addr_b64 v164, v[16:17], v[22:23] offset0:32 offset1:48
	s_wait_loadcnt_dscnt 0x0
	s_barrier_signal -1
	s_barrier_wait -1
	global_inv scope:SCOPE_SE
	s_wait_alu 0xfffe
	s_and_saveexec_b32 s18, s63
	s_cbranch_execz .LBB114_129
; %bb.128:                              ;   in Loop: Header=BB114_79 Depth=2
	ds_load_b64 v[36:37], v113
	ds_load_2addr_b64 v[16:19], v113 offset0:1 offset1:2
	ds_load_2addr_b64 v[20:23], v113 offset0:3 offset1:4
	;; [unrolled: 1-line block ×3, first 2 shown]
	s_wait_dscnt 0x2
	v_dual_add_f32 v16, v16, v36 :: v_dual_add_f32 v17, v17, v37
	s_delay_alu instid0(VALU_DEP_1) | instskip(SKIP_3) | instid1(VALU_DEP_1)
	v_dual_add_f32 v36, v18, v16 :: v_dual_add_f32 v37, v19, v17
	ds_load_2addr_b64 v[16:19], v113 offset0:7 offset1:8
	s_wait_dscnt 0x2
	v_dual_add_f32 v20, v36, v20 :: v_dual_add_f32 v21, v37, v21
	v_dual_add_f32 v36, v20, v22 :: v_dual_add_f32 v37, v21, v23
	ds_load_2addr_b64 v[20:23], v113 offset0:9 offset1:10
	s_wait_dscnt 0x2
	v_dual_add_f32 v32, v36, v32 :: v_dual_add_f32 v33, v37, v33
	s_delay_alu instid0(VALU_DEP_1) | instskip(SKIP_3) | instid1(VALU_DEP_1)
	v_dual_add_f32 v36, v32, v34 :: v_dual_add_f32 v37, v33, v35
	ds_load_2addr_b64 v[32:35], v113 offset0:11 offset1:12
	s_wait_dscnt 0x2
	v_dual_add_f32 v16, v36, v16 :: v_dual_add_f32 v17, v37, v17
	v_dual_add_f32 v36, v16, v18 :: v_dual_add_f32 v37, v17, v19
	ds_load_2addr_b64 v[16:19], v113 offset0:13 offset1:14
	s_wait_dscnt 0x2
	v_dual_add_f32 v20, v36, v20 :: v_dual_add_f32 v21, v37, v21
	s_delay_alu instid0(VALU_DEP_1) | instskip(SKIP_3) | instid1(VALU_DEP_1)
	v_dual_add_f32 v22, v20, v22 :: v_dual_add_f32 v23, v21, v23
	ds_load_b64 v[20:21], v114
	s_wait_dscnt 0x2
	v_dual_add_f32 v22, v22, v32 :: v_dual_add_f32 v23, v23, v33
	v_dual_add_f32 v32, v22, v34 :: v_dual_add_f32 v23, v23, v35
	s_wait_dscnt 0x1
	s_delay_alu instid0(VALU_DEP_1) | instskip(NEXT) | instid1(VALU_DEP_2)
	v_dual_add_f32 v17, v23, v17 :: v_dual_add_nc_u32 v22, s62, v96
	v_add_f32_e32 v16, v32, v16
	s_delay_alu instid0(VALU_DEP_2) | instskip(NEXT) | instid1(VALU_DEP_2)
	v_ashrrev_i32_e32 v23, 31, v22
	v_dual_add_f32 v19, v17, v19 :: v_dual_add_f32 v18, v16, v18
	s_delay_alu instid0(VALU_DEP_2) | instskip(SKIP_1) | instid1(VALU_DEP_2)
	v_lshlrev_b64_e32 v[16:17], 3, v[22:23]
	s_wait_dscnt 0x0
	v_dual_add_f32 v19, v19, v21 :: v_dual_add_f32 v18, v18, v20
	s_delay_alu instid0(VALU_DEP_2) | instskip(SKIP_1) | instid1(VALU_DEP_3)
	v_add_co_u32 v16, vcc_lo, s60, v16
	s_wait_alu 0xfffd
	v_add_co_ci_u32_e64 v17, null, s61, v17, vcc_lo
	global_store_b64 v[16:17], v[18:19], off
.LBB114_129:                            ;   in Loop: Header=BB114_79 Depth=2
	s_wait_alu 0xfffe
	s_or_b32 exec_lo, exec_lo, s18
	v_dual_mul_f32 v16, v1, v67 :: v_dual_mul_f32 v17, v3, v65
	v_dual_mul_f32 v3, v3, v64 :: v_dual_mul_f32 v18, v5, v69
	v_add_co_u32 v171, vcc_lo, v171, s44
	s_delay_alu instid0(VALU_DEP_3)
	v_fma_f32 v16, v0, v66, -v16
	v_mul_f32_e32 v1, v1, v66
	v_fma_f32 v17, v2, v64, -v17
	v_fmac_f32_e32 v3, v2, v65
	s_wait_alu 0xfffd
	v_add_co_ci_u32_e64 v172, null, s45, v172, vcc_lo
	v_add_f32_e32 v16, v62, v16
	v_mul_f32_e32 v5, v5, v68
	v_fmac_f32_e32 v1, v0, v67
	v_fma_f32 v0, v4, v68, -v18
	v_mul_f32_e32 v20, v9, v75
	v_dual_add_f32 v16, v16, v17 :: v_dual_mul_f32 v19, v7, v71
	v_mul_f32_e32 v7, v7, v70
	v_fmac_f32_e32 v5, v4, v69
	v_add_co_u32 v173, vcc_lo, v173, s44
	s_delay_alu instid0(VALU_DEP_4)
	v_add_f32_e32 v0, v16, v0
	v_fma_f32 v2, v6, v70, -v19
	v_mul_f32_e32 v17, v11, v73
	v_fmac_f32_e32 v7, v6, v71
	s_wait_alu 0xfffd
	v_add_co_ci_u32_e64 v174, null, s45, v174, vcc_lo
	v_add_f32_e32 v0, v0, v2
	v_mul_f32_e32 v2, v13, v77
	v_add_f32_e32 v1, v63, v1
	v_fma_f32 v4, v10, v72, -v17
	v_add_co_u32 v175, vcc_lo, v175, s44
	s_delay_alu instid0(VALU_DEP_4) | instskip(NEXT) | instid1(VALU_DEP_4)
	v_fma_f32 v2, v12, v76, -v2
	v_add_f32_e32 v1, v1, v3
	v_fma_f32 v3, v8, v74, -v20
	v_mul_f32_e32 v9, v9, v74
	s_wait_alu 0xfffd
	v_add_co_ci_u32_e64 v176, null, s45, v176, vcc_lo
	v_add_co_u32 v177, vcc_lo, v177, s44
	v_add_f32_e32 v0, v0, v3
	v_fmac_f32_e32 v9, v8, v75
	s_wait_alu 0xfffd
	v_add_co_ci_u32_e64 v178, null, s45, v178, vcc_lo
	v_add_co_u32 v179, vcc_lo, v179, s44
	v_add_f32_e32 v0, v0, v4
	v_mul_f32_e32 v11, v11, v72
	v_mul_f32_e32 v4, v13, v76
	s_wait_alu 0xfffd
	v_add_co_ci_u32_e64 v180, null, s45, v180, vcc_lo
	v_add_f32_e32 v0, v0, v2
	v_mul_f32_e32 v2, v25, v83
	v_fmac_f32_e32 v4, v12, v77
	v_fmac_f32_e32 v11, v10, v73
	v_add_co_u32 v181, vcc_lo, v181, s44
	s_delay_alu instid0(VALU_DEP_4) | instskip(SKIP_4) | instid1(VALU_DEP_3)
	v_fma_f32 v2, v24, v82, -v2
	v_mul_f32_e32 v3, v15, v79
	s_wait_alu 0xfffd
	v_add_co_ci_u32_e64 v182, null, s45, v182, vcc_lo
	v_add_co_u32 v183, vcc_lo, v183, s44
	v_fma_f32 v3, v14, v78, -v3
	v_add_f32_e32 v1, v1, v5
	v_mul_f32_e32 v5, v15, v78
	s_wait_alu 0xfffd
	v_add_co_ci_u32_e64 v184, null, s45, v184, vcc_lo
	v_dual_add_f32 v0, v0, v3 :: v_dual_mul_f32 v3, v27, v81
	s_delay_alu instid0(VALU_DEP_3) | instskip(SKIP_1) | instid1(VALU_DEP_3)
	v_fmac_f32_e32 v5, v14, v79
	v_add_co_u32 v185, vcc_lo, v185, s44
	v_add_f32_e32 v0, v0, v2
	s_delay_alu instid0(VALU_DEP_4)
	v_fma_f32 v2, v26, v80, -v3
	v_mul_f32_e32 v3, v29, v85
	v_add_f32_e32 v1, v1, v7
	s_wait_alu 0xfffd
	v_add_co_ci_u32_e64 v186, null, s45, v186, vcc_lo
	v_add_f32_e32 v0, v0, v2
	v_fma_f32 v2, v28, v84, -v3
	v_mul_f32_e32 v3, v31, v87
	v_dual_add_f32 v1, v1, v9 :: v_dual_mul_f32 v6, v47, v94
	v_add_co_u32 v187, vcc_lo, v187, s44
	s_delay_alu instid0(VALU_DEP_4) | instskip(NEXT) | instid1(VALU_DEP_4)
	v_add_f32_e32 v0, v0, v2
	v_fma_f32 v2, v30, v86, -v3
	v_mul_f32_e32 v3, v41, v91
	v_add_f32_e32 v1, v1, v11
	v_fmac_f32_e32 v6, v46, v95
	s_wait_alu 0xfffd
	v_add_co_ci_u32_e64 v188, null, s45, v188, vcc_lo
	v_add_f32_e32 v0, v0, v2
	v_fma_f32 v2, v40, v90, -v3
	v_mul_f32_e32 v3, v43, v89
	v_add_f32_e32 v1, v1, v4
	v_mul_f32_e32 v4, v25, v82
	v_add_co_u32 v189, vcc_lo, v189, s44
	v_add_f32_e32 v0, v0, v2
	v_fma_f32 v2, v42, v88, -v3
	s_delay_alu instid0(VALU_DEP_4)
	v_dual_add_f32 v1, v1, v5 :: v_dual_fmac_f32 v4, v24, v83
	v_mul_f32_e32 v3, v43, v88
	s_wait_alu 0xfffd
	v_add_co_ci_u32_e64 v190, null, s45, v190, vcc_lo
	v_add_f32_e32 v0, v0, v2
	v_mul_f32_e32 v2, v45, v92
	v_mul_f32_e32 v5, v27, v80
	v_add_f32_e32 v1, v1, v4
	v_dual_mul_f32 v4, v29, v84 :: v_dual_fmac_f32 v3, v42, v89
	s_delay_alu instid0(VALU_DEP_4) | instskip(NEXT) | instid1(VALU_DEP_4)
	v_fmac_f32_e32 v2, v44, v93
	v_fmac_f32_e32 v5, v26, v81
	v_add_co_u32 v191, vcc_lo, v191, s44
	s_delay_alu instid0(VALU_DEP_4)
	v_fmac_f32_e32 v4, v28, v85
	s_wait_alu 0xfffd
	v_add_co_ci_u32_e64 v192, null, s45, v192, vcc_lo
	v_add_f32_e32 v1, v1, v5
	v_mul_f32_e32 v5, v31, v86
	v_add_co_u32 v193, vcc_lo, v193, s44
	s_wait_alu 0xfffd
	v_add_co_ci_u32_e64 v194, null, s45, v194, vcc_lo
	v_add_f32_e32 v1, v1, v4
	v_dual_fmac_f32 v5, v30, v87 :: v_dual_mul_f32 v4, v41, v90
	v_add_co_u32 v195, vcc_lo, v195, s44
	s_wait_alu 0xfffd
	v_add_co_ci_u32_e64 v196, null, s45, v196, vcc_lo
	s_delay_alu instid0(VALU_DEP_3)
	v_dual_add_f32 v1, v1, v5 :: v_dual_fmac_f32 v4, v40, v91
	v_mul_f32_e32 v5, v45, v93
	v_add_co_u32 v197, vcc_lo, v197, s44
	s_wait_alu 0xfffd
	v_add_co_ci_u32_e64 v198, null, s45, v198, vcc_lo
	v_add_f32_e32 v1, v1, v4
	v_fma_f32 v4, v44, v92, -v5
	v_mul_f32_e32 v5, v47, v95
	v_add_co_u32 v199, vcc_lo, v199, s44
	s_delay_alu instid0(VALU_DEP_3) | instskip(NEXT) | instid1(VALU_DEP_3)
	v_dual_add_f32 v1, v1, v3 :: v_dual_add_f32 v0, v0, v4
	v_fma_f32 v3, v46, v94, -v5
	s_wait_alu 0xfffd
	v_add_co_ci_u32_e64 v200, null, s45, v200, vcc_lo
	s_delay_alu instid0(VALU_DEP_3)
	v_add_f32_e32 v1, v1, v2
	v_add_co_u32 v201, vcc_lo, v201, s44
	v_add_f32_e32 v62, v0, v3
	s_wait_alu 0xfffd
	v_add_co_ci_u32_e64 v202, null, s45, v202, vcc_lo
	v_add_f32_e32 v63, v1, v6
	s_add_co_i32 s18, s19, 1
	s_add_co_i32 s19, s19, 2
	;; [unrolled: 1-line block ×3, first 2 shown]
	s_wait_alu 0xfffe
	s_cmp_ge_u32 s19, s30
	s_wait_loadcnt 0x0
	s_wait_storecnt 0x0
	s_barrier_signal -1
	s_barrier_wait -1
	global_inv scope:SCOPE_SE
	s_cbranch_scc1 .LBB114_131
; %bb.130:                              ;   in Loop: Header=BB114_79 Depth=2
	s_mov_b32 s19, s18
	s_wait_alu 0xfffe
	s_cmp_eq_u32 s67, s19
	s_cselect_b32 s70, s64, 0
	s_and_saveexec_b32 s18, s0
	s_cbranch_execnz .LBB114_75
	s_branch .LBB114_79
.LBB114_131:                            ;   in Loop: Header=BB114_4 Depth=1
	ds_store_b64 v130, v[62:63]
	s_wait_loadcnt_dscnt 0x0
	s_barrier_signal -1
	s_barrier_wait -1
	global_inv scope:SCOPE_SE
	s_and_saveexec_b32 s18, s68
	s_cbranch_execz .LBB114_2
; %bb.132:                              ;   in Loop: Header=BB114_4 Depth=1
	ds_load_2addr_b64 v[0:3], v99 offset1:67
	ds_load_2addr_b64 v[4:7], v99 offset0:134 offset1:201
	s_wait_dscnt 0x1
	v_dual_add_f32 v0, v2, v0 :: v_dual_add_f32 v1, v3, v1
	s_wait_alu 0xfffe
	v_add_co_u32 v2, vcc_lo, s60, v58
	s_wait_alu 0xfffd
	v_add_co_ci_u32_e64 v3, null, s61, v59, vcc_lo
	s_wait_dscnt 0x0
	v_dual_add_f32 v0, v4, v0 :: v_dual_add_f32 v1, v5, v1
	s_delay_alu instid0(VALU_DEP_1)
	v_dual_add_f32 v0, v0, v6 :: v_dual_add_f32 v1, v1, v7
	global_store_b64 v[2:3], v[0:1], off
	s_branch .LBB114_2
.LBB114_133:                            ;   in Loop: Header=BB114_4 Depth=1
	ds_load_b64 v[2:3], v167
	s_wait_dscnt 0x0
	ds_store_b64 v103, v[2:3]
	s_wait_alu 0xfffe
	s_or_b32 exec_lo, exec_lo, s18
	s_and_saveexec_b32 s18, s7
	s_cbranch_execz .LBB114_29
.LBB114_134:                            ;   in Loop: Header=BB114_4 Depth=1
	ds_load_b64 v[2:3], v168
	s_wait_dscnt 0x0
	ds_store_b64 v103, v[2:3] offset:8
	s_wait_alu 0xfffe
	s_or_b32 exec_lo, exec_lo, s18
	s_and_saveexec_b32 s18, s8
	s_cbranch_execz .LBB114_30
.LBB114_135:                            ;   in Loop: Header=BB114_4 Depth=1
	ds_load_b64 v[2:3], v168 offset:264
	s_wait_dscnt 0x0
	ds_store_b64 v103, v[2:3] offset:16
	s_wait_alu 0xfffe
	s_or_b32 exec_lo, exec_lo, s18
	s_and_saveexec_b32 s18, s9
	s_cbranch_execnz .LBB114_31
	s_branch .LBB114_32
.LBB114_136:                            ;   in Loop: Header=BB114_4 Depth=1
	ds_load_b64 v[2:3], v167
	s_wait_dscnt 0x0
	ds_store_b64 v103, v[2:3]
	s_wait_alu 0xfffe
	s_or_b32 exec_lo, exec_lo, s18
	s_and_saveexec_b32 s18, s7
	s_cbranch_execz .LBB114_50
.LBB114_137:                            ;   in Loop: Header=BB114_4 Depth=1
	ds_load_b64 v[2:3], v168
	s_wait_dscnt 0x0
	ds_store_b64 v103, v[2:3] offset:8
	s_wait_alu 0xfffe
	s_or_b32 exec_lo, exec_lo, s18
	s_and_saveexec_b32 s18, s8
	s_cbranch_execz .LBB114_51
.LBB114_138:                            ;   in Loop: Header=BB114_4 Depth=1
	ds_load_b64 v[2:3], v168 offset:264
	s_wait_dscnt 0x0
	ds_store_b64 v103, v[2:3] offset:16
	s_wait_alu 0xfffe
	s_or_b32 exec_lo, exec_lo, s18
	s_and_saveexec_b32 s18, s9
	s_cbranch_execnz .LBB114_52
	s_branch .LBB114_53
.LBB114_139:                            ;   in Loop: Header=BB114_4 Depth=1
	global_load_b64 v[4:5], v[0:1], off
	s_wait_loadcnt 0x0
	ds_store_b64 v165, v[4:5]
	s_or_b32 exec_lo, exec_lo, s18
	s_and_saveexec_b32 s18, s3
	s_wait_alu 0xfffe
	s_xor_b32 s18, exec_lo, s18
	s_cbranch_execz .LBB114_18
.LBB114_140:                            ;   in Loop: Header=BB114_4 Depth=1
	v_mov_b32_e32 v57, v56
	ds_store_b64 v165, v[56:57] offset:2112
	s_wait_alu 0xfffe
	s_and_not1_saveexec_b32 s18, s18
	s_cbranch_execz .LBB114_19
.LBB114_141:                            ;   in Loop: Header=BB114_4 Depth=1
	v_add_co_u32 v4, vcc_lo, v0, s48
	s_wait_alu 0xfffd
	v_add_co_ci_u32_e64 v5, null, s49, v1, vcc_lo
	global_load_b64 v[4:5], v[4:5], off
	s_wait_loadcnt 0x0
	ds_store_b64 v165, v[4:5] offset:2112
	s_wait_alu 0xfffe
	s_or_b32 exec_lo, exec_lo, s18
	s_and_saveexec_b32 s18, s4
	s_wait_alu 0xfffe
	s_xor_b32 s18, exec_lo, s18
	s_cbranch_execz .LBB114_20
.LBB114_142:                            ;   in Loop: Header=BB114_4 Depth=1
	v_mov_b32_e32 v57, v56
	ds_store_b64 v165, v[56:57] offset:4224
	s_wait_alu 0xfffe
	s_and_not1_saveexec_b32 s18, s18
	s_cbranch_execz .LBB114_21
.LBB114_143:                            ;   in Loop: Header=BB114_4 Depth=1
	v_add_co_u32 v4, vcc_lo, v0, s50
	s_wait_alu 0xfffd
	v_add_co_ci_u32_e64 v5, null, s51, v1, vcc_lo
	global_load_b64 v[4:5], v[4:5], off
	s_wait_loadcnt 0x0
	ds_store_b64 v165, v[4:5] offset:4224
	s_wait_alu 0xfffe
	s_or_b32 exec_lo, exec_lo, s18
	s_and_saveexec_b32 s18, s5
	s_wait_alu 0xfffe
	s_xor_b32 s18, exec_lo, s18
	s_cbranch_execz .LBB114_22
.LBB114_144:                            ;   in Loop: Header=BB114_4 Depth=1
	v_mov_b32_e32 v57, v56
	ds_store_b64 v165, v[56:57] offset:6336
	s_wait_alu 0xfffe
	s_and_not1_saveexec_b32 s18, s18
	s_cbranch_execnz .LBB114_23
	s_branch .LBB114_24
.LBB114_145:                            ;   in Loop: Header=BB114_4 Depth=1
	global_load_b64 v[6:7], v[0:1], off
	s_wait_loadcnt 0x0
	ds_store_b64 v165, v[6:7]
	s_or_b32 exec_lo, exec_lo, s18
	s_and_saveexec_b32 s18, s13
	s_wait_alu 0xfffe
	s_xor_b32 s18, exec_lo, s18
	s_cbranch_execz .LBB114_39
.LBB114_146:                            ;   in Loop: Header=BB114_4 Depth=1
	v_mov_b32_e32 v57, v56
	ds_store_b64 v165, v[56:57] offset:2112
	s_wait_alu 0xfffe
	s_and_not1_saveexec_b32 s18, s18
	s_cbranch_execz .LBB114_40
.LBB114_147:                            ;   in Loop: Header=BB114_4 Depth=1
	v_add_co_u32 v6, vcc_lo, v0, s48
	s_wait_alu 0xfffd
	v_add_co_ci_u32_e64 v7, null, s49, v1, vcc_lo
	global_load_b64 v[6:7], v[6:7], off
	s_wait_loadcnt 0x0
	ds_store_b64 v165, v[6:7] offset:2112
	s_wait_alu 0xfffe
	s_or_b32 exec_lo, exec_lo, s18
	s_and_saveexec_b32 s18, s14
	s_wait_alu 0xfffe
	s_xor_b32 s18, exec_lo, s18
	s_cbranch_execz .LBB114_41
.LBB114_148:                            ;   in Loop: Header=BB114_4 Depth=1
	v_mov_b32_e32 v57, v56
	ds_store_b64 v165, v[56:57] offset:4224
	s_wait_alu 0xfffe
	s_and_not1_saveexec_b32 s18, s18
	s_cbranch_execz .LBB114_42
.LBB114_149:                            ;   in Loop: Header=BB114_4 Depth=1
	v_add_co_u32 v6, vcc_lo, v0, s50
	s_wait_alu 0xfffd
	v_add_co_ci_u32_e64 v7, null, s51, v1, vcc_lo
	global_load_b64 v[6:7], v[6:7], off
	s_wait_loadcnt 0x0
	ds_store_b64 v165, v[6:7] offset:4224
	s_wait_alu 0xfffe
	s_or_b32 exec_lo, exec_lo, s18
	s_and_saveexec_b32 s18, s15
	s_wait_alu 0xfffe
	s_xor_b32 s18, exec_lo, s18
	s_cbranch_execz .LBB114_43
.LBB114_150:                            ;   in Loop: Header=BB114_4 Depth=1
	v_mov_b32_e32 v57, v56
	ds_store_b64 v165, v[56:57] offset:6336
	s_wait_alu 0xfffe
	s_and_not1_saveexec_b32 s18, s18
	s_cbranch_execnz .LBB114_44
	s_branch .LBB114_45
.LBB114_151:                            ;   in Loop: Header=BB114_4 Depth=1
	global_load_b64 v[6:7], v[4:5], off
	s_wait_loadcnt 0x0
	ds_store_b64 v165, v[6:7]
	s_or_b32 exec_lo, exec_lo, s18
	s_and_saveexec_b32 s18, s13
	s_wait_alu 0xfffe
	s_xor_b32 s18, exec_lo, s18
	s_cbranch_execz .LBB114_60
.LBB114_152:                            ;   in Loop: Header=BB114_4 Depth=1
	v_mov_b32_e32 v57, v56
	ds_store_b64 v165, v[56:57] offset:2112
	s_wait_alu 0xfffe
	s_and_not1_saveexec_b32 s18, s18
	s_cbranch_execz .LBB114_61
.LBB114_153:                            ;   in Loop: Header=BB114_4 Depth=1
	v_add_co_u32 v6, vcc_lo, v4, s48
	s_wait_alu 0xfffd
	v_add_co_ci_u32_e64 v7, null, s49, v5, vcc_lo
	global_load_b64 v[6:7], v[6:7], off
	s_wait_loadcnt 0x0
	ds_store_b64 v165, v[6:7] offset:2112
	s_wait_alu 0xfffe
	s_or_b32 exec_lo, exec_lo, s18
	s_and_saveexec_b32 s18, s14
	s_wait_alu 0xfffe
	s_xor_b32 s18, exec_lo, s18
	s_cbranch_execz .LBB114_62
.LBB114_154:                            ;   in Loop: Header=BB114_4 Depth=1
	v_mov_b32_e32 v57, v56
	ds_store_b64 v165, v[56:57] offset:4224
	s_wait_alu 0xfffe
	s_and_not1_saveexec_b32 s18, s18
	s_cbranch_execz .LBB114_63
.LBB114_155:                            ;   in Loop: Header=BB114_4 Depth=1
	v_add_co_u32 v6, vcc_lo, v4, s50
	s_wait_alu 0xfffd
	v_add_co_ci_u32_e64 v7, null, s51, v5, vcc_lo
	global_load_b64 v[6:7], v[6:7], off
	s_wait_loadcnt 0x0
	ds_store_b64 v165, v[6:7] offset:4224
	s_wait_alu 0xfffe
	s_or_b32 exec_lo, exec_lo, s18
	s_and_saveexec_b32 s18, s15
	s_wait_alu 0xfffe
	s_xor_b32 s18, exec_lo, s18
	s_cbranch_execz .LBB114_64
.LBB114_156:                            ;   in Loop: Header=BB114_4 Depth=1
	v_mov_b32_e32 v57, v56
	ds_store_b64 v165, v[56:57] offset:6336
	s_wait_alu 0xfffe
	s_and_not1_saveexec_b32 s18, s18
	s_cbranch_execnz .LBB114_65
	s_branch .LBB114_66
.LBB114_157:
	s_nop 0
	s_sendmsg sendmsg(MSG_DEALLOC_VGPRS)
	s_endpgm
	.section	.rodata,"a",@progbits
	.p2align	6, 0x0
	.amdhsa_kernel _ZL26rocblas_hemvn_kernel_upperILb0ELi64ELi4ELi33ELi32ELi16ElPK19rocblas_complex_numIfES3_PS1_EviT6_lT7_lT5_lS6_lS7_lS5_lT8_i
		.amdhsa_group_segment_fixed_size 9600
		.amdhsa_private_segment_fixed_size 0
		.amdhsa_kernarg_size 376
		.amdhsa_user_sgpr_count 2
		.amdhsa_user_sgpr_dispatch_ptr 0
		.amdhsa_user_sgpr_queue_ptr 0
		.amdhsa_user_sgpr_kernarg_segment_ptr 1
		.amdhsa_user_sgpr_dispatch_id 0
		.amdhsa_user_sgpr_private_segment_size 0
		.amdhsa_wavefront_size32 1
		.amdhsa_uses_dynamic_stack 0
		.amdhsa_enable_private_segment 0
		.amdhsa_system_sgpr_workgroup_id_x 1
		.amdhsa_system_sgpr_workgroup_id_y 0
		.amdhsa_system_sgpr_workgroup_id_z 1
		.amdhsa_system_sgpr_workgroup_info 0
		.amdhsa_system_vgpr_workitem_id 1
		.amdhsa_next_free_vgpr 211
		.amdhsa_next_free_sgpr 74
		.amdhsa_reserve_vcc 1
		.amdhsa_float_round_mode_32 0
		.amdhsa_float_round_mode_16_64 0
		.amdhsa_float_denorm_mode_32 3
		.amdhsa_float_denorm_mode_16_64 3
		.amdhsa_fp16_overflow 0
		.amdhsa_workgroup_processor_mode 1
		.amdhsa_memory_ordered 1
		.amdhsa_forward_progress 1
		.amdhsa_inst_pref_size 89
		.amdhsa_round_robin_scheduling 0
		.amdhsa_exception_fp_ieee_invalid_op 0
		.amdhsa_exception_fp_denorm_src 0
		.amdhsa_exception_fp_ieee_div_zero 0
		.amdhsa_exception_fp_ieee_overflow 0
		.amdhsa_exception_fp_ieee_underflow 0
		.amdhsa_exception_fp_ieee_inexact 0
		.amdhsa_exception_int_div_zero 0
	.end_amdhsa_kernel
	.section	.text._ZL26rocblas_hemvn_kernel_upperILb0ELi64ELi4ELi33ELi32ELi16ElPK19rocblas_complex_numIfES3_PS1_EviT6_lT7_lT5_lS6_lS7_lS5_lT8_i,"axG",@progbits,_ZL26rocblas_hemvn_kernel_upperILb0ELi64ELi4ELi33ELi32ELi16ElPK19rocblas_complex_numIfES3_PS1_EviT6_lT7_lT5_lS6_lS7_lS5_lT8_i,comdat
.Lfunc_end114:
	.size	_ZL26rocblas_hemvn_kernel_upperILb0ELi64ELi4ELi33ELi32ELi16ElPK19rocblas_complex_numIfES3_PS1_EviT6_lT7_lT5_lS6_lS7_lS5_lT8_i, .Lfunc_end114-_ZL26rocblas_hemvn_kernel_upperILb0ELi64ELi4ELi33ELi32ELi16ElPK19rocblas_complex_numIfES3_PS1_EviT6_lT7_lT5_lS6_lS7_lS5_lT8_i
                                        ; -- End function
	.set _ZL26rocblas_hemvn_kernel_upperILb0ELi64ELi4ELi33ELi32ELi16ElPK19rocblas_complex_numIfES3_PS1_EviT6_lT7_lT5_lS6_lS7_lS5_lT8_i.num_vgpr, 211
	.set _ZL26rocblas_hemvn_kernel_upperILb0ELi64ELi4ELi33ELi32ELi16ElPK19rocblas_complex_numIfES3_PS1_EviT6_lT7_lT5_lS6_lS7_lS5_lT8_i.num_agpr, 0
	.set _ZL26rocblas_hemvn_kernel_upperILb0ELi64ELi4ELi33ELi32ELi16ElPK19rocblas_complex_numIfES3_PS1_EviT6_lT7_lT5_lS6_lS7_lS5_lT8_i.numbered_sgpr, 74
	.set _ZL26rocblas_hemvn_kernel_upperILb0ELi64ELi4ELi33ELi32ELi16ElPK19rocblas_complex_numIfES3_PS1_EviT6_lT7_lT5_lS6_lS7_lS5_lT8_i.num_named_barrier, 0
	.set _ZL26rocblas_hemvn_kernel_upperILb0ELi64ELi4ELi33ELi32ELi16ElPK19rocblas_complex_numIfES3_PS1_EviT6_lT7_lT5_lS6_lS7_lS5_lT8_i.private_seg_size, 0
	.set _ZL26rocblas_hemvn_kernel_upperILb0ELi64ELi4ELi33ELi32ELi16ElPK19rocblas_complex_numIfES3_PS1_EviT6_lT7_lT5_lS6_lS7_lS5_lT8_i.uses_vcc, 1
	.set _ZL26rocblas_hemvn_kernel_upperILb0ELi64ELi4ELi33ELi32ELi16ElPK19rocblas_complex_numIfES3_PS1_EviT6_lT7_lT5_lS6_lS7_lS5_lT8_i.uses_flat_scratch, 0
	.set _ZL26rocblas_hemvn_kernel_upperILb0ELi64ELi4ELi33ELi32ELi16ElPK19rocblas_complex_numIfES3_PS1_EviT6_lT7_lT5_lS6_lS7_lS5_lT8_i.has_dyn_sized_stack, 0
	.set _ZL26rocblas_hemvn_kernel_upperILb0ELi64ELi4ELi33ELi32ELi16ElPK19rocblas_complex_numIfES3_PS1_EviT6_lT7_lT5_lS6_lS7_lS5_lT8_i.has_recursion, 0
	.set _ZL26rocblas_hemvn_kernel_upperILb0ELi64ELi4ELi33ELi32ELi16ElPK19rocblas_complex_numIfES3_PS1_EviT6_lT7_lT5_lS6_lS7_lS5_lT8_i.has_indirect_call, 0
	.section	.AMDGPU.csdata,"",@progbits
; Kernel info:
; codeLenInByte = 11300
; TotalNumSgprs: 76
; NumVgprs: 211
; ScratchSize: 0
; MemoryBound: 1
; FloatMode: 240
; IeeeMode: 1
; LDSByteSize: 9600 bytes/workgroup (compile time only)
; SGPRBlocks: 0
; VGPRBlocks: 26
; NumSGPRsForWavesPerEU: 76
; NumVGPRsForWavesPerEU: 211
; Occupancy: 7
; WaveLimiterHint : 0
; COMPUTE_PGM_RSRC2:SCRATCH_EN: 0
; COMPUTE_PGM_RSRC2:USER_SGPR: 2
; COMPUTE_PGM_RSRC2:TRAP_HANDLER: 0
; COMPUTE_PGM_RSRC2:TGID_X_EN: 1
; COMPUTE_PGM_RSRC2:TGID_Y_EN: 0
; COMPUTE_PGM_RSRC2:TGID_Z_EN: 1
; COMPUTE_PGM_RSRC2:TIDIG_COMP_CNT: 1
	.section	.text._ZL26rocblas_hemvn_kernel_upperILb0ELi64ELi4ELi33ELi32ELi16EiPK19rocblas_complex_numIfES3_PS1_EviT6_lT7_lT5_lS6_lS7_lS5_lT8_i,"axG",@progbits,_ZL26rocblas_hemvn_kernel_upperILb0ELi64ELi4ELi33ELi32ELi16EiPK19rocblas_complex_numIfES3_PS1_EviT6_lT7_lT5_lS6_lS7_lS5_lT8_i,comdat
	.globl	_ZL26rocblas_hemvn_kernel_upperILb0ELi64ELi4ELi33ELi32ELi16EiPK19rocblas_complex_numIfES3_PS1_EviT6_lT7_lT5_lS6_lS7_lS5_lT8_i ; -- Begin function _ZL26rocblas_hemvn_kernel_upperILb0ELi64ELi4ELi33ELi32ELi16EiPK19rocblas_complex_numIfES3_PS1_EviT6_lT7_lT5_lS6_lS7_lS5_lT8_i
	.p2align	8
	.type	_ZL26rocblas_hemvn_kernel_upperILb0ELi64ELi4ELi33ELi32ELi16EiPK19rocblas_complex_numIfES3_PS1_EviT6_lT7_lT5_lS6_lS7_lS5_lT8_i,@function
_ZL26rocblas_hemvn_kernel_upperILb0ELi64ELi4ELi33ELi32ELi16EiPK19rocblas_complex_numIfES3_PS1_EviT6_lT7_lT5_lS6_lS7_lS5_lT8_i: ; @_ZL26rocblas_hemvn_kernel_upperILb0ELi64ELi4ELi33ELi32ELi16EiPK19rocblas_complex_numIfES3_PS1_EviT6_lT7_lT5_lS6_lS7_lS5_lT8_i
; %bb.0:
	s_clause 0x1
	s_load_b64 s[2:3], s[0:1], 0x84
	s_load_b32 s33, s[0:1], 0x70
	s_lshr_b32 s34, ttmp7, 16
	s_wait_kmcnt 0x0
	s_lshr_b32 s4, s2, 16
	s_and_b32 s2, s2, 0xffff
	s_and_b32 s3, s3, 0xffff
	s_mul_i32 s2, s4, s2
	s_delay_alu instid0(SALU_CYCLE_1) | instskip(NEXT) | instid1(SALU_CYCLE_1)
	s_mul_i32 s2, s2, s3
	s_cmp_lg_u32 s2, 0x100
	s_cselect_b32 s2, -1, 0
	s_cmp_ge_u32 s34, s33
	s_cselect_b32 s3, -1, 0
	s_delay_alu instid0(SALU_CYCLE_1) | instskip(NEXT) | instid1(SALU_CYCLE_1)
	s_or_b32 s2, s2, s3
	s_and_b32 vcc_lo, exec_lo, s2
	s_cbranch_vccnz .LBB115_157
; %bb.1:
	s_clause 0x2
	s_load_b32 s2, s[0:1], 0x0
	s_load_b96 s[16:18], s[0:1], 0x40
	s_load_b32 s54, s[0:1], 0x28
	v_dual_mov_b32 v57, 0 :: v_dual_and_b32 v56, 0x3ff, v0
	s_lshl_b32 s48, ttmp9, 6
	s_load_b128 s[28:31], s[0:1], 0x30
	s_add_nc_u64 s[6:7], s[0:1], 0x78
	s_delay_alu instid0(VALU_DEP_1)
	v_add_nc_u32_e32 v1, s48, v56
	s_load_b256 s[20:27], s[0:1], 0x8
	s_load_b32 s44, s[6:7], 0x0
	v_bfe_u32 v2, v0, 10, 10
	s_load_b256 s[36:43], s[0:1], 0x50
	v_and_b32_e32 v3, 31, v0
	s_mov_b32 s35, 0
	s_mov_b32 s4, ttmp9
	v_lshl_add_u32 v10, v2, 6, v56
	s_mov_b32 s45, s35
	v_lshlrev_b32_e32 v12, 3, v3
	v_lshlrev_b32_e32 v111, 2, v2
	;; [unrolled: 1-line block ×3, first 2 shown]
	v_lshrrev_b32_e32 v8, 5, v10
	s_wait_kmcnt 0x0
	v_mul_lo_u32 v4, s18, v1
	s_lshl_b64 s[0:1], s[16:17], 3
	s_ashr_i32 s3, s2, 31
	s_ashr_i32 s55, s54, 31
	s_lshr_b32 s5, s3, 26
	s_add_nc_u64 s[0:1], s[30:31], s[0:1]
	s_add_co_i32 s5, s2, s5
	s_lshl_b64 s[6:7], s[26:27], 3
	v_ashrrev_i32_e32 v5, 31, v4
	s_and_not1_b32 s5, s5, 63
	s_add_co_i32 s8, s44, -1
	s_sub_co_i32 s64, s2, s5
	s_cmp_eq_u32 ttmp9, s8
	v_lshlrev_b64_e32 v[4:5], 3, v[4:5]
	s_cselect_b32 s26, s64, 0
	s_add_nc_u64 s[6:7], s[24:25], s[6:7]
	s_cmp_lg_u32 s26, 0
	s_mul_u64 s[24:25], s[44:45], s[2:3]
	s_cselect_b32 s65, -1, 0
	v_add_co_u32 v101, vcc_lo, s0, v4
	s_delay_alu instid0(VALU_DEP_1)
	v_add_co_ci_u32_e64 v102, null, s1, v5, vcc_lo
	v_mad_co_u64_u32 v[4:5], null, s54, v8, v[3:4]
	s_cmp_eq_u32 s26, 0
	v_cmp_gt_i32_e32 vcc_lo, s26, v56
	s_cselect_b32 s1, -1, 0
	s_ashr_i32 s5, ttmp9, 31
	s_ashr_i32 s49, s48, 31
	s_mul_u64 s[4:5], s[2:3], s[4:5]
	v_ashrrev_i32_e32 v5, 31, v4
	s_wait_alu 0xfffe
	s_lshl_b64 s[2:3], s[48:49], 3
	s_lshl_b64 s[4:5], s[4:5], 3
	s_add_nc_u64 s[2:3], s[6:7], s[2:3]
	s_add_nc_u64 s[30:31], s[42:43], s[4:5]
	v_lshlrev_b64_e32 v[4:5], 3, v[4:5]
	s_mul_i32 s4, s54, s48
	s_or_b32 s19, s1, vcc_lo
	v_lshlrev_b32_e32 v15, 2, v8
	s_ashr_i32 s5, s4, 31
	v_add_nc_u32_e32 v9, 8, v8
	v_add_co_u32 v6, vcc_lo, s2, v4
	s_wait_alu 0xfffd
	v_add_co_ci_u32_e64 v7, null, s3, v5, vcc_lo
	v_lshl_or_b32 v16, v3, 8, v12
	v_and_b32_e32 v17, 0x7fe0, v10
	s_lshl_b64 s[2:3], s[4:5], 3
	v_add_nc_u32_e32 v11, 16, v8
	s_wait_alu 0xfffe
	v_add_co_u32 v105, vcc_lo, v6, s2
	v_sub_co_u32 v6, s2, 0, v3
	v_cmp_gt_u32_e64 s6, v15, v3
	v_or_b32_e32 v18, 1, v15
	v_cmp_ge_u32_e64 s7, v15, v3
	v_or_b32_e32 v20, 2, v15
	v_or_b32_e32 v15, 3, v15
	s_sub_co_i32 s15, s26, 32
	s_wait_alu 0xfffd
	v_add_co_ci_u32_e64 v106, null, s3, v7, vcc_lo
	v_sub_co_ci_u32_e64 v7, null, 0, 0, s2
	v_cmp_le_i32_e64 s2, s26, v8
	v_mul_u32_u24_e32 v13, 0x108, v8
	v_cmp_le_i32_e64 s3, s26, v9
	v_add_nc_u32_e32 v14, 24, v8
	v_add_nc_u32_e32 v107, v16, v17
	v_mul_u32_u24_e32 v16, 0x420, v8
	v_lshlrev_b32_e32 v21, 3, v8
	v_cmp_le_i32_e64 s12, s15, v8
	v_cmp_le_i32_e64 s13, s15, v9
	v_cmp_eq_u32_e64 s16, 1, v8
	v_mul_i32_i24_e32 v112, 0xffffffe8, v8
	v_mad_co_u64_u32 v[8:9], null, s54, v111, v[56:57]
	v_cmp_le_i32_e64 s4, s26, v11
	v_cmp_gt_u32_e64 s9, v15, v3
	v_or_b32_e32 v15, 32, v3
	v_cmp_le_i32_e64 s14, s15, v11
	v_lshrrev_b32_e32 v11, 4, v10
	v_cmp_le_i32_e64 s5, s26, v14
	v_cmp_le_i32_e64 s15, s15, v14
	v_cmp_gt_i32_e64 s11, s26, v15
	v_and_b32_e32 v14, 15, v0
	v_ashrrev_i32_e32 v9, 31, v8
	v_lshlrev_b32_e32 v15, 5, v11
	v_cmp_eq_u32_e64 s0, 0, v2
	s_lshl_b32 s42, s54, 3
	s_lshl_b32 s56, s54, 4
	s_mul_i32 s46, s54, 24
	s_lshl_b32 s60, s54, 5
	s_mul_i32 s48, s18, s48
	v_cmp_gt_u32_e64 s10, 32, v10
	s_add_co_i32 s52, ttmp9, 1
	v_mad_u32_u24 v116, 0x218, v14, v15
	v_mul_i32_i24_e32 v15, 0xffffffe8, v11
	v_cmp_gt_u32_e64 s17, 64, v10
	v_lshlrev_b64_e32 v[10:11], 3, v[8:9]
	s_xor_b32 s66, s19, -1
	s_ashr_i32 s27, s26, 31
	s_ashr_i32 s43, s42, 31
	;; [unrolled: 1-line block ×5, first 2 shown]
	s_wait_alu 0xfffe
	s_ashr_i32 s49, s48, 31
	s_cmp_lt_u32 s52, s44
	s_mul_i32 s82, s18, s52
	s_cselect_b32 s45, -1, 0
	s_lshl_b32 s68, s18, 6
	s_lshl_b32 s62, s54, 1
	s_and_b32 s69, s0, s19
	v_sub_co_u32 v123, vcc_lo, 0, v4
	s_lshl_b64 s[52:53], s[60:61], 3
	s_lshl_b64 s[18:19], s[54:55], 4
	s_ashr_i32 s63, s62, 31
	s_mul_i32 s70, s54, 3
	s_lshl_b64 s[72:73], s[54:55], 3
	s_wait_alu 0xfffd
	v_sub_co_ci_u32_e64 v124, null, 0, v5, vcc_lo
	v_add_co_u32 v125, vcc_lo, s52, v10
	s_wait_alu 0xfffe
	s_add_nc_u64 s[74:75], s[18:19], s[52:53]
	s_ashr_i32 s71, s70, 31
	s_wait_alu 0xfffd
	v_add_co_ci_u32_e64 v126, null, s53, v11, vcc_lo
	v_add_co_u32 v127, vcc_lo, s74, v10
	s_add_nc_u64 s[76:77], s[72:73], s[52:53]
	s_lshl_b64 s[62:63], s[62:63], 3
	s_lshl_b64 s[50:51], s[54:55], 6
	s_wait_alu 0xfffd
	v_add_co_ci_u32_e64 v128, null, s75, v11, vcc_lo
	v_add_co_u32 v129, vcc_lo, s76, v10
	s_add_nc_u64 s[54:55], s[52:53], s[62:63]
	s_lshl_b64 s[70:71], s[70:71], 3
	s_wait_alu 0xfffd
	v_add_co_ci_u32_e64 v130, null, s77, v11, vcc_lo
	s_wait_alu 0xfffe
	v_add_co_u32 v131, vcc_lo, s54, v10
	s_add_nc_u64 s[78:79], s[52:53], s[70:71]
	s_wait_alu 0xfffd
	v_add_co_ci_u32_e64 v132, null, s55, v11, vcc_lo
	s_lshl_b64 s[54:55], s[56:57], 3
	v_add_co_u32 v133, vcc_lo, s78, v10
	s_wait_alu 0xfffd
	v_add_co_ci_u32_e64 v134, null, s79, v11, vcc_lo
	s_wait_alu 0xfffe
	s_add_nc_u64 s[78:79], s[52:53], s[54:55]
	s_add_nc_u64 s[76:77], s[76:77], s[54:55]
	s_wait_alu 0xfffe
	v_add_co_u32 v135, vcc_lo, s78, v10
	s_wait_alu 0xfffd
	v_add_co_ci_u32_e64 v136, null, s79, v11, vcc_lo
	v_add_co_u32 v137, vcc_lo, s76, v10
	s_wait_alu 0xfffd
	v_add_co_ci_u32_e64 v138, null, s77, v11, vcc_lo
	s_add_nc_u64 s[76:77], s[78:79], s[62:63]
	v_mul_u32_u24_e32 v19, 33, v3
	s_wait_alu 0xfffe
	v_add_co_u32 v139, vcc_lo, s76, v10
	s_wait_alu 0xfffd
	v_add_co_ci_u32_e64 v140, null, s77, v11, vcc_lo
	s_add_nc_u64 s[76:77], s[74:75], s[54:55]
	v_and_b32_e32 v0, 48, v0
	s_wait_alu 0xfffe
	v_add_co_u32 v141, vcc_lo, s76, v10
	s_wait_alu 0xfffd
	v_add_co_ci_u32_e64 v142, null, s77, v11, vcc_lo
	s_add_nc_u64 s[76:77], s[78:79], s[70:71]
	s_lshl_b64 s[78:79], s[56:57], 4
	s_wait_alu 0xfffe
	v_add_co_u32 v143, vcc_lo, s76, v10
	s_wait_alu 0xfffd
	v_add_co_ci_u32_e64 v144, null, s77, v11, vcc_lo
	s_add_nc_u64 s[76:77], s[78:79], s[52:53]
	v_lshl_add_u32 v114, v2, 5, 0x2180
	s_wait_alu 0xfffe
	v_add_co_u32 v145, vcc_lo, s76, v10
	s_add_nc_u64 s[80:81], s[76:77], s[72:73]
	s_wait_alu 0xfffd
	v_add_co_ci_u32_e64 v146, null, s77, v11, vcc_lo
	v_add_co_u32 v147, vcc_lo, s80, v10
	s_wait_alu 0xfffd
	v_add_co_ci_u32_e64 v148, null, s81, v11, vcc_lo
	v_add_co_u32 v4, vcc_lo, s60, v8
	s_wait_alu 0xfffd
	v_add_co_ci_u32_e64 v5, null, s61, v9, vcc_lo
	s_add_nc_u64 s[80:81], s[76:77], s[62:63]
	s_add_nc_u64 s[60:61], s[74:75], s[78:79]
	s_wait_alu 0xfffe
	v_add_co_u32 v149, vcc_lo, s80, v10
	v_lshlrev_b64_e32 v[4:5], 3, v[4:5]
	s_wait_alu 0xfffd
	v_add_co_ci_u32_e64 v150, null, s81, v11, vcc_lo
	v_add_co_u32 v151, vcc_lo, s60, v10
	s_wait_alu 0xfffd
	v_add_co_ci_u32_e64 v152, null, s61, v11, vcc_lo
	v_mad_co_i64_i32 v[59:60], null, s56, 24, v[4:5]
	s_add_nc_u64 s[60:61], s[76:77], s[70:71]
	v_mad_u32_u24 v115, 0x860, v2, v103
	s_wait_alu 0xfffe
	v_add_co_u32 v153, vcc_lo, s60, v10
	s_wait_alu 0xfffd
	v_add_co_ci_u32_e64 v154, null, s61, v11, vcc_lo
	s_mul_u64 s[60:61], s[56:57], 24
	v_add_co_u32 v155, vcc_lo, v59, s72
	v_mad_u32_u24 v120, 0x218, v2, v103
	v_ashrrev_i32_e32 v2, 31, v1
	s_wait_alu 0xfffd
	v_add_co_ci_u32_e64 v156, null, s73, v60, vcc_lo
	v_add_co_u32 v157, vcc_lo, v59, s62
	s_wait_alu 0xfffe
	s_add_nc_u64 s[18:19], s[60:61], s[18:19]
	v_lshlrev_b32_e32 v108, 3, v19
	v_mul_u32_u24_e32 v18, 0x108, v18
	v_add_nc_u32_e32 v109, 0x2380, v17
	v_lshlrev_b32_e32 v0, 3, v0
	v_or_b32_e32 v17, 0x78, v103
	s_wait_alu 0xfffd
	v_add_co_ci_u32_e64 v158, null, s63, v60, vcc_lo
	s_wait_alu 0xfffe
	v_add_co_u32 v159, vcc_lo, s18, v4
	s_wait_alu 0xfffd
	v_add_co_ci_u32_e64 v160, null, s19, v5, vcc_lo
	v_add_co_u32 v164, vcc_lo, v59, s70
	v_lshlrev_b64_e32 v[61:62], 3, v[6:7]
	v_lshlrev_b64_e32 v[63:64], 3, v[1:2]
	v_add_nc_u32_e32 v104, 0x2380, v103
	v_cmp_gt_i32_e64 s1, s26, v3
	v_cmp_gt_u32_e64 s8, v20, v3
	v_add_nc_u32_e32 v110, v108, v21
	v_add_nc_u32_e32 v113, 0x2180, v103
	v_mad_u32_u24 v117, 0x218, v14, v0
	v_mad_u32_u24 v118, 0x218, v14, v17
	v_add_nc_u32_e32 v119, 51, v111
	v_add_nc_u32_e32 v121, 0x2380, v21
	;; [unrolled: 1-line block ×6, first 2 shown]
	s_wait_alu 0xfffd
	v_add_co_ci_u32_e64 v165, null, s71, v60, vcc_lo
	v_add_nc_u32_e32 v166, v116, v15
	v_lshlrev_b32_e32 v167, 3, v3
	s_sub_nc_u64 s[58:59], 0, s[48:49]
	s_add_co_i32 s67, s44, -2
	s_sub_nc_u64 s[48:49], 0, s[26:27]
	s_lshl_b32 s70, s82, 6
	s_lshl_b64 s[56:57], s[56:57], 5
	s_lshl_b64 s[58:59], s[58:59], 3
	s_branch .LBB115_4
.LBB115_2:                              ;   in Loop: Header=BB115_4 Depth=1
	s_wait_alu 0xfffe
	s_or_b32 exec_lo, exec_lo, s18
.LBB115_3:                              ;   in Loop: Header=BB115_4 Depth=1
	s_add_co_i32 s34, s34, 0x10000
	s_delay_alu instid0(SALU_CYCLE_1)
	s_cmp_lt_u32 s34, s33
	s_cbranch_scc0 .LBB115_157
.LBB115_4:                              ; =>This Loop Header: Depth=1
                                        ;     Child Loop BB115_79 Depth 2
	s_mul_u64 s[18:19], s[22:23], s[34:35]
	s_wait_alu 0xfffe
	s_lshl_b64 s[18:19], s[18:19], 3
	s_wait_alu 0xfffe
	s_add_nc_u64 s[18:19], s[20:21], s[18:19]
	global_load_b64 v[0:1], v57, s[18:19]
	s_mov_b32 s19, -1
	s_wait_loadcnt 0x0
	v_or_b32_e32 v0, v0, v1
	s_delay_alu instid0(VALU_DEP_1) | instskip(NEXT) | instid1(VALU_DEP_1)
	v_and_b32_e32 v0, 0x7fffffff, v0
	v_cmp_ne_u32_e64 s18, 0, v0
	s_wait_alu 0xfffe
	s_and_b32 vcc_lo, exec_lo, s18
	s_wait_alu 0xfffe
	s_cbranch_vccnz .LBB115_6
; %bb.5:                                ;   in Loop: Header=BB115_4 Depth=1
	s_mul_u64 s[60:61], s[40:41], s[34:35]
	s_wait_alu 0xfffe
	s_lshl_b64 s[60:61], s[60:61], 3
	s_wait_alu 0xfffe
	s_add_nc_u64 s[60:61], s[38:39], s[60:61]
	global_load_b64 v[0:1], v57, s[60:61]
	s_wait_loadcnt 0x0
	v_cmp_neq_f32_e32 vcc_lo, 1.0, v0
	v_cmp_neq_f32_e64 s19, 0, v1
	s_or_b32 s19, vcc_lo, s19
.LBB115_6:                              ;   in Loop: Header=BB115_4 Depth=1
	s_wait_alu 0xfffe
	s_and_not1_b32 vcc_lo, exec_lo, s19
	s_wait_alu 0xfffe
	s_cbranch_vccnz .LBB115_3
; %bb.7:                                ;   in Loop: Header=BB115_4 Depth=1
	s_and_not1_b32 vcc_lo, exec_lo, s18
	s_wait_alu 0xfffe
	s_cbranch_vccnz .LBB115_3
; %bb.8:                                ;   in Loop: Header=BB115_4 Depth=1
	s_mul_u64 s[18:19], s[36:37], s[34:35]
	s_wait_alu 0xfffe
	s_lshl_b64 s[18:19], s[18:19], 3
	s_wait_alu 0xfffe
	v_add_co_u32 v12, vcc_lo, v101, s18
	s_wait_alu 0xfffd
	v_add_co_ci_u32_e64 v13, null, s19, v102, vcc_lo
	s_and_saveexec_b32 s18, s0
	s_cbranch_execz .LBB115_13
; %bb.9:                                ;   in Loop: Header=BB115_4 Depth=1
	s_and_saveexec_b32 s19, s66
	s_wait_alu 0xfffe
	s_xor_b32 s19, exec_lo, s19
; %bb.10:                               ;   in Loop: Header=BB115_4 Depth=1
	v_mov_b32_e32 v58, v57
	ds_store_b64 v104, v[57:58]
; %bb.11:                               ;   in Loop: Header=BB115_4 Depth=1
	s_wait_alu 0xfffe
	s_and_not1_saveexec_b32 s19, s19
	s_cbranch_execz .LBB115_13
; %bb.12:                               ;   in Loop: Header=BB115_4 Depth=1
	global_load_b64 v[0:1], v[12:13], off
	s_wait_loadcnt 0x0
	ds_store_b64 v104, v[0:1]
.LBB115_13:                             ;   in Loop: Header=BB115_4 Depth=1
	s_wait_alu 0xfffe
	s_or_b32 exec_lo, exec_lo, s18
	s_mul_u64 s[18:19], s[28:29], s[34:35]
                                        ; implicit-def: $vgpr0_vgpr1
	s_wait_alu 0xfffe
	s_lshl_b64 s[18:19], s[18:19], 3
	s_wait_alu 0xfffe
	v_add_co_u32 v2, vcc_lo, v105, s18
	s_wait_alu 0xfffd
	v_add_co_ci_u32_e64 v3, null, s19, v106, vcc_lo
	s_and_b32 vcc_lo, exec_lo, s65
	s_mov_b32 s18, -1
	s_wait_alu 0xfffe
	s_cbranch_vccz .LBB115_25
; %bb.14:                               ;   in Loop: Header=BB115_4 Depth=1
	s_and_saveexec_b32 s18, s2
	s_wait_alu 0xfffe
	s_xor_b32 s18, exec_lo, s18
; %bb.15:                               ;   in Loop: Header=BB115_4 Depth=1
	v_mov_b32_e32 v58, v57
	ds_store_b64 v161, v[57:58]
; %bb.16:                               ;   in Loop: Header=BB115_4 Depth=1
	s_wait_alu 0xfffe
	s_or_saveexec_b32 s18, s18
	v_add_co_u32 v0, vcc_lo, v2, v61
	s_wait_alu 0xfffd
	v_add_co_ci_u32_e64 v1, null, v3, v62, vcc_lo
	s_lshl_b64 s[60:61], s[26:27], 3
	s_wait_alu 0xfffe
	v_add_co_u32 v0, vcc_lo, v0, s60
	s_wait_alu 0xfffd
	v_add_co_ci_u32_e64 v1, null, s61, v1, vcc_lo
	s_delay_alu instid0(VALU_DEP_2) | instskip(SKIP_1) | instid1(VALU_DEP_2)
	v_add_co_u32 v0, vcc_lo, v0, -8
	s_wait_alu 0xfffd
	v_add_co_ci_u32_e64 v1, null, -1, v1, vcc_lo
	s_delay_alu instid0(VALU_DEP_2) | instskip(NEXT) | instid1(VALU_DEP_2)
	v_cndmask_b32_e64 v0, v0, v2, s1
	v_cndmask_b32_e64 v1, v1, v3, s1
	s_xor_b32 exec_lo, exec_lo, s18
	s_cbranch_execnz .LBB115_139
; %bb.17:                               ;   in Loop: Header=BB115_4 Depth=1
	s_or_b32 exec_lo, exec_lo, s18
	s_and_saveexec_b32 s18, s3
	s_wait_alu 0xfffe
	s_xor_b32 s18, exec_lo, s18
	s_cbranch_execnz .LBB115_140
.LBB115_18:                             ;   in Loop: Header=BB115_4 Depth=1
	s_wait_alu 0xfffe
	s_and_not1_saveexec_b32 s18, s18
	s_cbranch_execnz .LBB115_141
.LBB115_19:                             ;   in Loop: Header=BB115_4 Depth=1
	s_wait_alu 0xfffe
	s_or_b32 exec_lo, exec_lo, s18
	s_and_saveexec_b32 s18, s4
	s_wait_alu 0xfffe
	s_xor_b32 s18, exec_lo, s18
	s_cbranch_execnz .LBB115_142
.LBB115_20:                             ;   in Loop: Header=BB115_4 Depth=1
	s_wait_alu 0xfffe
	s_and_not1_saveexec_b32 s18, s18
	s_cbranch_execnz .LBB115_143
.LBB115_21:                             ;   in Loop: Header=BB115_4 Depth=1
	s_wait_alu 0xfffe
	s_or_b32 exec_lo, exec_lo, s18
	s_and_saveexec_b32 s18, s5
	s_wait_alu 0xfffe
	s_xor_b32 s18, exec_lo, s18
	s_cbranch_execnz .LBB115_144
.LBB115_22:                             ;   in Loop: Header=BB115_4 Depth=1
	s_wait_alu 0xfffe
	s_and_not1_saveexec_b32 s18, s18
	s_cbranch_execz .LBB115_24
.LBB115_23:                             ;   in Loop: Header=BB115_4 Depth=1
	s_lshl_b64 s[60:61], s[46:47], 3
	s_wait_alu 0xfffe
	v_add_co_u32 v4, vcc_lo, v0, s60
	s_wait_alu 0xfffd
	v_add_co_ci_u32_e64 v5, null, s61, v1, vcc_lo
	global_load_b64 v[4:5], v[4:5], off
	s_wait_loadcnt 0x0
	ds_store_b64 v161, v[4:5] offset:6336
.LBB115_24:                             ;   in Loop: Header=BB115_4 Depth=1
	s_wait_alu 0xfffe
	s_or_b32 exec_lo, exec_lo, s18
	v_add_co_u32 v0, vcc_lo, v0, v167
	s_wait_alu 0xfffd
	v_add_co_ci_u32_e64 v1, null, 0, v1, vcc_lo
	s_lshl_b64 s[18:19], s[48:49], 3
	s_wait_alu 0xfffe
	v_add_co_u32 v0, vcc_lo, v0, s18
	s_wait_alu 0xfffd
	v_add_co_ci_u32_e64 v1, null, s19, v1, vcc_lo
	s_mov_b32 s18, 0
	v_add_co_u32 v0, vcc_lo, v0, 8
	s_wait_alu 0xfffd
	v_add_co_ci_u32_e64 v1, null, 0, v1, vcc_lo
	s_delay_alu instid0(VALU_DEP_2) | instskip(NEXT) | instid1(VALU_DEP_2)
	v_cndmask_b32_e64 v0, v0, v2, s1
	v_cndmask_b32_e64 v1, v1, v3, s1
.LBB115_25:                             ;   in Loop: Header=BB115_4 Depth=1
	s_wait_alu 0xfffe
	s_and_b32 vcc_lo, exec_lo, s18
	s_wait_alu 0xfffe
	s_cbranch_vccz .LBB115_27
; %bb.26:                               ;   in Loop: Header=BB115_4 Depth=1
	s_lshl_b64 s[18:19], s[42:43], 3
	s_wait_alu 0xfffe
	v_add_co_u32 v0, vcc_lo, v2, s18
	s_wait_alu 0xfffd
	v_add_co_ci_u32_e64 v1, null, s19, v3, vcc_lo
	s_delay_alu instid0(VALU_DEP_2) | instskip(SKIP_1) | instid1(VALU_DEP_2)
	v_add_co_u32 v4, vcc_lo, v0, s50
	s_wait_alu 0xfffd
	v_add_co_ci_u32_e64 v5, null, s51, v1, vcc_lo
	s_delay_alu instid0(VALU_DEP_2) | instskip(SKIP_1) | instid1(VALU_DEP_2)
	v_add_co_u32 v6, vcc_lo, v4, s50
	s_wait_alu 0xfffd
	v_add_co_ci_u32_e64 v7, null, s51, v5, vcc_lo
	s_clause 0x3
	global_load_b64 v[8:9], v[2:3], off
	global_load_b64 v[10:11], v[0:1], off
	;; [unrolled: 1-line block ×4, first 2 shown]
	v_dual_mov_b32 v0, v2 :: v_dual_mov_b32 v1, v3
	s_wait_loadcnt 0x3
	ds_store_b64 v161, v[8:9]
	s_wait_loadcnt 0x2
	ds_store_b64 v161, v[10:11] offset:2112
	s_wait_loadcnt 0x1
	ds_store_b64 v161, v[4:5] offset:4224
	;; [unrolled: 2-line block ×3, first 2 shown]
.LBB115_27:                             ;   in Loop: Header=BB115_4 Depth=1
	s_wait_dscnt 0x0
	s_barrier_signal -1
	s_barrier_wait -1
	global_inv scope:SCOPE_SE
	s_and_saveexec_b32 s18, s6
	s_cbranch_execnz .LBB115_133
; %bb.28:                               ;   in Loop: Header=BB115_4 Depth=1
	s_wait_alu 0xfffe
	s_or_b32 exec_lo, exec_lo, s18
	s_and_saveexec_b32 s18, s7
	s_cbranch_execnz .LBB115_134
.LBB115_29:                             ;   in Loop: Header=BB115_4 Depth=1
	s_wait_alu 0xfffe
	s_or_b32 exec_lo, exec_lo, s18
	s_and_saveexec_b32 s18, s8
	s_cbranch_execnz .LBB115_135
.LBB115_30:                             ;   in Loop: Header=BB115_4 Depth=1
	s_wait_alu 0xfffe
	s_or_b32 exec_lo, exec_lo, s18
	s_and_saveexec_b32 s18, s9
	s_cbranch_execz .LBB115_32
.LBB115_31:                             ;   in Loop: Header=BB115_4 Depth=1
	ds_load_b64 v[2:3], v163 offset:528
	s_wait_dscnt 0x0
	ds_store_b64 v107, v[2:3] offset:24
.LBB115_32:                             ;   in Loop: Header=BB115_4 Depth=1
	s_wait_alu 0xfffe
	s_or_b32 exec_lo, exec_lo, s18
	s_wait_loadcnt_dscnt 0x0
	s_barrier_signal -1
	s_barrier_wait -1
	global_inv scope:SCOPE_SE
	ds_load_b64 v[10:11], v162
	ds_load_b128 v[2:5], v109
	ds_load_2addr_b64 v[6:9], v163 offset1:33
	ds_load_b128 v[14:17], v109 offset:16
	ds_load_b64 v[18:19], v163 offset:528
	s_wait_loadcnt_dscnt 0x0
	s_barrier_signal -1
	s_barrier_wait -1
	global_inv scope:SCOPE_SE
	v_mov_b32_e32 v66, 0
	v_mul_f32_e32 v20, v3, v11
	v_dual_mul_f32 v11, v2, v11 :: v_dual_mul_f32 v22, v15, v9
	v_mul_f32_e32 v9, v14, v9
	s_delay_alu instid0(VALU_DEP_3) | instskip(SKIP_1) | instid1(VALU_DEP_4)
	v_fma_f32 v2, v2, v10, -v20
	v_mul_f32_e32 v21, v5, v7
	v_fmac_f32_e32 v11, v3, v10
	s_delay_alu instid0(VALU_DEP_4) | instskip(SKIP_3) | instid1(VALU_DEP_1)
	v_fmac_f32_e32 v9, v15, v8
	v_fma_f32 v10, v14, v8, -v22
	v_dual_add_f32 v2, 0, v2 :: v_dual_mul_f32 v7, v4, v7
	v_fma_f32 v4, v4, v6, -v21
	v_dual_add_f32 v2, v2, v4 :: v_dual_fmac_f32 v7, v5, v6
	v_mul_f32_e32 v6, v16, v19
	v_add_f32_e32 v5, 0, v11
	s_delay_alu instid0(VALU_DEP_3) | instskip(NEXT) | instid1(VALU_DEP_3)
	v_dual_mul_f32 v3, v17, v19 :: v_dual_add_f32 v2, v2, v10
	v_fmac_f32_e32 v6, v17, v18
	s_delay_alu instid0(VALU_DEP_3) | instskip(NEXT) | instid1(VALU_DEP_3)
	v_add_f32_e32 v4, v5, v7
	v_fma_f32 v3, v16, v18, -v3
	s_delay_alu instid0(VALU_DEP_2) | instskip(NEXT) | instid1(VALU_DEP_1)
	v_dual_mov_b32 v65, 0 :: v_dual_add_f32 v4, v4, v9
	v_dual_add_f32 v2, v2, v3 :: v_dual_add_f32 v3, v4, v6
	ds_store_b64 v110, v[2:3]
	s_wait_loadcnt_dscnt 0x0
	s_barrier_signal -1
	s_barrier_wait -1
	global_inv scope:SCOPE_SE
	s_and_saveexec_b32 s18, s10
	s_cbranch_execz .LBB115_34
; %bb.33:                               ;   in Loop: Header=BB115_4 Depth=1
	ds_load_2addr_b64 v[2:5], v108 offset1:7
	ds_load_2addr_b64 v[6:9], v108 offset0:1 offset1:2
	ds_load_2addr_b64 v[14:17], v108 offset0:3 offset1:4
	;; [unrolled: 1-line block ×3, first 2 shown]
	s_wait_dscnt 0x2
	v_dual_add_f32 v2, v6, v2 :: v_dual_add_f32 v3, v7, v3
	s_delay_alu instid0(VALU_DEP_1) | instskip(SKIP_1) | instid1(VALU_DEP_1)
	v_dual_add_f32 v2, v8, v2 :: v_dual_add_f32 v3, v9, v3
	s_wait_dscnt 0x1
	v_dual_add_f32 v2, v2, v14 :: v_dual_add_f32 v3, v3, v15
	s_delay_alu instid0(VALU_DEP_1) | instskip(SKIP_1) | instid1(VALU_DEP_1)
	v_dual_add_f32 v2, v2, v16 :: v_dual_add_f32 v3, v3, v17
	s_wait_dscnt 0x0
	v_dual_add_f32 v2, v2, v18 :: v_dual_add_f32 v3, v3, v19
	s_delay_alu instid0(VALU_DEP_1) | instskip(NEXT) | instid1(VALU_DEP_1)
	v_dual_add_f32 v2, v2, v20 :: v_dual_add_f32 v3, v3, v21
	v_dual_add_f32 v65, v2, v4 :: v_dual_add_f32 v66, v3, v5
.LBB115_34:                             ;   in Loop: Header=BB115_4 Depth=1
	s_wait_alu 0xfffe
	s_or_b32 exec_lo, exec_lo, s18
	v_add_co_u32 v4, vcc_lo, v0, s52
	s_wait_alu 0xfffd
	v_add_co_ci_u32_e64 v5, null, s53, v1, vcc_lo
	s_mov_b32 s18, -1
	v_add_co_u32 v2, vcc_lo, 0x100, v4
	s_wait_alu 0xfffd
	v_add_co_ci_u32_e64 v3, null, 0, v5, vcc_lo
	s_and_b32 vcc_lo, exec_lo, s65
	s_wait_loadcnt 0x0
	s_barrier_signal -1
	s_barrier_wait -1
	global_inv scope:SCOPE_SE
                                        ; implicit-def: $vgpr0_vgpr1
	s_wait_alu 0xfffe
	s_cbranch_vccz .LBB115_46
; %bb.35:                               ;   in Loop: Header=BB115_4 Depth=1
	s_and_saveexec_b32 s18, s12
	s_wait_alu 0xfffe
	s_xor_b32 s18, exec_lo, s18
; %bb.36:                               ;   in Loop: Header=BB115_4 Depth=1
	v_mov_b32_e32 v58, v57
	ds_store_b64 v161, v[57:58]
; %bb.37:                               ;   in Loop: Header=BB115_4 Depth=1
	s_wait_alu 0xfffe
	s_or_saveexec_b32 s18, s18
	v_add_co_u32 v0, vcc_lo, v4, v61
	s_wait_alu 0xfffd
	v_add_co_ci_u32_e64 v1, null, v5, v62, vcc_lo
	s_lshl_b64 s[60:61], s[26:27], 3
	s_wait_alu 0xfffe
	v_add_co_u32 v0, vcc_lo, v0, s60
	s_wait_alu 0xfffd
	v_add_co_ci_u32_e64 v1, null, s61, v1, vcc_lo
	s_delay_alu instid0(VALU_DEP_2) | instskip(SKIP_1) | instid1(VALU_DEP_2)
	v_add_co_u32 v0, vcc_lo, v0, -8
	s_wait_alu 0xfffd
	v_add_co_ci_u32_e64 v1, null, -1, v1, vcc_lo
	s_delay_alu instid0(VALU_DEP_2) | instskip(NEXT) | instid1(VALU_DEP_2)
	v_cndmask_b32_e64 v0, v0, v2, s11
	v_cndmask_b32_e64 v1, v1, v3, s11
	s_xor_b32 exec_lo, exec_lo, s18
	s_cbranch_execnz .LBB115_145
; %bb.38:                               ;   in Loop: Header=BB115_4 Depth=1
	s_or_b32 exec_lo, exec_lo, s18
	s_and_saveexec_b32 s18, s13
	s_wait_alu 0xfffe
	s_xor_b32 s18, exec_lo, s18
	s_cbranch_execnz .LBB115_146
.LBB115_39:                             ;   in Loop: Header=BB115_4 Depth=1
	s_wait_alu 0xfffe
	s_and_not1_saveexec_b32 s18, s18
	s_cbranch_execnz .LBB115_147
.LBB115_40:                             ;   in Loop: Header=BB115_4 Depth=1
	s_wait_alu 0xfffe
	s_or_b32 exec_lo, exec_lo, s18
	s_and_saveexec_b32 s18, s14
	s_wait_alu 0xfffe
	s_xor_b32 s18, exec_lo, s18
	s_cbranch_execnz .LBB115_148
.LBB115_41:                             ;   in Loop: Header=BB115_4 Depth=1
	s_wait_alu 0xfffe
	s_and_not1_saveexec_b32 s18, s18
	s_cbranch_execnz .LBB115_149
.LBB115_42:                             ;   in Loop: Header=BB115_4 Depth=1
	s_wait_alu 0xfffe
	s_or_b32 exec_lo, exec_lo, s18
	s_and_saveexec_b32 s18, s15
	s_wait_alu 0xfffe
	s_xor_b32 s18, exec_lo, s18
	s_cbranch_execnz .LBB115_150
.LBB115_43:                             ;   in Loop: Header=BB115_4 Depth=1
	s_wait_alu 0xfffe
	s_and_not1_saveexec_b32 s18, s18
	s_cbranch_execz .LBB115_45
.LBB115_44:                             ;   in Loop: Header=BB115_4 Depth=1
	s_lshl_b64 s[60:61], s[46:47], 3
	s_wait_alu 0xfffe
	v_add_co_u32 v6, vcc_lo, v0, s60
	s_wait_alu 0xfffd
	v_add_co_ci_u32_e64 v7, null, s61, v1, vcc_lo
	global_load_b64 v[6:7], v[6:7], off
	s_wait_loadcnt 0x0
	ds_store_b64 v161, v[6:7] offset:6336
.LBB115_45:                             ;   in Loop: Header=BB115_4 Depth=1
	s_wait_alu 0xfffe
	s_or_b32 exec_lo, exec_lo, s18
	v_add_co_u32 v0, vcc_lo, v0, v167
	s_wait_alu 0xfffd
	v_add_co_ci_u32_e64 v1, null, 0, v1, vcc_lo
	s_lshl_b64 s[18:19], s[48:49], 3
	s_wait_alu 0xfffe
	v_add_co_u32 v0, vcc_lo, v0, s18
	s_wait_alu 0xfffd
	v_add_co_ci_u32_e64 v1, null, s19, v1, vcc_lo
	s_mov_b32 s18, 0
	v_add_co_u32 v0, vcc_lo, 0x108, v0
	s_wait_alu 0xfffd
	v_add_co_ci_u32_e64 v1, null, 0, v1, vcc_lo
	s_delay_alu instid0(VALU_DEP_2) | instskip(NEXT) | instid1(VALU_DEP_2)
	v_cndmask_b32_e64 v0, v0, v2, s11
	v_cndmask_b32_e64 v1, v1, v3, s11
.LBB115_46:                             ;   in Loop: Header=BB115_4 Depth=1
	s_wait_alu 0xfffe
	s_and_b32 vcc_lo, exec_lo, s18
	s_wait_alu 0xfffe
	s_cbranch_vccz .LBB115_48
; %bb.47:                               ;   in Loop: Header=BB115_4 Depth=1
	s_lshl_b64 s[18:19], s[42:43], 3
	s_wait_alu 0xfffe
	v_add_co_u32 v0, vcc_lo, v4, s18
	s_wait_alu 0xfffd
	v_add_co_ci_u32_e64 v1, null, s19, v5, vcc_lo
	s_delay_alu instid0(VALU_DEP_2) | instskip(SKIP_1) | instid1(VALU_DEP_2)
	v_add_co_u32 v6, vcc_lo, v0, s50
	s_wait_alu 0xfffd
	v_add_co_ci_u32_e64 v7, null, s51, v1, vcc_lo
	s_delay_alu instid0(VALU_DEP_2) | instskip(SKIP_1) | instid1(VALU_DEP_2)
	v_add_co_u32 v8, vcc_lo, v6, s50
	s_wait_alu 0xfffd
	v_add_co_ci_u32_e64 v9, null, s51, v7, vcc_lo
	s_clause 0x3
	global_load_b64 v[4:5], v[4:5], off offset:256
	global_load_b64 v[10:11], v[0:1], off offset:256
	;; [unrolled: 1-line block ×4, first 2 shown]
	v_dual_mov_b32 v0, v2 :: v_dual_mov_b32 v1, v3
	s_wait_loadcnt 0x3
	ds_store_b64 v161, v[4:5]
	s_wait_loadcnt 0x2
	ds_store_b64 v161, v[10:11] offset:2112
	s_wait_loadcnt 0x1
	ds_store_b64 v161, v[6:7] offset:4224
	;; [unrolled: 2-line block ×3, first 2 shown]
.LBB115_48:                             ;   in Loop: Header=BB115_4 Depth=1
	s_wait_loadcnt_dscnt 0x0
	s_barrier_signal -1
	s_barrier_wait -1
	global_inv scope:SCOPE_SE
	s_and_saveexec_b32 s18, s6
	s_cbranch_execnz .LBB115_136
; %bb.49:                               ;   in Loop: Header=BB115_4 Depth=1
	s_wait_alu 0xfffe
	s_or_b32 exec_lo, exec_lo, s18
	s_and_saveexec_b32 s18, s7
	s_cbranch_execnz .LBB115_137
.LBB115_50:                             ;   in Loop: Header=BB115_4 Depth=1
	s_wait_alu 0xfffe
	s_or_b32 exec_lo, exec_lo, s18
	s_and_saveexec_b32 s18, s8
	s_cbranch_execnz .LBB115_138
.LBB115_51:                             ;   in Loop: Header=BB115_4 Depth=1
	s_wait_alu 0xfffe
	s_or_b32 exec_lo, exec_lo, s18
	s_and_saveexec_b32 s18, s9
	s_cbranch_execz .LBB115_53
.LBB115_52:                             ;   in Loop: Header=BB115_4 Depth=1
	ds_load_b64 v[2:3], v163 offset:528
	s_wait_dscnt 0x0
	ds_store_b64 v107, v[2:3] offset:24
.LBB115_53:                             ;   in Loop: Header=BB115_4 Depth=1
	s_wait_alu 0xfffe
	s_or_b32 exec_lo, exec_lo, s18
	s_wait_loadcnt_dscnt 0x0
	s_barrier_signal -1
	s_barrier_wait -1
	global_inv scope:SCOPE_SE
	ds_load_b64 v[10:11], v162
	ds_load_b128 v[2:5], v109 offset:256
	ds_load_2addr_b64 v[6:9], v163 offset1:33
	ds_load_b128 v[14:17], v109 offset:272
	ds_load_b64 v[18:19], v163 offset:528
	s_wait_loadcnt_dscnt 0x0
	s_barrier_signal -1
	s_barrier_wait -1
	global_inv scope:SCOPE_SE
	v_mul_f32_e32 v20, v3, v11
	v_dual_mul_f32 v11, v2, v11 :: v_dual_mul_f32 v22, v15, v9
	v_mul_f32_e32 v9, v14, v9
	s_delay_alu instid0(VALU_DEP_3) | instskip(SKIP_1) | instid1(VALU_DEP_4)
	v_fma_f32 v2, v2, v10, -v20
	v_mul_f32_e32 v21, v5, v7
	v_fmac_f32_e32 v11, v3, v10
	s_delay_alu instid0(VALU_DEP_4) | instskip(SKIP_3) | instid1(VALU_DEP_1)
	v_fmac_f32_e32 v9, v15, v8
	v_fma_f32 v10, v14, v8, -v22
	v_dual_add_f32 v2, 0, v2 :: v_dual_mul_f32 v7, v4, v7
	v_fma_f32 v4, v4, v6, -v21
	v_dual_add_f32 v2, v2, v4 :: v_dual_fmac_f32 v7, v5, v6
	v_mul_f32_e32 v6, v16, v19
	v_add_f32_e32 v5, 0, v11
	s_delay_alu instid0(VALU_DEP_3) | instskip(NEXT) | instid1(VALU_DEP_3)
	v_dual_mul_f32 v3, v17, v19 :: v_dual_add_f32 v2, v2, v10
	v_fmac_f32_e32 v6, v17, v18
	s_delay_alu instid0(VALU_DEP_3) | instskip(NEXT) | instid1(VALU_DEP_3)
	v_add_f32_e32 v4, v5, v7
	v_fma_f32 v3, v16, v18, -v3
	s_delay_alu instid0(VALU_DEP_2) | instskip(NEXT) | instid1(VALU_DEP_1)
	v_add_f32_e32 v4, v4, v9
	v_dual_add_f32 v2, v2, v3 :: v_dual_add_f32 v3, v4, v6
	ds_store_b64 v110, v[2:3]
	s_wait_loadcnt_dscnt 0x0
	s_barrier_signal -1
	s_barrier_wait -1
	global_inv scope:SCOPE_SE
	s_and_saveexec_b32 s18, s16
	s_cbranch_execz .LBB115_55
; %bb.54:                               ;   in Loop: Header=BB115_4 Depth=1
	ds_load_2addr_b64 v[2:5], v108 offset1:7
	ds_load_2addr_b64 v[6:9], v108 offset0:1 offset1:2
	ds_load_2addr_b64 v[14:17], v108 offset0:3 offset1:4
	;; [unrolled: 1-line block ×3, first 2 shown]
	s_wait_dscnt 0x2
	v_dual_add_f32 v2, v6, v2 :: v_dual_add_f32 v3, v7, v3
	s_delay_alu instid0(VALU_DEP_1) | instskip(SKIP_1) | instid1(VALU_DEP_1)
	v_dual_add_f32 v2, v8, v2 :: v_dual_add_f32 v3, v9, v3
	s_wait_dscnt 0x1
	v_dual_add_f32 v2, v2, v14 :: v_dual_add_f32 v3, v3, v15
	s_delay_alu instid0(VALU_DEP_1) | instskip(SKIP_1) | instid1(VALU_DEP_1)
	v_dual_add_f32 v2, v2, v16 :: v_dual_add_f32 v3, v3, v17
	s_wait_dscnt 0x0
	v_dual_add_f32 v2, v2, v18 :: v_dual_add_f32 v3, v3, v19
	s_delay_alu instid0(VALU_DEP_1) | instskip(NEXT) | instid1(VALU_DEP_1)
	v_dual_add_f32 v2, v2, v20 :: v_dual_add_f32 v3, v3, v21
	v_dual_add_f32 v65, v2, v4 :: v_dual_add_f32 v66, v3, v5
.LBB115_55:                             ;   in Loop: Header=BB115_4 Depth=1
	s_wait_alu 0xfffe
	s_or_b32 exec_lo, exec_lo, s18
	v_add_co_u32 v2, vcc_lo, 0xffffff00, v0
	s_wait_alu 0xfffd
	v_add_co_ci_u32_e64 v3, null, -1, v1, vcc_lo
	s_and_b32 vcc_lo, exec_lo, s65
	s_mov_b32 s18, -1
	s_wait_loadcnt 0x0
	s_barrier_signal -1
	s_barrier_wait -1
	global_inv scope:SCOPE_SE
                                        ; implicit-def: $vgpr14_vgpr15
	s_wait_alu 0xfffe
	s_cbranch_vccz .LBB115_67
; %bb.56:                               ;   in Loop: Header=BB115_4 Depth=1
	s_and_saveexec_b32 s18, s12
	s_wait_alu 0xfffe
	s_xor_b32 s18, exec_lo, s18
; %bb.57:                               ;   in Loop: Header=BB115_4 Depth=1
	v_mov_b32_e32 v58, v57
	ds_store_b64 v161, v[57:58]
; %bb.58:                               ;   in Loop: Header=BB115_4 Depth=1
	s_wait_alu 0xfffe
	s_or_saveexec_b32 s18, s18
	v_add_co_u32 v4, vcc_lo, v0, v61
	s_wait_alu 0xfffd
	v_add_co_ci_u32_e64 v5, null, v1, v62, vcc_lo
	s_lshl_b64 s[60:61], s[26:27], 3
	s_wait_alu 0xfffe
	v_add_co_u32 v4, vcc_lo, v4, s60
	s_wait_alu 0xfffd
	v_add_co_ci_u32_e64 v5, null, s61, v5, vcc_lo
	s_delay_alu instid0(VALU_DEP_2) | instskip(SKIP_1) | instid1(VALU_DEP_2)
	v_add_co_u32 v4, vcc_lo, 0xfffffef8, v4
	s_wait_alu 0xfffd
	v_add_co_ci_u32_e64 v5, null, -1, v5, vcc_lo
	s_delay_alu instid0(VALU_DEP_2) | instskip(NEXT) | instid1(VALU_DEP_2)
	v_cndmask_b32_e64 v4, v4, v2, s1
	v_cndmask_b32_e64 v5, v5, v3, s1
	s_xor_b32 exec_lo, exec_lo, s18
	s_cbranch_execnz .LBB115_151
; %bb.59:                               ;   in Loop: Header=BB115_4 Depth=1
	s_or_b32 exec_lo, exec_lo, s18
	s_and_saveexec_b32 s18, s13
	s_wait_alu 0xfffe
	s_xor_b32 s18, exec_lo, s18
	s_cbranch_execnz .LBB115_152
.LBB115_60:                             ;   in Loop: Header=BB115_4 Depth=1
	s_wait_alu 0xfffe
	s_and_not1_saveexec_b32 s18, s18
	s_cbranch_execnz .LBB115_153
.LBB115_61:                             ;   in Loop: Header=BB115_4 Depth=1
	s_wait_alu 0xfffe
	s_or_b32 exec_lo, exec_lo, s18
	s_and_saveexec_b32 s18, s14
	s_wait_alu 0xfffe
	s_xor_b32 s18, exec_lo, s18
	s_cbranch_execnz .LBB115_154
.LBB115_62:                             ;   in Loop: Header=BB115_4 Depth=1
	s_wait_alu 0xfffe
	s_and_not1_saveexec_b32 s18, s18
	s_cbranch_execnz .LBB115_155
.LBB115_63:                             ;   in Loop: Header=BB115_4 Depth=1
	s_wait_alu 0xfffe
	s_or_b32 exec_lo, exec_lo, s18
	s_and_saveexec_b32 s18, s15
	s_wait_alu 0xfffe
	s_xor_b32 s18, exec_lo, s18
	s_cbranch_execnz .LBB115_156
.LBB115_64:                             ;   in Loop: Header=BB115_4 Depth=1
	s_wait_alu 0xfffe
	s_and_not1_saveexec_b32 s18, s18
	s_cbranch_execz .LBB115_66
.LBB115_65:                             ;   in Loop: Header=BB115_4 Depth=1
	s_lshl_b64 s[60:61], s[46:47], 3
	s_wait_alu 0xfffe
	v_add_co_u32 v6, vcc_lo, v4, s60
	s_wait_alu 0xfffd
	v_add_co_ci_u32_e64 v7, null, s61, v5, vcc_lo
	global_load_b64 v[6:7], v[6:7], off
	s_wait_loadcnt 0x0
	ds_store_b64 v161, v[6:7] offset:6336
.LBB115_66:                             ;   in Loop: Header=BB115_4 Depth=1
	s_wait_alu 0xfffe
	s_or_b32 exec_lo, exec_lo, s18
	v_add_co_u32 v4, vcc_lo, v4, v167
	s_wait_alu 0xfffd
	v_add_co_ci_u32_e64 v5, null, 0, v5, vcc_lo
	s_lshl_b64 s[18:19], s[48:49], 3
	s_wait_alu 0xfffe
	v_add_co_u32 v4, vcc_lo, v4, s18
	s_wait_alu 0xfffd
	v_add_co_ci_u32_e64 v5, null, s19, v5, vcc_lo
	s_mov_b32 s18, 0
	v_add_co_u32 v4, vcc_lo, v4, 8
	s_wait_alu 0xfffd
	v_add_co_ci_u32_e64 v5, null, 0, v5, vcc_lo
	s_delay_alu instid0(VALU_DEP_2) | instskip(NEXT) | instid1(VALU_DEP_2)
	v_cndmask_b32_e64 v14, v4, v2, s1
	v_cndmask_b32_e64 v15, v5, v3, s1
.LBB115_67:                             ;   in Loop: Header=BB115_4 Depth=1
	s_wait_alu 0xfffe
	s_and_b32 vcc_lo, exec_lo, s18
	s_wait_alu 0xfffe
	s_cbranch_vccz .LBB115_69
; %bb.68:                               ;   in Loop: Header=BB115_4 Depth=1
	s_lshl_b64 s[18:19], s[42:43], 3
	v_dual_mov_b32 v15, v3 :: v_dual_mov_b32 v14, v2
	s_wait_alu 0xfffe
	v_add_co_u32 v4, vcc_lo, v0, s18
	s_wait_alu 0xfffd
	v_add_co_ci_u32_e64 v5, null, s19, v1, vcc_lo
	s_delay_alu instid0(VALU_DEP_2) | instskip(SKIP_1) | instid1(VALU_DEP_2)
	v_add_co_u32 v6, vcc_lo, v4, s50
	s_wait_alu 0xfffd
	v_add_co_ci_u32_e64 v7, null, s51, v5, vcc_lo
	s_delay_alu instid0(VALU_DEP_2) | instskip(SKIP_1) | instid1(VALU_DEP_2)
	v_add_co_u32 v8, vcc_lo, v6, s50
	s_wait_alu 0xfffd
	v_add_co_ci_u32_e64 v9, null, s51, v7, vcc_lo
	s_clause 0x3
	global_load_b64 v[0:1], v[0:1], off offset:-256
	global_load_b64 v[4:5], v[4:5], off offset:-256
	;; [unrolled: 1-line block ×4, first 2 shown]
	s_wait_loadcnt 0x3
	ds_store_b64 v161, v[0:1]
	s_wait_loadcnt 0x2
	ds_store_b64 v161, v[4:5] offset:2112
	s_wait_loadcnt 0x1
	ds_store_b64 v161, v[6:7] offset:4224
	s_wait_loadcnt 0x0
	ds_store_b64 v161, v[8:9] offset:6336
.LBB115_69:                             ;   in Loop: Header=BB115_4 Depth=1
	v_add_nc_u32_e32 v0, v107, v112
	v_add_nc_u32_e32 v1, v109, v112
	s_wait_loadcnt_dscnt 0x0
	s_barrier_signal -1
	s_barrier_wait -1
	global_inv scope:SCOPE_SE
	ds_load_2addr_b64 v[20:23], v110 offset0:8 offset1:16
	ds_load_2addr_b64 v[24:27], v121 offset0:8 offset1:16
	ds_load_b64 v[28:29], v0
	ds_load_b64 v[30:31], v1
	ds_load_b64 v[32:33], v110 offset:192
	ds_load_b64 v[34:35], v121 offset:192
	ds_load_b128 v[8:11], v109 offset:256
	ds_load_b128 v[0:3], v109 offset:272
	ds_load_2addr_b64 v[4:7], v163 offset1:33
	ds_load_b64 v[18:19], v162
	ds_load_b64 v[16:17], v163 offset:528
	s_wait_loadcnt_dscnt 0x0
	s_barrier_signal -1
	s_barrier_wait -1
	global_inv scope:SCOPE_SE
	v_mul_f32_e32 v38, v27, v23
	v_mul_f32_e32 v37, v31, v29
	;; [unrolled: 1-line block ×4, first 2 shown]
	s_delay_alu instid0(VALU_DEP_3) | instskip(NEXT) | instid1(VALU_DEP_3)
	v_fma_f32 v30, v30, v28, -v37
	v_dual_fmac_f32 v29, v31, v28 :: v_dual_mul_f32 v28, v34, v33
	v_mul_f32_e32 v21, v24, v21
	s_delay_alu instid0(VALU_DEP_4) | instskip(NEXT) | instid1(VALU_DEP_3)
	v_fma_f32 v24, v24, v20, -v36
	v_fmac_f32_e32 v28, v35, v32
	s_delay_alu instid0(VALU_DEP_3) | instskip(SKIP_1) | instid1(VALU_DEP_2)
	v_dual_fmac_f32 v21, v25, v20 :: v_dual_add_f32 v20, 0, v30
	v_mul_f32_e32 v39, v35, v33
	v_dual_add_f32 v25, 0, v29 :: v_dual_add_f32 v20, v20, v24
	v_mul_f32_e32 v23, v26, v23
	v_fma_f32 v26, v26, v22, -v38
	s_delay_alu instid0(VALU_DEP_1) | instskip(NEXT) | instid1(VALU_DEP_3)
	v_add_f32_e32 v20, v20, v26
	v_fmac_f32_e32 v23, v27, v22
	v_fma_f32 v22, v34, v32, -v39
	s_delay_alu instid0(VALU_DEP_1) | instskip(NEXT) | instid1(VALU_DEP_1)
	v_dual_add_f32 v20, v20, v22 :: v_dual_add_f32 v21, v25, v21
	v_add_f32_e32 v21, v21, v23
	s_delay_alu instid0(VALU_DEP_1)
	v_add_f32_e32 v21, v21, v28
	ds_store_b64 v110, v[20:21]
	s_wait_loadcnt_dscnt 0x0
	s_barrier_signal -1
	s_barrier_wait -1
	global_inv scope:SCOPE_SE
	s_and_saveexec_b32 s18, s16
	s_cbranch_execz .LBB115_71
; %bb.70:                               ;   in Loop: Header=BB115_4 Depth=1
	ds_load_2addr_b64 v[20:23], v108 offset1:1
	ds_load_2addr_b64 v[24:27], v108 offset0:2 offset1:3
	ds_load_2addr_b64 v[28:31], v108 offset0:4 offset1:5
	s_wait_dscnt 0x2
	v_dual_add_f32 v20, v65, v20 :: v_dual_add_f32 v21, v66, v21
	s_delay_alu instid0(VALU_DEP_1) | instskip(SKIP_3) | instid1(VALU_DEP_1)
	v_dual_add_f32 v32, v20, v22 :: v_dual_add_f32 v33, v21, v23
	ds_load_2addr_b64 v[20:23], v108 offset0:6 offset1:7
	s_wait_dscnt 0x2
	v_dual_add_f32 v24, v32, v24 :: v_dual_add_f32 v25, v33, v25
	v_dual_add_f32 v24, v24, v26 :: v_dual_add_f32 v25, v25, v27
	s_wait_dscnt 0x1
	s_delay_alu instid0(VALU_DEP_1) | instskip(NEXT) | instid1(VALU_DEP_1)
	v_dual_add_f32 v24, v24, v28 :: v_dual_add_f32 v25, v25, v29
	v_dual_add_f32 v24, v24, v30 :: v_dual_add_f32 v25, v25, v31
	s_wait_dscnt 0x0
	s_delay_alu instid0(VALU_DEP_1) | instskip(NEXT) | instid1(VALU_DEP_1)
	v_dual_add_f32 v20, v24, v20 :: v_dual_add_f32 v21, v25, v21
	v_dual_add_f32 v65, v20, v22 :: v_dual_add_f32 v66, v21, v23
.LBB115_71:                             ;   in Loop: Header=BB115_4 Depth=1
	s_wait_alu 0xfffe
	s_or_b32 exec_lo, exec_lo, s18
	v_dual_mul_f32 v20, v9, v19 :: v_dual_mul_f32 v21, v11, v5
	v_mul_f32_e32 v19, v8, v19
	v_dual_mul_f32 v5, v10, v5 :: v_dual_mul_f32 v22, v1, v7
	s_delay_alu instid0(VALU_DEP_3) | instskip(NEXT) | instid1(VALU_DEP_4)
	v_fma_f32 v8, v8, v18, -v20
	v_fma_f32 v10, v10, v4, -v21
	v_mul_f32_e32 v7, v0, v7
	s_wait_loadcnt 0x0
	v_fma_f32 v0, v0, v6, -v22
	v_add_f32_e32 v8, 0, v8
	v_fmac_f32_e32 v5, v11, v4
	v_fmac_f32_e32 v7, v1, v6
	s_barrier_signal -1
	s_barrier_wait -1
	v_add_f32_e32 v8, v8, v10
	v_fmac_f32_e32 v19, v9, v18
	global_inv scope:SCOPE_SE
	v_dual_add_f32 v0, v8, v0 :: v_dual_mul_f32 v9, v3, v17
	v_dual_add_f32 v4, 0, v19 :: v_dual_mul_f32 v11, v2, v17
	s_delay_alu instid0(VALU_DEP_2) | instskip(NEXT) | instid1(VALU_DEP_2)
	v_fma_f32 v2, v2, v16, -v9
	v_add_f32_e32 v1, v4, v5
	s_delay_alu instid0(VALU_DEP_2) | instskip(NEXT) | instid1(VALU_DEP_2)
	v_dual_add_f32 v0, v0, v2 :: v_dual_fmac_f32 v11, v3, v16
	v_add_f32_e32 v1, v1, v7
	s_delay_alu instid0(VALU_DEP_1)
	v_add_f32_e32 v1, v1, v11
	ds_store_b64 v110, v[0:1]
	s_wait_loadcnt_dscnt 0x0
	s_barrier_signal -1
	s_barrier_wait -1
	global_inv scope:SCOPE_SE
	s_and_saveexec_b32 s18, s10
	s_cbranch_execz .LBB115_73
; %bb.72:                               ;   in Loop: Header=BB115_4 Depth=1
	ds_load_2addr_b64 v[0:3], v108 offset1:1
	ds_load_2addr_b64 v[4:7], v108 offset0:2 offset1:3
	ds_load_2addr_b64 v[8:11], v108 offset0:4 offset1:5
	s_wait_dscnt 0x2
	v_dual_add_f32 v0, v65, v0 :: v_dual_add_f32 v1, v66, v1
	s_delay_alu instid0(VALU_DEP_1) | instskip(SKIP_3) | instid1(VALU_DEP_1)
	v_dual_add_f32 v16, v0, v2 :: v_dual_add_f32 v17, v1, v3
	ds_load_2addr_b64 v[0:3], v108 offset0:6 offset1:7
	s_wait_dscnt 0x2
	v_dual_add_f32 v4, v16, v4 :: v_dual_add_f32 v5, v17, v5
	v_dual_add_f32 v4, v4, v6 :: v_dual_add_f32 v5, v5, v7
	s_wait_dscnt 0x1
	s_delay_alu instid0(VALU_DEP_1) | instskip(NEXT) | instid1(VALU_DEP_1)
	v_dual_add_f32 v4, v4, v8 :: v_dual_add_f32 v5, v5, v9
	v_dual_add_f32 v4, v4, v10 :: v_dual_add_f32 v5, v5, v11
	s_wait_dscnt 0x0
	s_delay_alu instid0(VALU_DEP_1) | instskip(NEXT) | instid1(VALU_DEP_1)
	v_dual_add_f32 v0, v4, v0 :: v_dual_add_f32 v1, v5, v1
	v_dual_add_f32 v65, v0, v2 :: v_dual_add_f32 v66, v1, v3
.LBB115_73:                             ;   in Loop: Header=BB115_4 Depth=1
	s_wait_alu 0xfffe
	s_or_b32 exec_lo, exec_lo, s18
	s_mul_u64 s[18:19], s[24:25], s[34:35]
	s_and_not1_b32 vcc_lo, exec_lo, s45
	s_wait_alu 0xfffe
	s_lshl_b64 s[18:19], s[18:19], 3
	s_wait_loadcnt 0x0
	s_wait_alu 0xfffe
	s_add_nc_u64 s[60:61], s[30:31], s[18:19]
	s_barrier_signal -1
	s_barrier_wait -1
	global_inv scope:SCOPE_SE
	s_cbranch_vccnz .LBB115_131
; %bb.74:                               ;   in Loop: Header=BB115_4 Depth=1
	v_add_co_u32 v168, vcc_lo, v12, s58
	s_wait_alu 0xfffd
	v_add_co_ci_u32_e64 v169, null, s59, v13, vcc_lo
	v_add_co_u32 v170, vcc_lo, v14, v125
	s_wait_alu 0xfffd
	v_add_co_ci_u32_e64 v171, null, v15, v126, vcc_lo
	;; [unrolled: 3-line block ×21, first 2 shown]
	v_mov_b32_e32 v67, v122
	s_mov_b32 s19, ttmp9
	s_mov_b32 s62, s70
	s_wait_alu 0xfffe
	s_cmp_eq_u32 s67, s19
	s_cselect_b32 s71, s64, 0
	s_and_saveexec_b32 s18, s0
	s_cbranch_execz .LBB115_79
.LBB115_75:                             ;   in Loop: Header=BB115_4 Depth=1
	s_wait_alu 0xfffe
	v_cmp_le_i32_e32 vcc_lo, s71, v56
	s_cmp_lg_u32 s71, 0
	s_cselect_b32 s63, -1, 0
	s_wait_alu 0xfffe
	s_and_b32 s63, s63, vcc_lo
	s_wait_alu 0xfffe
	s_and_saveexec_b32 s72, s63
	s_wait_alu 0xfffe
	s_xor_b32 s63, exec_lo, s72
; %bb.76:                               ;   in Loop: Header=BB115_4 Depth=1
	v_mov_b32_e32 v58, v57
	ds_store_b64 v113, v[57:58]
; %bb.77:                               ;   in Loop: Header=BB115_4 Depth=1
	s_wait_alu 0xfffe
	s_and_not1_saveexec_b32 s63, s63
	s_cbranch_execz .LBB115_79
; %bb.78:                               ;   in Loop: Header=BB115_4 Depth=1
	s_ashr_i32 s63, s62, 31
	s_wait_alu 0xfffe
	s_lshl_b64 s[72:73], s[62:63], 3
	s_wait_alu 0xfffe
	v_add_co_u32 v0, vcc_lo, v168, s72
	s_wait_alu 0xfffd
	v_add_co_ci_u32_e64 v1, null, s73, v169, vcc_lo
	global_load_b64 v[0:1], v[0:1], off
	s_wait_loadcnt 0x0
	ds_store_b64 v113, v[0:1]
.LBB115_79:                             ;   Parent Loop BB115_4 Depth=1
                                        ; =>  This Inner Loop Header: Depth=2
	s_wait_alu 0xfffe
	s_or_b32 exec_lo, exec_lo, s18
	s_cmp_eq_u32 s71, 0
	v_add_co_u32 v0, vcc_lo, v170, v123
	s_cselect_b32 s63, -1, 0
	s_cmp_lg_u32 s71, 0
	s_wait_alu 0xfffd
	v_add_co_ci_u32_e64 v1, null, v171, v124, vcc_lo
	s_cselect_b32 s18, -1, 0
	s_wait_loadcnt_dscnt 0x0
	s_wait_alu 0xfffe
	s_and_b32 vcc_lo, exec_lo, s18
	s_barrier_signal -1
	s_barrier_wait -1
	global_inv scope:SCOPE_SE
	s_wait_alu 0xfffe
	s_cbranch_vccz .LBB115_87
; %bb.80:                               ;   in Loop: Header=BB115_79 Depth=2
	v_mov_b32_e32 v69, 0
	v_dual_mov_b32 v70, 0 :: v_dual_mov_b32 v71, 0
	v_mov_b32_e32 v72, 0
	s_mov_b32 s72, exec_lo
	v_cmpx_gt_i32_e64 s71, v111
	s_cbranch_execz .LBB115_82
; %bb.81:                               ;   in Loop: Header=BB115_79 Depth=2
	global_load_b64 v[71:72], v[0:1], off
.LBB115_82:                             ;   in Loop: Header=BB115_79 Depth=2
	s_wait_alu 0xfffe
	s_or_b32 exec_lo, exec_lo, s72
	v_or_b32_e32 v2, 1, v111
	s_mov_b32 s72, exec_lo
	s_delay_alu instid0(VALU_DEP_1)
	v_cmpx_gt_i32_e64 s71, v2
	s_cbranch_execz .LBB115_84
; %bb.83:                               ;   in Loop: Header=BB115_79 Depth=2
	v_add_co_u32 v2, vcc_lo, v174, v123
	s_wait_alu 0xfffd
	v_add_co_ci_u32_e64 v3, null, v175, v124, vcc_lo
	global_load_b64 v[69:70], v[2:3], off
.LBB115_84:                             ;   in Loop: Header=BB115_79 Depth=2
	s_wait_alu 0xfffe
	s_or_b32 exec_lo, exec_lo, s72
	v_mov_b32_e32 v73, 0
	v_or_b32_e32 v2, 2, v111
	v_mov_b32_e32 v74, 0
	s_mov_b32 s72, exec_lo
	s_delay_alu instid0(VALU_DEP_2)
	v_cmpx_gt_i32_e64 s71, v2
	s_cbranch_execz .LBB115_86
; %bb.85:                               ;   in Loop: Header=BB115_79 Depth=2
	v_add_co_u32 v2, vcc_lo, v176, v123
	s_wait_alu 0xfffd
	v_add_co_ci_u32_e64 v3, null, v177, v124, vcc_lo
	global_load_b64 v[73:74], v[2:3], off
.LBB115_86:                             ;   in Loop: Header=BB115_79 Depth=2
	s_wait_alu 0xfffe
	s_or_b32 exec_lo, exec_lo, s72
	v_or_b32_e32 v2, 3, v111
	s_delay_alu instid0(VALU_DEP_1)
	v_cmp_gt_i32_e64 s72, s71, v2
	s_branch .LBB115_89
.LBB115_87:                             ;   in Loop: Header=BB115_79 Depth=2
	s_mov_b32 s72, 0
                                        ; implicit-def: $vgpr73_vgpr74
                                        ; implicit-def: $vgpr69_vgpr70
                                        ; implicit-def: $vgpr71_vgpr72
	s_cbranch_execz .LBB115_89
; %bb.88:                               ;   in Loop: Header=BB115_79 Depth=2
	v_add_co_u32 v2, vcc_lo, v174, v123
	s_wait_alu 0xfffd
	v_add_co_ci_u32_e64 v3, null, v175, v124, vcc_lo
	v_add_co_u32 v4, vcc_lo, v172, v123
	s_wait_alu 0xfffd
	v_add_co_ci_u32_e64 v5, null, v173, v124, vcc_lo
	s_wait_loadcnt 0x0
	global_load_b64 v[71:72], v[0:1], off
	global_load_b64 v[69:70], v[2:3], off
	;; [unrolled: 1-line block ×3, first 2 shown]
	s_wait_alu 0xfffe
	s_or_b32 s72, s72, exec_lo
.LBB115_89:                             ;   in Loop: Header=BB115_79 Depth=2
	v_mov_b32_e32 v75, 0
	v_mov_b32_e32 v76, 0
	s_wait_alu 0xfffe
	s_and_saveexec_b32 s73, s72
	s_cbranch_execz .LBB115_91
; %bb.90:                               ;   in Loop: Header=BB115_79 Depth=2
	v_add_co_u32 v0, vcc_lo, v178, v123
	s_wait_alu 0xfffd
	v_add_co_ci_u32_e64 v1, null, v179, v124, vcc_lo
	global_load_b64 v[75:76], v[0:1], off
.LBB115_91:                             ;   in Loop: Header=BB115_79 Depth=2
	s_wait_alu 0xfffe
	s_or_b32 exec_lo, exec_lo, s73
	ds_load_b64 v[4:5], v104
	ds_load_b128 v[0:3], v114
	v_cndmask_b32_e64 v40, 0, 1, s18
	s_wait_loadcnt_dscnt 0x1
	v_mul_f32_e32 v9, v5, v71
	v_mul_f32_e32 v7, v5, v70
	;; [unrolled: 1-line block ×4, first 2 shown]
	v_dual_mul_f32 v12, v5, v74 :: v_dual_mul_f32 v15, v4, v76
	v_mul_f32_e32 v13, v5, v73
	v_mul_f32_e32 v14, v5, v76
	v_fmac_f32_e32 v9, v4, v72
	v_fma_f32 v10, v4, v69, -v7
	v_fmac_f32_e32 v11, v4, v70
	v_fma_f32 v8, v4, v71, -v6
	v_fma_f32 v12, v4, v73, -v12
	v_fmac_f32_e32 v13, v4, v74
	v_fma_f32 v14, v4, v75, -v14
	v_fmac_f32_e32 v15, v5, v75
	ds_load_b128 v[4:7], v114 offset:16
	ds_store_2addr_b64 v115, v[8:9], v[10:11] offset1:67
	ds_store_2addr_b64 v115, v[12:13], v[14:15] offset0:134 offset1:201
	s_wait_dscnt 0x0
	s_barrier_signal -1
	s_barrier_wait -1
	global_inv scope:SCOPE_SE
	ds_load_2addr_b64 v[20:23], v116 offset1:1
	ds_load_2addr_b64 v[16:19], v116 offset0:2 offset1:3
	v_add_co_u32 v8, vcc_lo, v180, v123
	s_wait_alu 0xfffd
	v_add_co_ci_u32_e64 v9, null, v181, v124, vcc_lo
	s_and_not1_b32 vcc_lo, exec_lo, s18
	s_wait_loadcnt_dscnt 0x0
	s_barrier_signal -1
	s_barrier_wait -1
	global_inv scope:SCOPE_SE
	s_wait_alu 0xfffe
	s_cbranch_vccnz .LBB115_99
; %bb.92:                               ;   in Loop: Header=BB115_79 Depth=2
	v_dual_mov_b32 v77, 0 :: v_dual_add_nc_u32 v10, 16, v111
	v_dual_mov_b32 v78, 0 :: v_dual_mov_b32 v79, 0
	v_mov_b32_e32 v80, 0
	s_mov_b32 s18, exec_lo
	s_delay_alu instid0(VALU_DEP_3)
	v_cmpx_gt_i32_e64 s71, v10
	s_cbranch_execz .LBB115_94
; %bb.93:                               ;   in Loop: Header=BB115_79 Depth=2
	global_load_b64 v[79:80], v[8:9], off
.LBB115_94:                             ;   in Loop: Header=BB115_79 Depth=2
	s_wait_alu 0xfffe
	s_or_b32 exec_lo, exec_lo, s18
	v_add_nc_u32_e32 v10, 17, v111
	s_mov_b32 s18, exec_lo
	s_delay_alu instid0(VALU_DEP_1)
	v_cmpx_gt_i32_e64 s71, v10
	s_cbranch_execz .LBB115_96
; %bb.95:                               ;   in Loop: Header=BB115_79 Depth=2
	v_add_co_u32 v10, vcc_lo, v182, v123
	s_wait_alu 0xfffd
	v_add_co_ci_u32_e64 v11, null, v183, v124, vcc_lo
	global_load_b64 v[77:78], v[10:11], off
.LBB115_96:                             ;   in Loop: Header=BB115_79 Depth=2
	s_wait_alu 0xfffe
	s_or_b32 exec_lo, exec_lo, s18
	v_dual_mov_b32 v81, 0 :: v_dual_add_nc_u32 v10, 18, v111
	v_mov_b32_e32 v82, 0
	s_mov_b32 s18, exec_lo
	s_delay_alu instid0(VALU_DEP_2)
	v_cmpx_gt_i32_e64 s71, v10
	s_cbranch_execz .LBB115_98
; %bb.97:                               ;   in Loop: Header=BB115_79 Depth=2
	v_add_co_u32 v10, vcc_lo, v184, v123
	s_wait_alu 0xfffd
	v_add_co_ci_u32_e64 v11, null, v185, v124, vcc_lo
	global_load_b64 v[81:82], v[10:11], off
.LBB115_98:                             ;   in Loop: Header=BB115_79 Depth=2
	s_wait_alu 0xfffe
	s_or_b32 exec_lo, exec_lo, s18
	v_add_nc_u32_e32 v10, 19, v111
	s_delay_alu instid0(VALU_DEP_1)
	v_cmp_gt_i32_e64 s18, s71, v10
	s_branch .LBB115_101
.LBB115_99:                             ;   in Loop: Header=BB115_79 Depth=2
	s_mov_b32 s18, 0
                                        ; implicit-def: $vgpr81_vgpr82
                                        ; implicit-def: $vgpr77_vgpr78
                                        ; implicit-def: $vgpr79_vgpr80
	s_cbranch_execz .LBB115_101
; %bb.100:                              ;   in Loop: Header=BB115_79 Depth=2
	v_add_co_u32 v10, vcc_lo, v182, v123
	s_wait_alu 0xfffd
	v_add_co_ci_u32_e64 v11, null, v183, v124, vcc_lo
	v_add_co_u32 v12, vcc_lo, v186, v123
	s_wait_alu 0xfffd
	v_add_co_ci_u32_e64 v13, null, v187, v124, vcc_lo
	s_wait_loadcnt 0x0
	global_load_b64 v[79:80], v[8:9], off
	global_load_b64 v[77:78], v[10:11], off
	;; [unrolled: 1-line block ×3, first 2 shown]
	s_wait_alu 0xfffe
	s_or_b32 s18, s18, exec_lo
.LBB115_101:                            ;   in Loop: Header=BB115_79 Depth=2
	v_mov_b32_e32 v83, 0
	v_mov_b32_e32 v84, 0
	s_wait_alu 0xfffe
	s_and_saveexec_b32 s72, s18
	s_cbranch_execz .LBB115_103
; %bb.102:                              ;   in Loop: Header=BB115_79 Depth=2
	v_add_co_u32 v8, vcc_lo, v188, v123
	s_wait_alu 0xfffd
	v_add_co_ci_u32_e64 v9, null, v189, v124, vcc_lo
	global_load_b64 v[83:84], v[8:9], off
.LBB115_103:                            ;   in Loop: Header=BB115_79 Depth=2
	s_wait_alu 0xfffe
	s_or_b32 exec_lo, exec_lo, s72
	ds_load_b64 v[12:13], v104
	ds_load_b128 v[8:11], v114 offset:128
	v_cmp_ne_u32_e32 vcc_lo, 1, v40
	s_and_b32 vcc_lo, exec_lo, vcc_lo
	s_wait_loadcnt_dscnt 0x1
	v_mul_f32_e32 v25, v13, v79
	v_mul_f32_e32 v15, v13, v78
	;; [unrolled: 1-line block ×4, first 2 shown]
	v_dual_mul_f32 v28, v13, v82 :: v_dual_mul_f32 v31, v12, v84
	v_mul_f32_e32 v29, v13, v81
	v_mul_f32_e32 v30, v13, v84
	v_fmac_f32_e32 v25, v12, v80
	v_fma_f32 v26, v12, v77, -v15
	v_fmac_f32_e32 v27, v12, v78
	v_fma_f32 v24, v12, v79, -v14
	v_fma_f32 v28, v12, v81, -v28
	v_fmac_f32_e32 v29, v12, v82
	v_fma_f32 v30, v12, v83, -v30
	v_fmac_f32_e32 v31, v13, v83
	ds_load_b128 v[12:15], v114 offset:144
	ds_store_2addr_b64 v115, v[24:25], v[26:27] offset1:67
	ds_store_2addr_b64 v115, v[28:29], v[30:31] offset0:134 offset1:201
	s_wait_dscnt 0x0
	s_barrier_signal -1
	s_barrier_wait -1
	global_inv scope:SCOPE_SE
	ds_load_2addr_b64 v[36:39], v116 offset1:1
	ds_load_2addr_b64 v[32:35], v116 offset0:2 offset1:3
	v_add_co_u32 v24, s18, v190, v123
	s_wait_alu 0xf1ff
	v_add_co_ci_u32_e64 v25, null, v191, v124, s18
	s_wait_loadcnt_dscnt 0x0
	s_barrier_signal -1
	s_barrier_wait -1
	global_inv scope:SCOPE_SE
	s_wait_alu 0xfffe
	s_cbranch_vccnz .LBB115_111
; %bb.104:                              ;   in Loop: Header=BB115_79 Depth=2
	v_dual_mov_b32 v85, 0 :: v_dual_add_nc_u32 v26, 32, v111
	v_dual_mov_b32 v86, 0 :: v_dual_mov_b32 v87, 0
	v_mov_b32_e32 v88, 0
	s_mov_b32 s18, exec_lo
	s_delay_alu instid0(VALU_DEP_3)
	v_cmpx_gt_i32_e64 s71, v26
	s_cbranch_execz .LBB115_106
; %bb.105:                              ;   in Loop: Header=BB115_79 Depth=2
	global_load_b64 v[87:88], v[24:25], off
.LBB115_106:                            ;   in Loop: Header=BB115_79 Depth=2
	s_wait_alu 0xfffe
	s_or_b32 exec_lo, exec_lo, s18
	v_add_nc_u32_e32 v26, 33, v111
	s_mov_b32 s18, exec_lo
	s_delay_alu instid0(VALU_DEP_1)
	v_cmpx_gt_i32_e64 s71, v26
	s_cbranch_execz .LBB115_108
; %bb.107:                              ;   in Loop: Header=BB115_79 Depth=2
	v_add_co_u32 v26, vcc_lo, v192, v123
	s_wait_alu 0xfffd
	v_add_co_ci_u32_e64 v27, null, v193, v124, vcc_lo
	global_load_b64 v[85:86], v[26:27], off
.LBB115_108:                            ;   in Loop: Header=BB115_79 Depth=2
	s_wait_alu 0xfffe
	s_or_b32 exec_lo, exec_lo, s18
	v_dual_mov_b32 v89, 0 :: v_dual_add_nc_u32 v26, 34, v111
	v_mov_b32_e32 v90, 0
	s_mov_b32 s18, exec_lo
	s_delay_alu instid0(VALU_DEP_2)
	v_cmpx_gt_i32_e64 s71, v26
	s_cbranch_execz .LBB115_110
; %bb.109:                              ;   in Loop: Header=BB115_79 Depth=2
	v_add_co_u32 v26, vcc_lo, v194, v123
	s_wait_alu 0xfffd
	v_add_co_ci_u32_e64 v27, null, v195, v124, vcc_lo
	global_load_b64 v[89:90], v[26:27], off
.LBB115_110:                            ;   in Loop: Header=BB115_79 Depth=2
	s_wait_alu 0xfffe
	s_or_b32 exec_lo, exec_lo, s18
	v_add_nc_u32_e32 v26, 35, v111
	s_delay_alu instid0(VALU_DEP_1)
	v_cmp_gt_i32_e64 s18, s71, v26
	s_branch .LBB115_113
.LBB115_111:                            ;   in Loop: Header=BB115_79 Depth=2
	s_mov_b32 s18, 0
                                        ; implicit-def: $vgpr89_vgpr90
                                        ; implicit-def: $vgpr85_vgpr86
                                        ; implicit-def: $vgpr87_vgpr88
	s_cbranch_execz .LBB115_113
; %bb.112:                              ;   in Loop: Header=BB115_79 Depth=2
	v_add_co_u32 v26, vcc_lo, v192, v123
	s_wait_alu 0xfffd
	v_add_co_ci_u32_e64 v27, null, v193, v124, vcc_lo
	v_add_co_u32 v28, vcc_lo, v196, v123
	s_wait_alu 0xfffd
	v_add_co_ci_u32_e64 v29, null, v197, v124, vcc_lo
	s_wait_loadcnt 0x0
	global_load_b64 v[87:88], v[24:25], off
	global_load_b64 v[85:86], v[26:27], off
	;; [unrolled: 1-line block ×3, first 2 shown]
	s_wait_alu 0xfffe
	s_or_b32 s18, s18, exec_lo
.LBB115_113:                            ;   in Loop: Header=BB115_79 Depth=2
	v_mov_b32_e32 v91, 0
	v_mov_b32_e32 v92, 0
	s_wait_alu 0xfffe
	s_and_saveexec_b32 s72, s18
	s_cbranch_execz .LBB115_115
; %bb.114:                              ;   in Loop: Header=BB115_79 Depth=2
	v_add_co_u32 v24, vcc_lo, v198, v123
	s_wait_alu 0xfffd
	v_add_co_ci_u32_e64 v25, null, v199, v124, vcc_lo
	global_load_b64 v[91:92], v[24:25], off
.LBB115_115:                            ;   in Loop: Header=BB115_79 Depth=2
	s_wait_alu 0xfffe
	s_or_b32 exec_lo, exec_lo, s72
	ds_load_b64 v[28:29], v104
	ds_load_b128 v[24:27], v114 offset:256
	v_cmp_ne_u32_e32 vcc_lo, 1, v40
	v_add_co_u32 v40, s18, v200, v123
	s_and_b32 vcc_lo, exec_lo, vcc_lo
	s_wait_loadcnt_dscnt 0x1
	v_mul_f32_e32 v30, v29, v88
	v_mul_f32_e32 v42, v29, v87
	v_dual_mul_f32 v31, v29, v86 :: v_dual_mul_f32 v48, v28, v92
	v_mul_f32_e32 v44, v29, v85
	s_delay_alu instid0(VALU_DEP_3) | instskip(SKIP_1) | instid1(VALU_DEP_3)
	v_dual_mul_f32 v45, v29, v90 :: v_dual_fmac_f32 v42, v28, v88
	v_mul_f32_e32 v46, v29, v89
	v_dual_mul_f32 v47, v29, v92 :: v_dual_fmac_f32 v44, v28, v86
	v_fma_f32 v41, v28, v87, -v30
	v_fma_f32 v43, v28, v85, -v31
	;; [unrolled: 1-line block ×3, first 2 shown]
	v_fmac_f32_e32 v46, v28, v90
	v_fma_f32 v47, v28, v91, -v47
	v_fmac_f32_e32 v48, v29, v91
	ds_load_b128 v[28:31], v114 offset:272
	ds_store_2addr_b64 v115, v[41:42], v[43:44] offset1:67
	ds_store_2addr_b64 v115, v[45:46], v[47:48] offset0:134 offset1:201
	s_wait_dscnt 0x0
	s_barrier_signal -1
	s_barrier_wait -1
	global_inv scope:SCOPE_SE
	ds_load_2addr_b64 v[52:55], v116 offset1:1
	ds_load_2addr_b64 v[48:51], v116 offset0:2 offset1:3
	s_wait_alu 0xf1ff
	v_add_co_ci_u32_e64 v41, null, v201, v124, s18
	s_wait_loadcnt_dscnt 0x0
	s_barrier_signal -1
	s_barrier_wait -1
	global_inv scope:SCOPE_SE
	s_wait_alu 0xfffe
	s_cbranch_vccnz .LBB115_123
; %bb.116:                              ;   in Loop: Header=BB115_79 Depth=2
	v_dual_mov_b32 v93, 0 :: v_dual_add_nc_u32 v42, 48, v111
	v_dual_mov_b32 v94, 0 :: v_dual_mov_b32 v95, 0
	v_mov_b32_e32 v96, 0
	s_mov_b32 s18, exec_lo
	s_delay_alu instid0(VALU_DEP_3)
	v_cmpx_gt_i32_e64 s71, v42
	s_cbranch_execz .LBB115_118
; %bb.117:                              ;   in Loop: Header=BB115_79 Depth=2
	global_load_b64 v[95:96], v[40:41], off
.LBB115_118:                            ;   in Loop: Header=BB115_79 Depth=2
	s_wait_alu 0xfffe
	s_or_b32 exec_lo, exec_lo, s18
	v_add_nc_u32_e32 v42, 49, v111
	s_mov_b32 s18, exec_lo
	s_delay_alu instid0(VALU_DEP_1)
	v_cmpx_gt_i32_e64 s71, v42
	s_cbranch_execz .LBB115_120
; %bb.119:                              ;   in Loop: Header=BB115_79 Depth=2
	v_add_co_u32 v42, vcc_lo, v202, v123
	s_wait_alu 0xfffd
	v_add_co_ci_u32_e64 v43, null, v203, v124, vcc_lo
	global_load_b64 v[93:94], v[42:43], off
.LBB115_120:                            ;   in Loop: Header=BB115_79 Depth=2
	s_wait_alu 0xfffe
	s_or_b32 exec_lo, exec_lo, s18
	v_dual_mov_b32 v97, 0 :: v_dual_add_nc_u32 v42, 50, v111
	v_mov_b32_e32 v98, 0
	s_mov_b32 s18, exec_lo
	s_delay_alu instid0(VALU_DEP_2)
	v_cmpx_gt_i32_e64 s71, v42
	s_cbranch_execz .LBB115_122
; %bb.121:                              ;   in Loop: Header=BB115_79 Depth=2
	v_add_co_u32 v42, vcc_lo, v204, v123
	s_wait_alu 0xfffd
	v_add_co_ci_u32_e64 v43, null, v205, v124, vcc_lo
	global_load_b64 v[97:98], v[42:43], off
.LBB115_122:                            ;   in Loop: Header=BB115_79 Depth=2
	s_wait_alu 0xfffe
	s_or_b32 exec_lo, exec_lo, s18
	v_cmp_gt_i32_e64 s18, s71, v119
	s_branch .LBB115_125
.LBB115_123:                            ;   in Loop: Header=BB115_79 Depth=2
	s_mov_b32 s18, 0
                                        ; implicit-def: $vgpr97_vgpr98
                                        ; implicit-def: $vgpr93_vgpr94
                                        ; implicit-def: $vgpr95_vgpr96
	s_cbranch_execz .LBB115_125
; %bb.124:                              ;   in Loop: Header=BB115_79 Depth=2
	v_add_co_u32 v42, vcc_lo, v202, v123
	s_wait_alu 0xfffd
	v_add_co_ci_u32_e64 v43, null, v203, v124, vcc_lo
	v_add_co_u32 v44, vcc_lo, v206, v123
	s_wait_alu 0xfffd
	v_add_co_ci_u32_e64 v45, null, v207, v124, vcc_lo
	s_wait_loadcnt 0x0
	global_load_b64 v[95:96], v[40:41], off
	global_load_b64 v[93:94], v[42:43], off
	;; [unrolled: 1-line block ×3, first 2 shown]
	s_wait_alu 0xfffe
	s_or_b32 s18, s18, exec_lo
.LBB115_125:                            ;   in Loop: Header=BB115_79 Depth=2
	v_mov_b32_e32 v99, 0
	v_mov_b32_e32 v100, 0
	s_wait_alu 0xfffe
	s_and_saveexec_b32 s72, s18
	s_cbranch_execz .LBB115_127
; %bb.126:                              ;   in Loop: Header=BB115_79 Depth=2
	v_add_co_u32 v40, vcc_lo, v208, v123
	s_wait_alu 0xfffd
	v_add_co_ci_u32_e64 v41, null, v209, v124, vcc_lo
	global_load_b64 v[99:100], v[40:41], off
.LBB115_127:                            ;   in Loop: Header=BB115_79 Depth=2
	s_wait_alu 0xfffe
	s_or_b32 exec_lo, exec_lo, s72
	ds_load_b64 v[44:45], v104
	ds_load_b128 v[40:43], v114 offset:384
	v_cmp_gt_i32_e32 vcc_lo, s71, v56
	v_add_f32_e32 v52, 0, v52
	v_dual_add_f32 v20, 0, v20 :: v_dual_add_f32 v53, 0, v53
	v_add_f32_e32 v36, 0, v36
	s_or_b32 s18, s63, vcc_lo
	s_wait_alu 0xfffe
	s_and_b32 s63, s17, s18
	v_add_f32_e32 v20, v20, v22
	v_dual_add_f32 v36, v36, v38 :: v_dual_add_f32 v21, 0, v21
	s_delay_alu instid0(VALU_DEP_2) | instskip(NEXT) | instid1(VALU_DEP_2)
	v_add_f32_e32 v38, v20, v16
	v_dual_add_f32 v32, v36, v32 :: v_dual_add_f32 v21, v21, v23
	s_wait_loadcnt_dscnt 0x1
	v_mul_f32_e32 v211, v45, v95
	v_dual_mul_f32 v58, v45, v98 :: v_dual_mul_f32 v217, v44, v100
	v_mul_f32_e32 v47, v45, v94
	v_mul_f32_e32 v213, v45, v93
	;; [unrolled: 1-line block ×4, first 2 shown]
	v_fma_f32 v214, v44, v97, -v58
	v_add_f32_e32 v58, v52, v54
	v_mul_f32_e32 v68, v45, v100
	v_fmac_f32_e32 v211, v44, v96
	v_fma_f32 v212, v44, v93, -v47
	v_fmac_f32_e32 v213, v44, v94
	v_fma_f32 v210, v44, v95, -v46
	;; [unrolled: 2-line block ×3, first 2 shown]
	v_fmac_f32_e32 v217, v45, v99
	ds_load_b128 v[44:47], v114 offset:400
	v_add_f32_e32 v68, v53, v55
	ds_store_2addr_b64 v115, v[210:211], v[212:213] offset1:67
	ds_store_2addr_b64 v115, v[214:215], v[216:217] offset0:134 offset1:201
	s_wait_dscnt 0x0
	s_barrier_signal -1
	s_barrier_wait -1
	global_inv scope:SCOPE_SE
	ds_load_2addr_b64 v[210:213], v116 offset1:1
	ds_load_2addr_b64 v[52:55], v116 offset0:2 offset1:3
	v_dual_add_f32 v37, 0, v37 :: v_dual_add_f32 v22, v58, v48
	v_add_f32_e32 v23, v68, v49
	s_wait_loadcnt_dscnt 0x0
	s_barrier_signal -1
	s_delay_alu instid0(VALU_DEP_2)
	v_dual_add_f32 v37, v37, v39 :: v_dual_add_f32 v16, v22, v50
	v_add_f32_e32 v20, v32, v34
	s_barrier_wait -1
	global_inv scope:SCOPE_SE
	v_add_f32_e32 v18, v38, v18
	v_dual_add_f32 v36, 0, v210 :: v_dual_add_f32 v33, v37, v33
	s_delay_alu instid0(VALU_DEP_1) | instskip(SKIP_1) | instid1(VALU_DEP_2)
	v_dual_add_f32 v37, 0, v211 :: v_dual_add_f32 v22, v36, v212
	v_add_f32_e32 v39, v21, v17
	v_dual_add_f32 v36, v37, v213 :: v_dual_add_f32 v17, v23, v51
	s_delay_alu instid0(VALU_DEP_3) | instskip(NEXT) | instid1(VALU_DEP_3)
	v_dual_add_f32 v21, v33, v35 :: v_dual_add_f32 v22, v22, v52
	v_add_f32_e32 v19, v39, v19
	s_delay_alu instid0(VALU_DEP_2) | instskip(NEXT) | instid1(VALU_DEP_1)
	v_dual_add_f32 v23, v36, v53 :: v_dual_add_f32 v22, v22, v54
	v_add_f32_e32 v23, v23, v55
	ds_store_2addr_b64 v166, v[18:19], v[20:21] offset1:16
	ds_store_2addr_b64 v166, v[16:17], v[22:23] offset0:32 offset1:48
	s_wait_loadcnt_dscnt 0x0
	s_barrier_signal -1
	s_barrier_wait -1
	global_inv scope:SCOPE_SE
	s_wait_alu 0xfffe
	s_and_saveexec_b32 s18, s63
	s_cbranch_execz .LBB115_129
; %bb.128:                              ;   in Loop: Header=BB115_79 Depth=2
	ds_load_b64 v[36:37], v117
	ds_load_2addr_b64 v[16:19], v117 offset0:1 offset1:2
	ds_load_2addr_b64 v[20:23], v117 offset0:3 offset1:4
	;; [unrolled: 1-line block ×3, first 2 shown]
	v_ashrrev_i32_e32 v68, 31, v67
	s_wait_dscnt 0x2
	v_dual_add_f32 v16, v16, v36 :: v_dual_add_f32 v17, v17, v37
	s_delay_alu instid0(VALU_DEP_1) | instskip(SKIP_3) | instid1(VALU_DEP_1)
	v_dual_add_f32 v36, v18, v16 :: v_dual_add_f32 v37, v19, v17
	ds_load_2addr_b64 v[16:19], v117 offset0:7 offset1:8
	s_wait_dscnt 0x2
	v_dual_add_f32 v20, v36, v20 :: v_dual_add_f32 v21, v37, v21
	v_dual_add_f32 v36, v20, v22 :: v_dual_add_f32 v37, v21, v23
	ds_load_2addr_b64 v[20:23], v117 offset0:9 offset1:10
	s_wait_dscnt 0x2
	v_dual_add_f32 v32, v36, v32 :: v_dual_add_f32 v33, v37, v33
	s_delay_alu instid0(VALU_DEP_1) | instskip(SKIP_3) | instid1(VALU_DEP_1)
	v_dual_add_f32 v36, v32, v34 :: v_dual_add_f32 v37, v33, v35
	ds_load_2addr_b64 v[32:35], v117 offset0:11 offset1:12
	s_wait_dscnt 0x2
	v_dual_add_f32 v16, v36, v16 :: v_dual_add_f32 v17, v37, v17
	v_dual_add_f32 v36, v16, v18 :: v_dual_add_f32 v37, v17, v19
	ds_load_2addr_b64 v[16:19], v117 offset0:13 offset1:14
	s_wait_dscnt 0x2
	v_dual_add_f32 v20, v36, v20 :: v_dual_add_f32 v21, v37, v21
	s_delay_alu instid0(VALU_DEP_1) | instskip(SKIP_3) | instid1(VALU_DEP_1)
	v_dual_add_f32 v22, v20, v22 :: v_dual_add_f32 v23, v21, v23
	ds_load_b64 v[20:21], v118
	s_wait_dscnt 0x2
	v_dual_add_f32 v22, v22, v32 :: v_dual_add_f32 v23, v23, v33
	v_dual_add_f32 v22, v22, v34 :: v_dual_add_f32 v23, v23, v35
	s_wait_dscnt 0x1
	s_delay_alu instid0(VALU_DEP_1) | instskip(NEXT) | instid1(VALU_DEP_1)
	v_dual_add_f32 v16, v22, v16 :: v_dual_add_f32 v17, v23, v17
	v_dual_add_f32 v18, v16, v18 :: v_dual_add_f32 v19, v17, v19
	v_lshlrev_b64_e32 v[16:17], 3, v[67:68]
	s_wait_dscnt 0x0
	s_delay_alu instid0(VALU_DEP_2) | instskip(NEXT) | instid1(VALU_DEP_2)
	v_dual_add_f32 v18, v18, v20 :: v_dual_add_f32 v19, v19, v21
	v_add_co_u32 v16, vcc_lo, s60, v16
	s_wait_alu 0xfffd
	s_delay_alu instid0(VALU_DEP_3)
	v_add_co_ci_u32_e64 v17, null, s61, v17, vcc_lo
	global_store_b64 v[16:17], v[18:19], off
.LBB115_129:                            ;   in Loop: Header=BB115_79 Depth=2
	s_wait_alu 0xfffe
	s_or_b32 exec_lo, exec_lo, s18
	v_dual_mul_f32 v16, v1, v72 :: v_dual_mul_f32 v17, v3, v70
	v_dual_mul_f32 v3, v3, v69 :: v_dual_mul_f32 v18, v5, v74
	v_add_co_u32 v170, vcc_lo, v170, s56
	s_delay_alu instid0(VALU_DEP_3) | instskip(NEXT) | instid1(VALU_DEP_4)
	v_fma_f32 v16, v0, v71, -v16
	v_fma_f32 v17, v2, v69, -v17
	s_delay_alu instid0(VALU_DEP_4)
	v_fmac_f32_e32 v3, v2, v70
	s_wait_alu 0xfffd
	v_add_co_ci_u32_e64 v171, null, s57, v171, vcc_lo
	v_add_f32_e32 v16, v65, v16
	v_mul_f32_e32 v1, v1, v71
	v_add_co_u32 v172, vcc_lo, v172, s56
	s_wait_alu 0xfffd
	v_add_co_ci_u32_e64 v173, null, s57, v173, vcc_lo
	v_add_f32_e32 v16, v16, v17
	v_fmac_f32_e32 v1, v0, v72
	v_fma_f32 v0, v4, v73, -v18
	v_mul_f32_e32 v5, v5, v73
	v_dual_mul_f32 v20, v9, v80 :: v_dual_mul_f32 v17, v11, v78
	v_add_co_u32 v174, vcc_lo, v174, s56
	s_delay_alu instid0(VALU_DEP_4)
	v_add_f32_e32 v0, v16, v0
	v_mul_f32_e32 v19, v7, v76
	v_mul_f32_e32 v7, v7, v75
	v_fmac_f32_e32 v5, v4, v74
	v_fma_f32 v4, v10, v77, -v17
	s_wait_alu 0xfffd
	v_add_co_ci_u32_e64 v175, null, s57, v175, vcc_lo
	v_fma_f32 v2, v6, v75, -v19
	v_add_co_u32 v176, vcc_lo, v176, s56
	s_wait_alu 0xfffd
	v_add_co_ci_u32_e64 v177, null, s57, v177, vcc_lo
	s_delay_alu instid0(VALU_DEP_3) | instskip(SKIP_4) | instid1(VALU_DEP_3)
	v_add_f32_e32 v0, v0, v2
	v_dual_mul_f32 v2, v13, v82 :: v_dual_add_f32 v1, v66, v1
	v_add_co_u32 v178, vcc_lo, v178, s56
	s_wait_alu 0xfffd
	v_add_co_ci_u32_e64 v179, null, s57, v179, vcc_lo
	v_add_f32_e32 v1, v1, v3
	v_fma_f32 v3, v8, v79, -v20
	v_fma_f32 v2, v12, v81, -v2
	v_add_co_u32 v180, vcc_lo, v180, s56
	s_wait_alu 0xfffd
	v_add_co_ci_u32_e64 v181, null, s57, v181, vcc_lo
	v_add_f32_e32 v0, v0, v3
	v_mul_f32_e32 v9, v9, v79
	v_mul_f32_e32 v3, v15, v84
	v_add_co_u32 v182, vcc_lo, v182, s56
	s_delay_alu instid0(VALU_DEP_4) | instskip(SKIP_1) | instid1(VALU_DEP_4)
	v_dual_add_f32 v0, v0, v4 :: v_dual_mul_f32 v11, v11, v77
	v_mul_f32_e32 v4, v13, v81
	v_fma_f32 v3, v14, v83, -v3
	v_fmac_f32_e32 v9, v8, v80
	s_delay_alu instid0(VALU_DEP_4) | instskip(SKIP_2) | instid1(VALU_DEP_3)
	v_add_f32_e32 v0, v0, v2
	v_mul_f32_e32 v2, v25, v88
	v_dual_fmac_f32 v7, v6, v76 :: v_dual_fmac_f32 v4, v12, v82
	v_dual_fmac_f32 v11, v10, v78 :: v_dual_add_f32 v0, v0, v3
	s_delay_alu instid0(VALU_DEP_3) | instskip(SKIP_3) | instid1(VALU_DEP_4)
	v_fma_f32 v2, v24, v87, -v2
	v_add_f32_e32 v1, v1, v5
	v_mul_f32_e32 v3, v27, v86
	v_mul_f32_e32 v6, v47, v99
	v_dual_mul_f32 v5, v15, v83 :: v_dual_add_f32 v0, v0, v2
	s_delay_alu instid0(VALU_DEP_4) | instskip(NEXT) | instid1(VALU_DEP_4)
	v_add_f32_e32 v1, v1, v7
	v_fma_f32 v2, v26, v85, -v3
	v_mul_f32_e32 v3, v29, v90
	s_wait_alu 0xfffd
	v_add_co_ci_u32_e64 v183, null, s57, v183, vcc_lo
	s_delay_alu instid0(VALU_DEP_3) | instskip(NEXT) | instid1(VALU_DEP_3)
	v_dual_add_f32 v1, v1, v9 :: v_dual_add_f32 v0, v0, v2
	v_fma_f32 v2, v28, v89, -v3
	v_mul_f32_e32 v3, v31, v92
	v_add_co_u32 v184, vcc_lo, v184, s56
	s_delay_alu instid0(VALU_DEP_3) | instskip(NEXT) | instid1(VALU_DEP_3)
	v_dual_add_f32 v1, v1, v11 :: v_dual_add_f32 v0, v0, v2
	v_fma_f32 v2, v30, v91, -v3
	v_mul_f32_e32 v3, v41, v96
	s_wait_alu 0xfffd
	v_add_co_ci_u32_e64 v185, null, s57, v185, vcc_lo
	s_delay_alu instid0(VALU_DEP_3) | instskip(NEXT) | instid1(VALU_DEP_3)
	v_dual_add_f32 v1, v1, v4 :: v_dual_add_f32 v0, v0, v2
	v_fma_f32 v2, v40, v95, -v3
	v_mul_f32_e32 v3, v43, v94
	v_dual_fmac_f32 v5, v14, v84 :: v_dual_mul_f32 v4, v25, v87
	v_fmac_f32_e32 v6, v46, v100
	s_delay_alu instid0(VALU_DEP_4) | instskip(NEXT) | instid1(VALU_DEP_4)
	v_add_f32_e32 v0, v0, v2
	v_fma_f32 v2, v42, v93, -v3
	s_delay_alu instid0(VALU_DEP_4) | instskip(SKIP_1) | instid1(VALU_DEP_3)
	v_dual_add_f32 v1, v1, v5 :: v_dual_fmac_f32 v4, v24, v88
	v_add_co_u32 v186, vcc_lo, v186, s56
	v_add_f32_e32 v0, v0, v2
	v_mul_f32_e32 v2, v45, v97
	v_mul_f32_e32 v5, v27, v85
	v_add_f32_e32 v1, v1, v4
	v_mul_f32_e32 v4, v29, v89
	s_wait_alu 0xfffd
	v_add_co_ci_u32_e64 v187, null, s57, v187, vcc_lo
	v_fmac_f32_e32 v2, v44, v98
	v_fmac_f32_e32 v5, v26, v86
	v_fmac_f32_e32 v4, v28, v90
	v_add_co_u32 v188, vcc_lo, v188, s56
	v_mul_f32_e32 v3, v43, v93
	s_delay_alu instid0(VALU_DEP_4)
	v_add_f32_e32 v1, v1, v5
	v_mul_f32_e32 v5, v31, v91
	s_wait_alu 0xfffd
	v_add_co_ci_u32_e64 v189, null, s57, v189, vcc_lo
	v_add_co_u32 v190, vcc_lo, v190, s56
	v_add_f32_e32 v1, v1, v4
	v_dual_fmac_f32 v5, v30, v92 :: v_dual_mul_f32 v4, v41, v95
	s_wait_alu 0xfffd
	v_add_co_ci_u32_e64 v191, null, s57, v191, vcc_lo
	v_add_co_u32 v192, vcc_lo, v192, s56
	s_delay_alu instid0(VALU_DEP_3)
	v_dual_add_f32 v1, v1, v5 :: v_dual_fmac_f32 v4, v40, v96
	s_wait_alu 0xfffd
	v_add_co_ci_u32_e64 v193, null, s57, v193, vcc_lo
	v_add_co_u32 v194, vcc_lo, v194, s56
	v_mul_f32_e32 v5, v45, v98
	v_fmac_f32_e32 v3, v42, v94
	v_add_f32_e32 v1, v1, v4
	s_wait_alu 0xfffd
	v_add_co_ci_u32_e64 v195, null, s57, v195, vcc_lo
	v_add_co_u32 v196, vcc_lo, v196, s56
	s_wait_alu 0xfffd
	v_add_co_ci_u32_e64 v197, null, s57, v197, vcc_lo
	v_add_co_u32 v198, vcc_lo, v198, s56
	v_fma_f32 v4, v44, v97, -v5
	v_mul_f32_e32 v5, v47, v100
	v_add_f32_e32 v1, v1, v3
	s_wait_alu 0xfffd
	v_add_co_ci_u32_e64 v199, null, s57, v199, vcc_lo
	v_add_co_u32 v200, vcc_lo, v200, s56
	s_wait_alu 0xfffd
	v_add_co_ci_u32_e64 v201, null, s57, v201, vcc_lo
	v_add_co_u32 v202, vcc_lo, v202, s56
	;; [unrolled: 3-line block ×3, first 2 shown]
	v_add_f32_e32 v0, v0, v4
	v_fma_f32 v3, v46, v99, -v5
	v_add_f32_e32 v1, v1, v2
	s_wait_alu 0xfffd
	v_add_co_ci_u32_e64 v205, null, s57, v205, vcc_lo
	v_add_co_u32 v206, vcc_lo, v206, s56
	s_wait_alu 0xfffd
	v_add_co_ci_u32_e64 v207, null, s57, v207, vcc_lo
	v_add_co_u32 v208, vcc_lo, v208, s56
	v_dual_add_f32 v65, v0, v3 :: v_dual_add_f32 v66, v1, v6
	v_add_nc_u32_e32 v67, 64, v67
	s_wait_alu 0xfffd
	v_add_co_ci_u32_e64 v209, null, s57, v209, vcc_lo
	s_add_co_i32 s18, s19, 1
	s_add_co_i32 s19, s19, 2
	;; [unrolled: 1-line block ×3, first 2 shown]
	s_wait_alu 0xfffe
	s_cmp_ge_u32 s19, s44
	s_wait_loadcnt 0x0
	s_wait_storecnt 0x0
	s_barrier_signal -1
	s_barrier_wait -1
	global_inv scope:SCOPE_SE
	s_cbranch_scc1 .LBB115_131
; %bb.130:                              ;   in Loop: Header=BB115_79 Depth=2
	s_mov_b32 s19, s18
	s_wait_alu 0xfffe
	s_cmp_eq_u32 s67, s19
	s_cselect_b32 s71, s64, 0
	s_and_saveexec_b32 s18, s0
	s_cbranch_execnz .LBB115_75
	s_branch .LBB115_79
.LBB115_131:                            ;   in Loop: Header=BB115_4 Depth=1
	ds_store_b64 v120, v[65:66]
	s_wait_loadcnt_dscnt 0x0
	s_barrier_signal -1
	s_barrier_wait -1
	global_inv scope:SCOPE_SE
	s_and_saveexec_b32 s18, s69
	s_cbranch_execz .LBB115_2
; %bb.132:                              ;   in Loop: Header=BB115_4 Depth=1
	ds_load_2addr_b64 v[0:3], v103 offset1:67
	ds_load_2addr_b64 v[4:7], v103 offset0:134 offset1:201
	s_wait_dscnt 0x1
	v_dual_add_f32 v0, v2, v0 :: v_dual_add_f32 v1, v3, v1
	s_wait_alu 0xfffe
	v_add_co_u32 v2, vcc_lo, s60, v63
	s_wait_alu 0xfffd
	v_add_co_ci_u32_e64 v3, null, s61, v64, vcc_lo
	s_wait_dscnt 0x0
	v_dual_add_f32 v0, v4, v0 :: v_dual_add_f32 v1, v5, v1
	s_delay_alu instid0(VALU_DEP_1)
	v_dual_add_f32 v0, v0, v6 :: v_dual_add_f32 v1, v1, v7
	global_store_b64 v[2:3], v[0:1], off
	s_branch .LBB115_2
.LBB115_133:                            ;   in Loop: Header=BB115_4 Depth=1
	ds_load_b64 v[2:3], v162
	s_wait_dscnt 0x0
	ds_store_b64 v107, v[2:3]
	s_wait_alu 0xfffe
	s_or_b32 exec_lo, exec_lo, s18
	s_and_saveexec_b32 s18, s7
	s_cbranch_execz .LBB115_29
.LBB115_134:                            ;   in Loop: Header=BB115_4 Depth=1
	ds_load_b64 v[2:3], v163
	s_wait_dscnt 0x0
	ds_store_b64 v107, v[2:3] offset:8
	s_wait_alu 0xfffe
	s_or_b32 exec_lo, exec_lo, s18
	s_and_saveexec_b32 s18, s8
	s_cbranch_execz .LBB115_30
.LBB115_135:                            ;   in Loop: Header=BB115_4 Depth=1
	ds_load_b64 v[2:3], v163 offset:264
	s_wait_dscnt 0x0
	ds_store_b64 v107, v[2:3] offset:16
	s_wait_alu 0xfffe
	s_or_b32 exec_lo, exec_lo, s18
	s_and_saveexec_b32 s18, s9
	s_cbranch_execnz .LBB115_31
	s_branch .LBB115_32
.LBB115_136:                            ;   in Loop: Header=BB115_4 Depth=1
	ds_load_b64 v[2:3], v162
	s_wait_dscnt 0x0
	ds_store_b64 v107, v[2:3]
	s_wait_alu 0xfffe
	s_or_b32 exec_lo, exec_lo, s18
	s_and_saveexec_b32 s18, s7
	s_cbranch_execz .LBB115_50
.LBB115_137:                            ;   in Loop: Header=BB115_4 Depth=1
	ds_load_b64 v[2:3], v163
	s_wait_dscnt 0x0
	ds_store_b64 v107, v[2:3] offset:8
	s_wait_alu 0xfffe
	s_or_b32 exec_lo, exec_lo, s18
	s_and_saveexec_b32 s18, s8
	s_cbranch_execz .LBB115_51
.LBB115_138:                            ;   in Loop: Header=BB115_4 Depth=1
	ds_load_b64 v[2:3], v163 offset:264
	s_wait_dscnt 0x0
	ds_store_b64 v107, v[2:3] offset:16
	s_wait_alu 0xfffe
	s_or_b32 exec_lo, exec_lo, s18
	s_and_saveexec_b32 s18, s9
	s_cbranch_execnz .LBB115_52
	s_branch .LBB115_53
.LBB115_139:                            ;   in Loop: Header=BB115_4 Depth=1
	global_load_b64 v[4:5], v[0:1], off
	s_wait_loadcnt 0x0
	ds_store_b64 v161, v[4:5]
	s_or_b32 exec_lo, exec_lo, s18
	s_and_saveexec_b32 s18, s3
	s_wait_alu 0xfffe
	s_xor_b32 s18, exec_lo, s18
	s_cbranch_execz .LBB115_18
.LBB115_140:                            ;   in Loop: Header=BB115_4 Depth=1
	v_mov_b32_e32 v58, v57
	ds_store_b64 v161, v[57:58] offset:2112
	s_wait_alu 0xfffe
	s_and_not1_saveexec_b32 s18, s18
	s_cbranch_execz .LBB115_19
.LBB115_141:                            ;   in Loop: Header=BB115_4 Depth=1
	s_lshl_b64 s[60:61], s[42:43], 3
	s_wait_alu 0xfffe
	v_add_co_u32 v4, vcc_lo, v0, s60
	s_wait_alu 0xfffd
	v_add_co_ci_u32_e64 v5, null, s61, v1, vcc_lo
	global_load_b64 v[4:5], v[4:5], off
	s_wait_loadcnt 0x0
	ds_store_b64 v161, v[4:5] offset:2112
	s_or_b32 exec_lo, exec_lo, s18
	s_and_saveexec_b32 s18, s4
	s_wait_alu 0xfffe
	s_xor_b32 s18, exec_lo, s18
	s_cbranch_execz .LBB115_20
.LBB115_142:                            ;   in Loop: Header=BB115_4 Depth=1
	v_mov_b32_e32 v58, v57
	ds_store_b64 v161, v[57:58] offset:4224
	s_wait_alu 0xfffe
	s_and_not1_saveexec_b32 s18, s18
	s_cbranch_execz .LBB115_21
.LBB115_143:                            ;   in Loop: Header=BB115_4 Depth=1
	v_add_co_u32 v4, vcc_lo, v0, s54
	s_wait_alu 0xfffd
	v_add_co_ci_u32_e64 v5, null, s55, v1, vcc_lo
	global_load_b64 v[4:5], v[4:5], off
	s_wait_loadcnt 0x0
	ds_store_b64 v161, v[4:5] offset:4224
	s_wait_alu 0xfffe
	s_or_b32 exec_lo, exec_lo, s18
	s_and_saveexec_b32 s18, s5
	s_wait_alu 0xfffe
	s_xor_b32 s18, exec_lo, s18
	s_cbranch_execz .LBB115_22
.LBB115_144:                            ;   in Loop: Header=BB115_4 Depth=1
	v_mov_b32_e32 v58, v57
	ds_store_b64 v161, v[57:58] offset:6336
	s_wait_alu 0xfffe
	s_and_not1_saveexec_b32 s18, s18
	s_cbranch_execnz .LBB115_23
	s_branch .LBB115_24
.LBB115_145:                            ;   in Loop: Header=BB115_4 Depth=1
	global_load_b64 v[6:7], v[0:1], off
	s_wait_loadcnt 0x0
	ds_store_b64 v161, v[6:7]
	s_or_b32 exec_lo, exec_lo, s18
	s_and_saveexec_b32 s18, s13
	s_wait_alu 0xfffe
	s_xor_b32 s18, exec_lo, s18
	s_cbranch_execz .LBB115_39
.LBB115_146:                            ;   in Loop: Header=BB115_4 Depth=1
	v_mov_b32_e32 v58, v57
	ds_store_b64 v161, v[57:58] offset:2112
	s_wait_alu 0xfffe
	s_and_not1_saveexec_b32 s18, s18
	s_cbranch_execz .LBB115_40
.LBB115_147:                            ;   in Loop: Header=BB115_4 Depth=1
	s_lshl_b64 s[60:61], s[42:43], 3
	s_wait_alu 0xfffe
	v_add_co_u32 v6, vcc_lo, v0, s60
	s_wait_alu 0xfffd
	v_add_co_ci_u32_e64 v7, null, s61, v1, vcc_lo
	global_load_b64 v[6:7], v[6:7], off
	s_wait_loadcnt 0x0
	ds_store_b64 v161, v[6:7] offset:2112
	s_or_b32 exec_lo, exec_lo, s18
	s_and_saveexec_b32 s18, s14
	s_wait_alu 0xfffe
	s_xor_b32 s18, exec_lo, s18
	s_cbranch_execz .LBB115_41
.LBB115_148:                            ;   in Loop: Header=BB115_4 Depth=1
	v_mov_b32_e32 v58, v57
	ds_store_b64 v161, v[57:58] offset:4224
	s_wait_alu 0xfffe
	s_and_not1_saveexec_b32 s18, s18
	s_cbranch_execz .LBB115_42
.LBB115_149:                            ;   in Loop: Header=BB115_4 Depth=1
	v_add_co_u32 v6, vcc_lo, v0, s54
	s_wait_alu 0xfffd
	v_add_co_ci_u32_e64 v7, null, s55, v1, vcc_lo
	global_load_b64 v[6:7], v[6:7], off
	s_wait_loadcnt 0x0
	ds_store_b64 v161, v[6:7] offset:4224
	s_wait_alu 0xfffe
	s_or_b32 exec_lo, exec_lo, s18
	s_and_saveexec_b32 s18, s15
	s_wait_alu 0xfffe
	s_xor_b32 s18, exec_lo, s18
	s_cbranch_execz .LBB115_43
.LBB115_150:                            ;   in Loop: Header=BB115_4 Depth=1
	v_mov_b32_e32 v58, v57
	ds_store_b64 v161, v[57:58] offset:6336
	s_wait_alu 0xfffe
	s_and_not1_saveexec_b32 s18, s18
	s_cbranch_execnz .LBB115_44
	s_branch .LBB115_45
.LBB115_151:                            ;   in Loop: Header=BB115_4 Depth=1
	global_load_b64 v[6:7], v[4:5], off
	s_wait_loadcnt 0x0
	ds_store_b64 v161, v[6:7]
	s_or_b32 exec_lo, exec_lo, s18
	s_and_saveexec_b32 s18, s13
	s_wait_alu 0xfffe
	s_xor_b32 s18, exec_lo, s18
	s_cbranch_execz .LBB115_60
.LBB115_152:                            ;   in Loop: Header=BB115_4 Depth=1
	v_mov_b32_e32 v58, v57
	ds_store_b64 v161, v[57:58] offset:2112
	s_wait_alu 0xfffe
	s_and_not1_saveexec_b32 s18, s18
	s_cbranch_execz .LBB115_61
.LBB115_153:                            ;   in Loop: Header=BB115_4 Depth=1
	s_lshl_b64 s[60:61], s[42:43], 3
	s_wait_alu 0xfffe
	v_add_co_u32 v6, vcc_lo, v4, s60
	s_wait_alu 0xfffd
	v_add_co_ci_u32_e64 v7, null, s61, v5, vcc_lo
	global_load_b64 v[6:7], v[6:7], off
	s_wait_loadcnt 0x0
	ds_store_b64 v161, v[6:7] offset:2112
	s_or_b32 exec_lo, exec_lo, s18
	s_and_saveexec_b32 s18, s14
	s_wait_alu 0xfffe
	s_xor_b32 s18, exec_lo, s18
	s_cbranch_execz .LBB115_62
.LBB115_154:                            ;   in Loop: Header=BB115_4 Depth=1
	v_mov_b32_e32 v58, v57
	ds_store_b64 v161, v[57:58] offset:4224
	s_wait_alu 0xfffe
	s_and_not1_saveexec_b32 s18, s18
	s_cbranch_execz .LBB115_63
.LBB115_155:                            ;   in Loop: Header=BB115_4 Depth=1
	v_add_co_u32 v6, vcc_lo, v4, s54
	s_wait_alu 0xfffd
	v_add_co_ci_u32_e64 v7, null, s55, v5, vcc_lo
	global_load_b64 v[6:7], v[6:7], off
	s_wait_loadcnt 0x0
	ds_store_b64 v161, v[6:7] offset:4224
	s_wait_alu 0xfffe
	s_or_b32 exec_lo, exec_lo, s18
	s_and_saveexec_b32 s18, s15
	s_wait_alu 0xfffe
	s_xor_b32 s18, exec_lo, s18
	s_cbranch_execz .LBB115_64
.LBB115_156:                            ;   in Loop: Header=BB115_4 Depth=1
	v_mov_b32_e32 v58, v57
	ds_store_b64 v161, v[57:58] offset:6336
	s_wait_alu 0xfffe
	s_and_not1_saveexec_b32 s18, s18
	s_cbranch_execnz .LBB115_65
	s_branch .LBB115_66
.LBB115_157:
	s_nop 0
	s_sendmsg sendmsg(MSG_DEALLOC_VGPRS)
	s_endpgm
	.section	.rodata,"a",@progbits
	.p2align	6, 0x0
	.amdhsa_kernel _ZL26rocblas_hemvn_kernel_upperILb0ELi64ELi4ELi33ELi32ELi16EiPK19rocblas_complex_numIfES3_PS1_EviT6_lT7_lT5_lS6_lS7_lS5_lT8_i
		.amdhsa_group_segment_fixed_size 9600
		.amdhsa_private_segment_fixed_size 0
		.amdhsa_kernarg_size 376
		.amdhsa_user_sgpr_count 2
		.amdhsa_user_sgpr_dispatch_ptr 0
		.amdhsa_user_sgpr_queue_ptr 0
		.amdhsa_user_sgpr_kernarg_segment_ptr 1
		.amdhsa_user_sgpr_dispatch_id 0
		.amdhsa_user_sgpr_private_segment_size 0
		.amdhsa_wavefront_size32 1
		.amdhsa_uses_dynamic_stack 0
		.amdhsa_enable_private_segment 0
		.amdhsa_system_sgpr_workgroup_id_x 1
		.amdhsa_system_sgpr_workgroup_id_y 0
		.amdhsa_system_sgpr_workgroup_id_z 1
		.amdhsa_system_sgpr_workgroup_info 0
		.amdhsa_system_vgpr_workitem_id 1
		.amdhsa_next_free_vgpr 218
		.amdhsa_next_free_sgpr 83
		.amdhsa_reserve_vcc 1
		.amdhsa_float_round_mode_32 0
		.amdhsa_float_round_mode_16_64 0
		.amdhsa_float_denorm_mode_32 3
		.amdhsa_float_denorm_mode_16_64 3
		.amdhsa_fp16_overflow 0
		.amdhsa_workgroup_processor_mode 1
		.amdhsa_memory_ordered 1
		.amdhsa_forward_progress 1
		.amdhsa_inst_pref_size 89
		.amdhsa_round_robin_scheduling 0
		.amdhsa_exception_fp_ieee_invalid_op 0
		.amdhsa_exception_fp_denorm_src 0
		.amdhsa_exception_fp_ieee_div_zero 0
		.amdhsa_exception_fp_ieee_overflow 0
		.amdhsa_exception_fp_ieee_underflow 0
		.amdhsa_exception_fp_ieee_inexact 0
		.amdhsa_exception_int_div_zero 0
	.end_amdhsa_kernel
	.section	.text._ZL26rocblas_hemvn_kernel_upperILb0ELi64ELi4ELi33ELi32ELi16EiPK19rocblas_complex_numIfES3_PS1_EviT6_lT7_lT5_lS6_lS7_lS5_lT8_i,"axG",@progbits,_ZL26rocblas_hemvn_kernel_upperILb0ELi64ELi4ELi33ELi32ELi16EiPK19rocblas_complex_numIfES3_PS1_EviT6_lT7_lT5_lS6_lS7_lS5_lT8_i,comdat
.Lfunc_end115:
	.size	_ZL26rocblas_hemvn_kernel_upperILb0ELi64ELi4ELi33ELi32ELi16EiPK19rocblas_complex_numIfES3_PS1_EviT6_lT7_lT5_lS6_lS7_lS5_lT8_i, .Lfunc_end115-_ZL26rocblas_hemvn_kernel_upperILb0ELi64ELi4ELi33ELi32ELi16EiPK19rocblas_complex_numIfES3_PS1_EviT6_lT7_lT5_lS6_lS7_lS5_lT8_i
                                        ; -- End function
	.set _ZL26rocblas_hemvn_kernel_upperILb0ELi64ELi4ELi33ELi32ELi16EiPK19rocblas_complex_numIfES3_PS1_EviT6_lT7_lT5_lS6_lS7_lS5_lT8_i.num_vgpr, 218
	.set _ZL26rocblas_hemvn_kernel_upperILb0ELi64ELi4ELi33ELi32ELi16EiPK19rocblas_complex_numIfES3_PS1_EviT6_lT7_lT5_lS6_lS7_lS5_lT8_i.num_agpr, 0
	.set _ZL26rocblas_hemvn_kernel_upperILb0ELi64ELi4ELi33ELi32ELi16EiPK19rocblas_complex_numIfES3_PS1_EviT6_lT7_lT5_lS6_lS7_lS5_lT8_i.numbered_sgpr, 83
	.set _ZL26rocblas_hemvn_kernel_upperILb0ELi64ELi4ELi33ELi32ELi16EiPK19rocblas_complex_numIfES3_PS1_EviT6_lT7_lT5_lS6_lS7_lS5_lT8_i.num_named_barrier, 0
	.set _ZL26rocblas_hemvn_kernel_upperILb0ELi64ELi4ELi33ELi32ELi16EiPK19rocblas_complex_numIfES3_PS1_EviT6_lT7_lT5_lS6_lS7_lS5_lT8_i.private_seg_size, 0
	.set _ZL26rocblas_hemvn_kernel_upperILb0ELi64ELi4ELi33ELi32ELi16EiPK19rocblas_complex_numIfES3_PS1_EviT6_lT7_lT5_lS6_lS7_lS5_lT8_i.uses_vcc, 1
	.set _ZL26rocblas_hemvn_kernel_upperILb0ELi64ELi4ELi33ELi32ELi16EiPK19rocblas_complex_numIfES3_PS1_EviT6_lT7_lT5_lS6_lS7_lS5_lT8_i.uses_flat_scratch, 0
	.set _ZL26rocblas_hemvn_kernel_upperILb0ELi64ELi4ELi33ELi32ELi16EiPK19rocblas_complex_numIfES3_PS1_EviT6_lT7_lT5_lS6_lS7_lS5_lT8_i.has_dyn_sized_stack, 0
	.set _ZL26rocblas_hemvn_kernel_upperILb0ELi64ELi4ELi33ELi32ELi16EiPK19rocblas_complex_numIfES3_PS1_EviT6_lT7_lT5_lS6_lS7_lS5_lT8_i.has_recursion, 0
	.set _ZL26rocblas_hemvn_kernel_upperILb0ELi64ELi4ELi33ELi32ELi16EiPK19rocblas_complex_numIfES3_PS1_EviT6_lT7_lT5_lS6_lS7_lS5_lT8_i.has_indirect_call, 0
	.section	.AMDGPU.csdata,"",@progbits
; Kernel info:
; codeLenInByte = 11352
; TotalNumSgprs: 85
; NumVgprs: 218
; ScratchSize: 0
; MemoryBound: 1
; FloatMode: 240
; IeeeMode: 1
; LDSByteSize: 9600 bytes/workgroup (compile time only)
; SGPRBlocks: 0
; VGPRBlocks: 27
; NumSGPRsForWavesPerEU: 85
; NumVGPRsForWavesPerEU: 218
; Occupancy: 6
; WaveLimiterHint : 0
; COMPUTE_PGM_RSRC2:SCRATCH_EN: 0
; COMPUTE_PGM_RSRC2:USER_SGPR: 2
; COMPUTE_PGM_RSRC2:TRAP_HANDLER: 0
; COMPUTE_PGM_RSRC2:TGID_X_EN: 1
; COMPUTE_PGM_RSRC2:TGID_Y_EN: 0
; COMPUTE_PGM_RSRC2:TGID_Z_EN: 1
; COMPUTE_PGM_RSRC2:TIDIG_COMP_CNT: 1
	.section	.text._ZL26rocblas_hemvn_kernel_upperILb0ELi64ELi4ELi33ELi32ELi16El19rocblas_complex_numIfEPKS1_PS1_EviT6_lT7_lT5_lS6_lS7_lS5_lT8_i,"axG",@progbits,_ZL26rocblas_hemvn_kernel_upperILb0ELi64ELi4ELi33ELi32ELi16El19rocblas_complex_numIfEPKS1_PS1_EviT6_lT7_lT5_lS6_lS7_lS5_lT8_i,comdat
	.globl	_ZL26rocblas_hemvn_kernel_upperILb0ELi64ELi4ELi33ELi32ELi16El19rocblas_complex_numIfEPKS1_PS1_EviT6_lT7_lT5_lS6_lS7_lS5_lT8_i ; -- Begin function _ZL26rocblas_hemvn_kernel_upperILb0ELi64ELi4ELi33ELi32ELi16El19rocblas_complex_numIfEPKS1_PS1_EviT6_lT7_lT5_lS6_lS7_lS5_lT8_i
	.p2align	8
	.type	_ZL26rocblas_hemvn_kernel_upperILb0ELi64ELi4ELi33ELi32ELi16El19rocblas_complex_numIfEPKS1_PS1_EviT6_lT7_lT5_lS6_lS7_lS5_lT8_i,@function
_ZL26rocblas_hemvn_kernel_upperILb0ELi64ELi4ELi33ELi32ELi16El19rocblas_complex_numIfEPKS1_PS1_EviT6_lT7_lT5_lS6_lS7_lS5_lT8_i: ; @_ZL26rocblas_hemvn_kernel_upperILb0ELi64ELi4ELi33ELi32ELi16El19rocblas_complex_numIfEPKS1_PS1_EviT6_lT7_lT5_lS6_lS7_lS5_lT8_i
; %bb.0:
	s_clause 0x1
	s_load_b64 s[2:3], s[0:1], 0x84
	s_load_b32 s33, s[0:1], 0x70
	s_lshr_b32 s34, ttmp7, 16
	s_wait_kmcnt 0x0
	s_lshr_b32 s4, s2, 16
	s_and_b32 s2, s2, 0xffff
	s_and_b32 s3, s3, 0xffff
	s_mul_i32 s2, s4, s2
	s_delay_alu instid0(SALU_CYCLE_1) | instskip(NEXT) | instid1(SALU_CYCLE_1)
	s_mul_i32 s2, s2, s3
	s_cmp_lg_u32 s2, 0x100
	s_cselect_b32 s2, -1, 0
	s_cmp_ge_u32 s34, s33
	s_cselect_b32 s3, -1, 0
	s_delay_alu instid0(SALU_CYCLE_1) | instskip(NEXT) | instid1(SALU_CYCLE_1)
	s_or_b32 s2, s2, s3
	s_and_b32 vcc_lo, exec_lo, s2
	s_cbranch_vccnz .LBB116_155
; %bb.1:
	s_clause 0x4
	s_load_b32 s2, s[0:1], 0x0
	s_load_b64 s[8:9], s[0:1], 0x4
	s_load_b512 s[16:31], s[0:1], 0x18
	s_load_b64 s[10:11], s[0:1], 0x58
	s_load_b64 s[6:7], s[0:1], 0x68
	s_add_nc_u64 s[0:1], s[0:1], 0x78
	v_and_b32_e32 v96, 0x3ff, v0
	s_load_b32 s36, s[0:1], 0x0
	v_bfe_u32 v10, v0, 10, 10
	v_dual_mov_b32 v56, 0 :: v_dual_and_b32 v1, 31, v0
	s_mov_b32 s4, ttmp9
	s_mov_b32 s35, 0
	s_delay_alu instid0(VALU_DEP_2) | instskip(NEXT) | instid1(VALU_DEP_2)
	v_lshl_add_u32 v11, v10, 6, v96
	v_dual_mov_b32 v2, v56 :: v_dual_lshlrev_b32 v19, 3, v1
	s_mov_b32 s37, s35
	v_lshlrev_b32_e32 v108, 2, v10
	s_delay_alu instid0(VALU_DEP_3) | instskip(NEXT) | instid1(VALU_DEP_3)
	v_lshrrev_b32_e32 v12, 5, v11
	v_lshl_or_b32 v15, v1, 8, v19
	s_wait_kmcnt 0x0
	s_ashr_i32 s3, s2, 31
	s_or_b32 s0, s8, s9
	s_lshl_b64 s[8:9], s[26:27], 3
	s_bitset0_b32 s0, 31
	s_lshl_b64 s[12:13], s[18:19], 3
	s_cmp_lg_u32 s0, 0
	v_mad_co_u64_u32 v[2:3], null, s20, v12, v[1:2]
	s_cselect_b32 s52, -1, 0
	s_cmp_neq_f32 s10, 1.0
	s_add_nc_u64 s[8:9], s[24:25], s[8:9]
	v_lshlrev_b32_e32 v14, 2, v12
	s_mul_u64 s[26:27], s[36:37], s[2:3]
	s_cselect_b32 s53, -1, 0
	s_cmp_neq_f32 s11, 0
	s_add_nc_u64 s[10:11], s[16:17], s[12:13]
	v_or_b32_e32 v18, 2, v14
	v_and_b32_e32 v16, 0x7fe0, v11
	s_cselect_b32 s54, -1, 0
	s_lshl_b32 s48, ttmp9, 6
	s_lshr_b32 s1, s3, 26
	v_add_nc_u32_e32 v4, s48, v96
	s_add_co_i32 s1, s2, s1
	s_add_co_i32 s5, s36, -1
	s_and_not1_b32 s1, s1, 63
	v_add_nc_u32_e32 v103, v15, v16
	v_ashrrev_i32_e32 v5, 31, v4
	v_mul_lo_u32 v8, s29, v4
	v_mad_co_u64_u32 v[6:7], null, s28, v4, 0
	s_sub_co_i32 s56, s2, s1
	v_mul_lo_u32 v9, s28, v5
	s_cmp_eq_u32 ttmp9, s5
	v_add_nc_u32_e32 v105, 0x2380, v16
	s_cselect_b32 s24, s56, 0
	v_cmp_eq_u32_e64 s0, 0, v10
	s_cmp_lg_u32 s24, 0
	v_or_b32_e32 v15, 1, v14
	s_cselect_b32 s57, -1, 0
	v_add3_u32 v7, v7, v9, v8
	v_mad_co_u64_u32 v[8:9], null, s21, v12, v[3:4]
	s_cmp_eq_u32 s24, 0
	v_mul_u32_u24_e32 v20, 0x108, v12
	v_lshlrev_b64_e32 v[6:7], 3, v[6:7]
	s_cselect_b32 s1, -1, 0
	s_ashr_i32 s5, ttmp9, 31
	s_ashr_i32 s49, s48, 31
	v_mov_b32_e32 v3, v8
	v_cmp_gt_i32_e32 vcc_lo, s24, v96
	s_mul_u64 s[4:5], s[2:3], s[4:5]
	v_lshlrev_b32_e32 v97, 3, v96
	s_lshl_b64 s[2:3], s[4:5], 3
	v_lshlrev_b64_e32 v[2:3], 3, v[2:3]
	s_wait_alu 0xfffe
	s_lshl_b64 s[4:5], s[48:49], 3
	s_or_b32 s55, s1, vcc_lo
	v_add_co_u32 v98, vcc_lo, s8, v6
	v_cmp_gt_u32_e64 s8, v18, v1
	v_lshlrev_b32_e32 v18, 5, v10
	s_add_nc_u64 s[38:39], s[6:7], s[2:3]
	s_add_nc_u64 s[2:3], s[10:11], s[4:5]
	v_add_co_ci_u32_e64 v99, null, s9, v7, vcc_lo
	v_add_co_u32 v6, vcc_lo, s2, v2
	s_mul_u64 s[4:5], s[20:21], s[48:49]
	s_wait_alu 0xfffd
	v_add_co_ci_u32_e64 v7, null, s3, v3, vcc_lo
	v_add_nc_u32_e32 v8, 8, v12
	v_add_nc_u32_e32 v16, 0x110, v18
	s_lshl_b64 s[2:3], s[4:5], 3
	s_sub_co_i32 s15, s24, 32
	s_wait_alu 0xfffe
	v_add_co_u32 v101, vcc_lo, v6, s2
	s_add_co_i32 s17, ttmp9, 1
	s_xor_b32 s58, s55, -1
	s_ashr_i32 s25, s24, 31
	s_lshl_b64 s[40:41], s[20:21], 6
	s_lshl_b64 s[42:43], s[20:21], 7
	;; [unrolled: 1-line block ×3, first 2 shown]
	s_wait_alu 0xfffd
	v_add_co_ci_u32_e64 v102, null, s3, v7, vcc_lo
	v_cmp_le_i32_e64 s3, s24, v8
	v_cmp_gt_u32_e64 s10, 32, v11
	v_cmp_le_i32_e64 s13, s15, v8
	s_cmp_lt_u32 s17, s36
	v_lshrrev_b32_e32 v8, 4, v11
	v_mad_u32_u24 v111, 0x860, v10, v97
	v_cmp_gt_u32_e64 s17, 64, v11
	v_mad_u32_u24 v130, 0x218, v10, v97
	v_mad_co_u64_u32 v[10:11], null, s20, v16, 0
	v_add_nc_u32_e32 v9, 16, v12
	v_sub_co_u32 v6, s2, 0, v1
	s_wait_alu 0xf1ff
	v_sub_co_ci_u32_e64 v7, null, 0, 0, s2
	v_cmp_le_i32_e64 s2, s24, v12
	v_cmp_le_i32_e64 s4, s24, v9
	v_add_nc_u32_e32 v13, 24, v12
	v_mul_u32_u24_e32 v21, 0x420, v12
	v_mul_u32_u24_e32 v22, 0x108, v15
	v_lshlrev_b32_e32 v15, 3, v12
	v_cmp_le_i32_e64 s12, s15, v12
	v_cmp_le_i32_e64 s14, s15, v9
	v_cmp_eq_u32_e64 s16, 1, v12
	v_mul_i32_i24_e32 v107, 0xffffffe8, v12
	v_and_b32_e32 v9, 15, v0
	v_and_b32_e32 v0, 48, v0
	v_lshlrev_b32_e32 v12, 5, v8
	v_cmp_le_i32_e64 s5, s24, v13
	v_cmp_le_i32_e64 s15, s15, v13
	v_or_b32_e32 v13, 0x78, v97
	v_lshlrev_b32_e32 v0, 3, v0
	v_mad_u32_u24 v112, 0x218, v9, v12
	v_add_nc_u32_e32 v12, 0x100, v18
	v_mul_i32_i24_e32 v23, 0xffffffe8, v8
	v_mad_u32_u24 v114, 0x218, v9, v13
	v_mad_u32_u24 v113, 0x218, v9, v0
	v_cmp_gt_u32_e64 s6, v14, v1
	v_mad_co_u64_u32 v[8:9], null, s20, v12, 0
	v_cmp_ge_u32_e64 s7, v14, v1
	v_or_b32_e32 v14, 3, v14
	v_mul_u32_u24_e32 v17, 33, v1
	v_add_nc_u32_e32 v24, 0x118, v18
	v_add_nc_u32_e32 v131, 0x2380, v15
	v_dual_mov_b32 v0, v9 :: v_dual_add_nc_u32 v25, 0x200, v18
	v_cmp_gt_u32_e64 s9, v14, v1
	v_or_b32_e32 v14, 32, v1
	v_add_nc_u32_e32 v9, 0x108, v18
	v_lshlrev_b32_e32 v104, 3, v17
	v_mad_co_u64_u32 v[12:13], null, s21, v12, v[0:1]
	s_delay_alu instid0(VALU_DEP_4) | instskip(NEXT) | instid1(VALU_DEP_4)
	v_cmp_gt_i32_e64 s11, s24, v14
	v_mad_co_u64_u32 v[13:14], null, s20, v9, 0
	v_mov_b32_e32 v0, v11
	v_add_nc_u32_e32 v106, v104, v15
	v_sub_co_u32 v132, vcc_lo, v8, v2
	s_wait_alu 0xfffd
	v_sub_co_ci_u32_e64 v133, null, v12, v3, vcc_lo
	v_mad_co_u64_u32 v[15:16], null, s21, v16, v[0:1]
	v_mad_co_u64_u32 v[16:17], null, s20, v24, 0
	v_mov_b32_e32 v0, v14
	v_sub_co_u32 v134, vcc_lo, v10, v2
	v_add_nc_u32_e32 v12, 0x180, v18
	s_wait_alu 0xfffd
	v_sub_co_ci_u32_e64 v135, null, v15, v3, vcc_lo
	v_mad_co_u64_u32 v[9:10], null, s21, v9, v[0:1]
	v_mov_b32_e32 v8, v17
	v_mad_co_u64_u32 v[10:11], null, s20, v12, 0
	v_sub_co_u32 v136, vcc_lo, v13, v2
	v_add_nc_u32_e32 v17, 0x190, v18
	s_delay_alu instid0(VALU_DEP_4)
	v_mad_co_u64_u32 v[14:15], null, s21, v24, v[8:9]
	v_add_nc_u32_e32 v15, 0x188, v18
	s_wait_alu 0xfffd
	v_sub_co_ci_u32_e64 v137, null, v9, v3, vcc_lo
	v_mov_b32_e32 v0, v11
	v_add_nc_u32_e32 v24, 0x198, v18
	v_mad_co_u64_u32 v[8:9], null, s20, v15, 0
	v_sub_co_u32 v138, vcc_lo, v16, v2
	s_delay_alu instid0(VALU_DEP_4) | instskip(SKIP_1) | instid1(VALU_DEP_4)
	v_mad_co_u64_u32 v[11:12], null, s21, v12, v[0:1]
	v_mad_co_u64_u32 v[12:13], null, s20, v17, 0
	v_mov_b32_e32 v0, v9
	s_wait_alu 0xfffd
	v_sub_co_ci_u32_e64 v139, null, v14, v3, vcc_lo
	v_sub_co_u32 v140, vcc_lo, v10, v2
	s_delay_alu instid0(VALU_DEP_3)
	v_mad_co_u64_u32 v[14:15], null, s21, v15, v[0:1]
	v_mad_co_u64_u32 v[15:16], null, s20, v24, 0
	v_dual_mov_b32 v0, v13 :: v_dual_add_nc_u32 v109, 0x2180, v97
	s_wait_alu 0xfffd
	v_sub_co_ci_u32_e64 v141, null, v11, v3, vcc_lo
	v_sub_co_u32 v142, vcc_lo, v8, v2
	s_delay_alu instid0(VALU_DEP_3)
	v_mad_co_u64_u32 v[9:10], null, s21, v17, v[0:1]
	v_mov_b32_e32 v8, v16
	v_mad_co_u64_u32 v[10:11], null, s20, v25, 0
	s_wait_alu 0xfffd
	v_sub_co_ci_u32_e64 v143, null, v14, v3, vcc_lo
	v_sub_co_u32 v144, vcc_lo, v12, v2
	v_mad_co_u64_u32 v[13:14], null, s21, v24, v[8:9]
	v_add_nc_u32_e32 v14, 0x208, v18
	v_dual_mov_b32 v0, v11 :: v_dual_add_nc_u32 v119, 17, v108
	s_wait_alu 0xfffd
	v_sub_co_ci_u32_e64 v145, null, v9, v3, vcc_lo
	s_delay_alu instid0(VALU_DEP_3)
	v_mad_co_u64_u32 v[8:9], null, s20, v14, 0
	v_add_nc_u32_e32 v17, 0x210, v18
	v_sub_co_u32 v146, vcc_lo, v15, v2
	v_mad_co_u64_u32 v[11:12], null, s21, v25, v[0:1]
	s_wait_alu 0xfffd
	v_sub_co_ci_u32_e64 v147, null, v13, v3, vcc_lo
	v_mad_co_u64_u32 v[12:13], null, s20, v17, 0
	v_dual_mov_b32 v0, v9 :: v_dual_add_nc_u32 v121, 19, v108
	v_add_nc_u32_e32 v24, 0x218, v18
	v_add_nc_u32_e32 v123, 33, v108
	v_sub_co_u32 v148, vcc_lo, v10, v2
	s_delay_alu instid0(VALU_DEP_4) | instskip(NEXT) | instid1(VALU_DEP_4)
	v_mad_co_u64_u32 v[14:15], null, s21, v14, v[0:1]
	v_mad_co_u64_u32 v[15:16], null, s20, v24, 0
	v_dual_mov_b32 v0, v13 :: v_dual_add_nc_u32 v125, 35, v108
	s_wait_alu 0xfffd
	v_sub_co_ci_u32_e64 v149, null, v11, v3, vcc_lo
	v_sub_co_u32 v150, vcc_lo, v8, v2
	s_delay_alu instid0(VALU_DEP_3)
	v_mad_co_u64_u32 v[9:10], null, s21, v17, v[0:1]
	v_dual_mov_b32 v8, v16 :: v_dual_add_nc_u32 v25, 0x280, v18
	s_wait_alu 0xfffd
	v_sub_co_ci_u32_e64 v151, null, v14, v3, vcc_lo
	v_add_nc_u32_e32 v26, 0x288, v18
	v_sub_co_u32 v152, vcc_lo, v12, v2
	v_mad_co_u64_u32 v[10:11], null, s21, v24, v[8:9]
	v_mad_co_u64_u32 v[13:14], null, s20, v25, 0
	v_add_nc_u32_e32 v24, 0x290, v18
	v_mad_co_u64_u32 v[16:17], null, s20, v26, 0
	s_wait_alu 0xfffd
	v_sub_co_ci_u32_e64 v153, null, v9, v3, vcc_lo
	v_sub_co_u32 v154, vcc_lo, v15, v2
	v_dual_mov_b32 v0, v14 :: v_dual_add_nc_u32 v127, 49, v108
	s_wait_alu 0xfffd
	v_sub_co_ci_u32_e64 v155, null, v10, v3, vcc_lo
	v_mad_co_u64_u32 v[9:10], null, s20, v24, 0
	v_add_nc_u32_e32 v27, 0x298, v18
	v_add_nc_u32_e32 v110, 0x2180, v18
	v_dual_mov_b32 v8, v17 :: v_dual_add_nc_u32 v129, 51, v108
	v_mad_co_u64_u32 v[11:12], null, s21, v25, v[0:1]
	s_delay_alu instid0(VALU_DEP_4)
	v_mad_co_u64_u32 v[17:18], null, s20, v27, 0
	v_mov_b32_e32 v0, v10
	v_sub_co_u32 v156, vcc_lo, v13, v2
	v_mad_co_u64_u32 v[14:15], null, s21, v26, v[8:9]
	s_wait_alu 0xfffd
	v_sub_co_ci_u32_e64 v157, null, v11, v3, vcc_lo
	v_mad_co_u64_u32 v[10:11], null, s21, v24, v[0:1]
	v_mov_b32_e32 v0, v18
	v_sub_co_u32 v158, vcc_lo, v16, v2
	s_wait_alu 0xfffd
	v_sub_co_ci_u32_e64 v159, null, v14, v3, vcc_lo
	s_delay_alu instid0(VALU_DEP_3)
	v_mad_co_u64_u32 v[11:12], null, s21, v27, v[0:1]
	v_sub_co_u32 v160, vcc_lo, v9, v2
	s_wait_alu 0xfffd
	v_sub_co_ci_u32_e64 v161, null, v10, v3, vcc_lo
	v_sub_co_u32 v162, vcc_lo, v17, v2
	s_mul_u64 s[46:47], s[28:29], s[48:49]
	v_lshlrev_b64_e32 v[58:59], 3, v[4:5]
	v_lshlrev_b64_e32 v[60:61], 3, v[6:7]
	v_add_nc_u32_e32 v100, 0x2380, v97
	v_cmp_gt_i32_e64 s1, s24, v1
	v_or_b32_e32 v115, 1, v108
	v_or_b32_e32 v116, 2, v108
	;; [unrolled: 1-line block ×3, first 2 shown]
	v_add_nc_u32_e32 v118, 16, v108
	v_add_nc_u32_e32 v120, 18, v108
	;; [unrolled: 1-line block ×6, first 2 shown]
	s_wait_alu 0xfffd
	v_sub_co_ci_u32_e64 v163, null, v11, v3, vcc_lo
	v_cndmask_b32_e64 v164, 0, 1, s52
	v_add_nc_u32_e32 v165, v112, v23
	v_add_nc_u32_e32 v166, v19, v20
	v_lshlrev_b32_e32 v167, 3, v1
	v_add_nc_u32_e32 v168, v19, v21
	v_add_nc_u32_e32 v169, v19, v22
	s_sub_nc_u64 s[50:51], 0, s[46:47]
	s_cselect_b32 s37, -1, 0
	s_or_b32 s49, s53, s54
	s_mul_u64 s[44:45], s[20:21], 0xc0
	s_add_co_i32 s59, s36, -2
	s_and_b32 s60, s0, s55
	s_wait_alu 0xfffe
	s_sub_nc_u64 s[46:47], 0, s[24:25]
	s_add_co_i32 s61, s48, 64
	s_or_b32 s62, s49, s52
	s_lshl_b64 s[20:21], s[20:21], 9
	s_lshl_b64 s[48:49], s[18:19], 3
	;; [unrolled: 1-line block ×3, first 2 shown]
	s_branch .LBB116_4
.LBB116_2:                              ;   in Loop: Header=BB116_4 Depth=1
	s_wait_alu 0xfffe
	s_or_b32 exec_lo, exec_lo, s18
.LBB116_3:                              ;   in Loop: Header=BB116_4 Depth=1
	s_add_co_i32 s34, s34, 0x10000
	s_delay_alu instid0(SALU_CYCLE_1)
	s_cmp_lt_u32 s34, s33
	s_cbranch_scc0 .LBB116_155
.LBB116_4:                              ; =>This Loop Header: Depth=1
                                        ;     Child Loop BB116_77 Depth 2
	s_and_not1_b32 vcc_lo, exec_lo, s62
	s_wait_alu 0xfffe
	s_cbranch_vccnz .LBB116_3
; %bb.5:                                ;   in Loop: Header=BB116_4 Depth=1
	v_cmp_ne_u32_e32 vcc_lo, 1, v164
	s_cbranch_vccnz .LBB116_3
; %bb.6:                                ;   in Loop: Header=BB116_4 Depth=1
	s_mul_u64 s[18:19], s[30:31], s[34:35]
	s_wait_alu 0xfffe
	s_lshl_b64 s[18:19], s[18:19], 3
	s_wait_alu 0xfffe
	v_add_co_u32 v12, vcc_lo, v98, s18
	s_wait_alu 0xfffd
	v_add_co_ci_u32_e64 v13, null, s19, v99, vcc_lo
	s_and_saveexec_b32 s18, s0
	s_cbranch_execz .LBB116_11
; %bb.7:                                ;   in Loop: Header=BB116_4 Depth=1
	s_and_saveexec_b32 s19, s58
	s_wait_alu 0xfffe
	s_xor_b32 s19, exec_lo, s19
; %bb.8:                                ;   in Loop: Header=BB116_4 Depth=1
	v_mov_b32_e32 v57, v56
	ds_store_b64 v100, v[56:57]
; %bb.9:                                ;   in Loop: Header=BB116_4 Depth=1
	s_wait_alu 0xfffe
	s_and_not1_saveexec_b32 s19, s19
	s_cbranch_execz .LBB116_11
; %bb.10:                               ;   in Loop: Header=BB116_4 Depth=1
	global_load_b64 v[0:1], v[12:13], off
	s_wait_loadcnt 0x0
	ds_store_b64 v100, v[0:1]
.LBB116_11:                             ;   in Loop: Header=BB116_4 Depth=1
	s_wait_alu 0xfffe
	s_or_b32 exec_lo, exec_lo, s18
	s_mul_u64 s[18:19], s[22:23], s[34:35]
                                        ; implicit-def: $vgpr0_vgpr1
	s_wait_alu 0xfffe
	s_lshl_b64 s[18:19], s[18:19], 3
	s_wait_alu 0xfffe
	v_add_co_u32 v2, vcc_lo, v101, s18
	s_wait_alu 0xfffd
	v_add_co_ci_u32_e64 v3, null, s19, v102, vcc_lo
	s_and_b32 vcc_lo, exec_lo, s57
	s_mov_b32 s18, -1
	s_wait_alu 0xfffe
	s_cbranch_vccz .LBB116_23
; %bb.12:                               ;   in Loop: Header=BB116_4 Depth=1
	s_and_saveexec_b32 s18, s2
	s_wait_alu 0xfffe
	s_xor_b32 s18, exec_lo, s18
; %bb.13:                               ;   in Loop: Header=BB116_4 Depth=1
	v_mov_b32_e32 v57, v56
	ds_store_b64 v166, v[56:57]
; %bb.14:                               ;   in Loop: Header=BB116_4 Depth=1
	s_wait_alu 0xfffe
	s_or_saveexec_b32 s18, s18
	v_add_co_u32 v0, vcc_lo, v2, v60
	s_wait_alu 0xfffd
	v_add_co_ci_u32_e64 v1, null, v3, v61, vcc_lo
	s_lshl_b64 s[52:53], s[24:25], 3
	s_wait_alu 0xfffe
	v_add_co_u32 v0, vcc_lo, v0, s52
	s_wait_alu 0xfffd
	v_add_co_ci_u32_e64 v1, null, s53, v1, vcc_lo
	s_delay_alu instid0(VALU_DEP_2) | instskip(SKIP_1) | instid1(VALU_DEP_2)
	v_add_co_u32 v0, vcc_lo, v0, -8
	s_wait_alu 0xfffd
	v_add_co_ci_u32_e64 v1, null, -1, v1, vcc_lo
	s_delay_alu instid0(VALU_DEP_2) | instskip(NEXT) | instid1(VALU_DEP_2)
	v_cndmask_b32_e64 v0, v0, v2, s1
	v_cndmask_b32_e64 v1, v1, v3, s1
	s_xor_b32 exec_lo, exec_lo, s18
	s_cbranch_execnz .LBB116_137
; %bb.15:                               ;   in Loop: Header=BB116_4 Depth=1
	s_or_b32 exec_lo, exec_lo, s18
	s_and_saveexec_b32 s18, s3
	s_wait_alu 0xfffe
	s_xor_b32 s18, exec_lo, s18
	s_cbranch_execnz .LBB116_138
.LBB116_16:                             ;   in Loop: Header=BB116_4 Depth=1
	s_wait_alu 0xfffe
	s_and_not1_saveexec_b32 s18, s18
	s_cbranch_execnz .LBB116_139
.LBB116_17:                             ;   in Loop: Header=BB116_4 Depth=1
	s_wait_alu 0xfffe
	s_or_b32 exec_lo, exec_lo, s18
	s_and_saveexec_b32 s18, s4
	s_wait_alu 0xfffe
	s_xor_b32 s18, exec_lo, s18
	s_cbranch_execnz .LBB116_140
.LBB116_18:                             ;   in Loop: Header=BB116_4 Depth=1
	s_wait_alu 0xfffe
	s_and_not1_saveexec_b32 s18, s18
	s_cbranch_execnz .LBB116_141
.LBB116_19:                             ;   in Loop: Header=BB116_4 Depth=1
	s_wait_alu 0xfffe
	s_or_b32 exec_lo, exec_lo, s18
	s_and_saveexec_b32 s18, s5
	s_wait_alu 0xfffe
	s_xor_b32 s18, exec_lo, s18
	s_cbranch_execnz .LBB116_142
.LBB116_20:                             ;   in Loop: Header=BB116_4 Depth=1
	s_wait_alu 0xfffe
	s_and_not1_saveexec_b32 s18, s18
	s_cbranch_execz .LBB116_22
.LBB116_21:                             ;   in Loop: Header=BB116_4 Depth=1
	v_add_co_u32 v4, vcc_lo, v0, s44
	s_wait_alu 0xfffd
	v_add_co_ci_u32_e64 v5, null, s45, v1, vcc_lo
	global_load_b64 v[4:5], v[4:5], off
	s_wait_loadcnt 0x0
	ds_store_b64 v166, v[4:5] offset:6336
.LBB116_22:                             ;   in Loop: Header=BB116_4 Depth=1
	s_wait_alu 0xfffe
	s_or_b32 exec_lo, exec_lo, s18
	v_add_co_u32 v0, vcc_lo, v0, v167
	s_wait_alu 0xfffd
	v_add_co_ci_u32_e64 v1, null, 0, v1, vcc_lo
	s_lshl_b64 s[18:19], s[46:47], 3
	s_wait_alu 0xfffe
	v_add_co_u32 v0, vcc_lo, v0, s18
	s_wait_alu 0xfffd
	v_add_co_ci_u32_e64 v1, null, s19, v1, vcc_lo
	s_mov_b32 s18, 0
	v_add_co_u32 v0, vcc_lo, v0, 8
	s_wait_alu 0xfffd
	v_add_co_ci_u32_e64 v1, null, 0, v1, vcc_lo
	s_delay_alu instid0(VALU_DEP_2) | instskip(NEXT) | instid1(VALU_DEP_2)
	v_cndmask_b32_e64 v0, v0, v2, s1
	v_cndmask_b32_e64 v1, v1, v3, s1
.LBB116_23:                             ;   in Loop: Header=BB116_4 Depth=1
	s_wait_alu 0xfffe
	s_and_b32 vcc_lo, exec_lo, s18
	s_wait_alu 0xfffe
	s_cbranch_vccz .LBB116_25
; %bb.24:                               ;   in Loop: Header=BB116_4 Depth=1
	v_add_co_u32 v0, vcc_lo, v2, s40
	s_wait_alu 0xfffd
	v_add_co_ci_u32_e64 v1, null, s41, v3, vcc_lo
	s_delay_alu instid0(VALU_DEP_2) | instskip(SKIP_1) | instid1(VALU_DEP_2)
	v_add_co_u32 v4, vcc_lo, v0, s40
	s_wait_alu 0xfffd
	v_add_co_ci_u32_e64 v5, null, s41, v1, vcc_lo
	s_delay_alu instid0(VALU_DEP_2) | instskip(SKIP_1) | instid1(VALU_DEP_2)
	v_add_co_u32 v6, vcc_lo, v4, s40
	s_wait_alu 0xfffd
	v_add_co_ci_u32_e64 v7, null, s41, v5, vcc_lo
	s_clause 0x3
	global_load_b64 v[8:9], v[2:3], off
	global_load_b64 v[10:11], v[0:1], off
	;; [unrolled: 1-line block ×4, first 2 shown]
	v_dual_mov_b32 v0, v2 :: v_dual_mov_b32 v1, v3
	s_wait_loadcnt 0x3
	ds_store_b64 v166, v[8:9]
	s_wait_loadcnt 0x2
	ds_store_b64 v166, v[10:11] offset:2112
	s_wait_loadcnt 0x1
	ds_store_b64 v166, v[4:5] offset:4224
	;; [unrolled: 2-line block ×3, first 2 shown]
.LBB116_25:                             ;   in Loop: Header=BB116_4 Depth=1
	s_wait_dscnt 0x0
	s_barrier_signal -1
	s_barrier_wait -1
	global_inv scope:SCOPE_SE
	s_and_saveexec_b32 s18, s6
	s_cbranch_execnz .LBB116_131
; %bb.26:                               ;   in Loop: Header=BB116_4 Depth=1
	s_wait_alu 0xfffe
	s_or_b32 exec_lo, exec_lo, s18
	s_and_saveexec_b32 s18, s7
	s_cbranch_execnz .LBB116_132
.LBB116_27:                             ;   in Loop: Header=BB116_4 Depth=1
	s_wait_alu 0xfffe
	s_or_b32 exec_lo, exec_lo, s18
	s_and_saveexec_b32 s18, s8
	s_cbranch_execnz .LBB116_133
.LBB116_28:                             ;   in Loop: Header=BB116_4 Depth=1
	s_wait_alu 0xfffe
	s_or_b32 exec_lo, exec_lo, s18
	s_and_saveexec_b32 s18, s9
	s_cbranch_execz .LBB116_30
.LBB116_29:                             ;   in Loop: Header=BB116_4 Depth=1
	ds_load_b64 v[2:3], v169 offset:528
	s_wait_dscnt 0x0
	ds_store_b64 v103, v[2:3] offset:24
.LBB116_30:                             ;   in Loop: Header=BB116_4 Depth=1
	s_wait_alu 0xfffe
	s_or_b32 exec_lo, exec_lo, s18
	s_wait_loadcnt_dscnt 0x0
	s_barrier_signal -1
	s_barrier_wait -1
	global_inv scope:SCOPE_SE
	ds_load_b64 v[10:11], v168
	ds_load_b128 v[2:5], v105
	ds_load_2addr_b64 v[6:9], v169 offset1:33
	ds_load_b128 v[14:17], v105 offset:16
	ds_load_b64 v[18:19], v169 offset:528
	s_wait_loadcnt_dscnt 0x0
	s_barrier_signal -1
	s_barrier_wait -1
	global_inv scope:SCOPE_SE
	v_dual_mov_b32 v63, 0 :: v_dual_mul_f32 v20, v3, v11
	v_dual_mul_f32 v11, v2, v11 :: v_dual_mul_f32 v22, v15, v9
	v_mul_f32_e32 v9, v14, v9
	s_delay_alu instid0(VALU_DEP_3) | instskip(SKIP_1) | instid1(VALU_DEP_4)
	v_fma_f32 v2, v2, v10, -v20
	v_mul_f32_e32 v21, v5, v7
	v_fmac_f32_e32 v11, v3, v10
	s_delay_alu instid0(VALU_DEP_4) | instskip(SKIP_3) | instid1(VALU_DEP_1)
	v_fmac_f32_e32 v9, v15, v8
	v_fma_f32 v10, v14, v8, -v22
	v_dual_add_f32 v2, 0, v2 :: v_dual_mul_f32 v7, v4, v7
	v_fma_f32 v4, v4, v6, -v21
	v_dual_add_f32 v2, v2, v4 :: v_dual_fmac_f32 v7, v5, v6
	v_mul_f32_e32 v6, v16, v19
	v_add_f32_e32 v5, 0, v11
	s_delay_alu instid0(VALU_DEP_3) | instskip(NEXT) | instid1(VALU_DEP_3)
	v_dual_mul_f32 v3, v17, v19 :: v_dual_add_f32 v2, v2, v10
	v_fmac_f32_e32 v6, v17, v18
	s_delay_alu instid0(VALU_DEP_3) | instskip(NEXT) | instid1(VALU_DEP_3)
	v_add_f32_e32 v4, v5, v7
	v_fma_f32 v3, v16, v18, -v3
	s_delay_alu instid0(VALU_DEP_2) | instskip(SKIP_1) | instid1(VALU_DEP_2)
	v_add_f32_e32 v4, v4, v9
	v_mov_b32_e32 v62, 0
	v_dual_add_f32 v2, v2, v3 :: v_dual_add_f32 v3, v4, v6
	ds_store_b64 v106, v[2:3]
	s_wait_loadcnt_dscnt 0x0
	s_barrier_signal -1
	s_barrier_wait -1
	global_inv scope:SCOPE_SE
	s_and_saveexec_b32 s18, s10
	s_cbranch_execz .LBB116_32
; %bb.31:                               ;   in Loop: Header=BB116_4 Depth=1
	ds_load_2addr_b64 v[2:5], v104 offset1:7
	ds_load_2addr_b64 v[6:9], v104 offset0:1 offset1:2
	ds_load_2addr_b64 v[14:17], v104 offset0:3 offset1:4
	ds_load_2addr_b64 v[18:21], v104 offset0:5 offset1:6
	s_wait_dscnt 0x2
	v_dual_add_f32 v2, v6, v2 :: v_dual_add_f32 v3, v7, v3
	s_delay_alu instid0(VALU_DEP_1) | instskip(SKIP_1) | instid1(VALU_DEP_1)
	v_dual_add_f32 v2, v8, v2 :: v_dual_add_f32 v3, v9, v3
	s_wait_dscnt 0x1
	v_dual_add_f32 v2, v2, v14 :: v_dual_add_f32 v3, v3, v15
	s_delay_alu instid0(VALU_DEP_1) | instskip(SKIP_1) | instid1(VALU_DEP_1)
	v_dual_add_f32 v2, v2, v16 :: v_dual_add_f32 v3, v3, v17
	s_wait_dscnt 0x0
	v_dual_add_f32 v2, v2, v18 :: v_dual_add_f32 v3, v3, v19
	s_delay_alu instid0(VALU_DEP_1) | instskip(NEXT) | instid1(VALU_DEP_1)
	v_dual_add_f32 v2, v2, v20 :: v_dual_add_f32 v3, v3, v21
	v_dual_add_f32 v62, v2, v4 :: v_dual_add_f32 v63, v3, v5
.LBB116_32:                             ;   in Loop: Header=BB116_4 Depth=1
	s_wait_alu 0xfffe
	s_or_b32 exec_lo, exec_lo, s18
	v_add_co_u32 v4, vcc_lo, v0, s48
	s_wait_alu 0xfffd
	v_add_co_ci_u32_e64 v5, null, s49, v1, vcc_lo
	s_mov_b32 s18, -1
	v_add_co_u32 v2, vcc_lo, 0x100, v4
	s_wait_alu 0xfffd
	v_add_co_ci_u32_e64 v3, null, 0, v5, vcc_lo
	s_and_b32 vcc_lo, exec_lo, s57
	s_wait_loadcnt 0x0
	s_barrier_signal -1
	s_barrier_wait -1
	global_inv scope:SCOPE_SE
                                        ; implicit-def: $vgpr0_vgpr1
	s_wait_alu 0xfffe
	s_cbranch_vccz .LBB116_44
; %bb.33:                               ;   in Loop: Header=BB116_4 Depth=1
	s_and_saveexec_b32 s18, s12
	s_wait_alu 0xfffe
	s_xor_b32 s18, exec_lo, s18
; %bb.34:                               ;   in Loop: Header=BB116_4 Depth=1
	v_mov_b32_e32 v57, v56
	ds_store_b64 v166, v[56:57]
; %bb.35:                               ;   in Loop: Header=BB116_4 Depth=1
	s_wait_alu 0xfffe
	s_or_saveexec_b32 s18, s18
	v_add_co_u32 v0, vcc_lo, v4, v60
	s_wait_alu 0xfffd
	v_add_co_ci_u32_e64 v1, null, v5, v61, vcc_lo
	s_lshl_b64 s[52:53], s[24:25], 3
	s_wait_alu 0xfffe
	v_add_co_u32 v0, vcc_lo, v0, s52
	s_wait_alu 0xfffd
	v_add_co_ci_u32_e64 v1, null, s53, v1, vcc_lo
	s_delay_alu instid0(VALU_DEP_2) | instskip(SKIP_1) | instid1(VALU_DEP_2)
	v_add_co_u32 v0, vcc_lo, v0, -8
	s_wait_alu 0xfffd
	v_add_co_ci_u32_e64 v1, null, -1, v1, vcc_lo
	s_delay_alu instid0(VALU_DEP_2) | instskip(NEXT) | instid1(VALU_DEP_2)
	v_cndmask_b32_e64 v0, v0, v2, s11
	v_cndmask_b32_e64 v1, v1, v3, s11
	s_xor_b32 exec_lo, exec_lo, s18
	s_cbranch_execnz .LBB116_143
; %bb.36:                               ;   in Loop: Header=BB116_4 Depth=1
	s_or_b32 exec_lo, exec_lo, s18
	s_and_saveexec_b32 s18, s13
	s_wait_alu 0xfffe
	s_xor_b32 s18, exec_lo, s18
	s_cbranch_execnz .LBB116_144
.LBB116_37:                             ;   in Loop: Header=BB116_4 Depth=1
	s_wait_alu 0xfffe
	s_and_not1_saveexec_b32 s18, s18
	s_cbranch_execnz .LBB116_145
.LBB116_38:                             ;   in Loop: Header=BB116_4 Depth=1
	s_wait_alu 0xfffe
	s_or_b32 exec_lo, exec_lo, s18
	s_and_saveexec_b32 s18, s14
	s_wait_alu 0xfffe
	s_xor_b32 s18, exec_lo, s18
	s_cbranch_execnz .LBB116_146
.LBB116_39:                             ;   in Loop: Header=BB116_4 Depth=1
	s_wait_alu 0xfffe
	s_and_not1_saveexec_b32 s18, s18
	s_cbranch_execnz .LBB116_147
.LBB116_40:                             ;   in Loop: Header=BB116_4 Depth=1
	s_wait_alu 0xfffe
	s_or_b32 exec_lo, exec_lo, s18
	s_and_saveexec_b32 s18, s15
	s_wait_alu 0xfffe
	s_xor_b32 s18, exec_lo, s18
	s_cbranch_execnz .LBB116_148
.LBB116_41:                             ;   in Loop: Header=BB116_4 Depth=1
	s_wait_alu 0xfffe
	s_and_not1_saveexec_b32 s18, s18
	s_cbranch_execz .LBB116_43
.LBB116_42:                             ;   in Loop: Header=BB116_4 Depth=1
	v_add_co_u32 v6, vcc_lo, v0, s44
	s_wait_alu 0xfffd
	v_add_co_ci_u32_e64 v7, null, s45, v1, vcc_lo
	global_load_b64 v[6:7], v[6:7], off
	s_wait_loadcnt 0x0
	ds_store_b64 v166, v[6:7] offset:6336
.LBB116_43:                             ;   in Loop: Header=BB116_4 Depth=1
	s_wait_alu 0xfffe
	s_or_b32 exec_lo, exec_lo, s18
	v_add_co_u32 v0, vcc_lo, v0, v167
	s_wait_alu 0xfffd
	v_add_co_ci_u32_e64 v1, null, 0, v1, vcc_lo
	s_lshl_b64 s[18:19], s[46:47], 3
	s_wait_alu 0xfffe
	v_add_co_u32 v0, vcc_lo, v0, s18
	s_wait_alu 0xfffd
	v_add_co_ci_u32_e64 v1, null, s19, v1, vcc_lo
	s_mov_b32 s18, 0
	v_add_co_u32 v0, vcc_lo, 0x108, v0
	s_wait_alu 0xfffd
	v_add_co_ci_u32_e64 v1, null, 0, v1, vcc_lo
	s_delay_alu instid0(VALU_DEP_2) | instskip(NEXT) | instid1(VALU_DEP_2)
	v_cndmask_b32_e64 v0, v0, v2, s11
	v_cndmask_b32_e64 v1, v1, v3, s11
.LBB116_44:                             ;   in Loop: Header=BB116_4 Depth=1
	s_wait_alu 0xfffe
	s_and_b32 vcc_lo, exec_lo, s18
	s_wait_alu 0xfffe
	s_cbranch_vccz .LBB116_46
; %bb.45:                               ;   in Loop: Header=BB116_4 Depth=1
	v_add_co_u32 v0, vcc_lo, v4, s40
	s_wait_alu 0xfffd
	v_add_co_ci_u32_e64 v1, null, s41, v5, vcc_lo
	s_delay_alu instid0(VALU_DEP_2) | instskip(SKIP_1) | instid1(VALU_DEP_2)
	v_add_co_u32 v6, vcc_lo, v0, s40
	s_wait_alu 0xfffd
	v_add_co_ci_u32_e64 v7, null, s41, v1, vcc_lo
	s_delay_alu instid0(VALU_DEP_2) | instskip(SKIP_1) | instid1(VALU_DEP_2)
	v_add_co_u32 v8, vcc_lo, v6, s40
	s_wait_alu 0xfffd
	v_add_co_ci_u32_e64 v9, null, s41, v7, vcc_lo
	s_clause 0x3
	global_load_b64 v[4:5], v[4:5], off offset:256
	global_load_b64 v[10:11], v[0:1], off offset:256
	;; [unrolled: 1-line block ×4, first 2 shown]
	v_dual_mov_b32 v0, v2 :: v_dual_mov_b32 v1, v3
	s_wait_loadcnt 0x3
	ds_store_b64 v166, v[4:5]
	s_wait_loadcnt 0x2
	ds_store_b64 v166, v[10:11] offset:2112
	s_wait_loadcnt 0x1
	ds_store_b64 v166, v[6:7] offset:4224
	;; [unrolled: 2-line block ×3, first 2 shown]
.LBB116_46:                             ;   in Loop: Header=BB116_4 Depth=1
	s_wait_loadcnt_dscnt 0x0
	s_barrier_signal -1
	s_barrier_wait -1
	global_inv scope:SCOPE_SE
	s_and_saveexec_b32 s18, s6
	s_cbranch_execnz .LBB116_134
; %bb.47:                               ;   in Loop: Header=BB116_4 Depth=1
	s_wait_alu 0xfffe
	s_or_b32 exec_lo, exec_lo, s18
	s_and_saveexec_b32 s18, s7
	s_cbranch_execnz .LBB116_135
.LBB116_48:                             ;   in Loop: Header=BB116_4 Depth=1
	s_wait_alu 0xfffe
	s_or_b32 exec_lo, exec_lo, s18
	s_and_saveexec_b32 s18, s8
	s_cbranch_execnz .LBB116_136
.LBB116_49:                             ;   in Loop: Header=BB116_4 Depth=1
	s_wait_alu 0xfffe
	s_or_b32 exec_lo, exec_lo, s18
	s_and_saveexec_b32 s18, s9
	s_cbranch_execz .LBB116_51
.LBB116_50:                             ;   in Loop: Header=BB116_4 Depth=1
	ds_load_b64 v[2:3], v169 offset:528
	s_wait_dscnt 0x0
	ds_store_b64 v103, v[2:3] offset:24
.LBB116_51:                             ;   in Loop: Header=BB116_4 Depth=1
	s_wait_alu 0xfffe
	s_or_b32 exec_lo, exec_lo, s18
	s_wait_loadcnt_dscnt 0x0
	s_barrier_signal -1
	s_barrier_wait -1
	global_inv scope:SCOPE_SE
	ds_load_b64 v[10:11], v168
	ds_load_b128 v[2:5], v105 offset:256
	ds_load_2addr_b64 v[6:9], v169 offset1:33
	ds_load_b128 v[14:17], v105 offset:272
	ds_load_b64 v[18:19], v169 offset:528
	s_wait_loadcnt_dscnt 0x0
	s_barrier_signal -1
	s_barrier_wait -1
	global_inv scope:SCOPE_SE
	v_mul_f32_e32 v20, v3, v11
	v_dual_mul_f32 v11, v2, v11 :: v_dual_mul_f32 v22, v15, v9
	v_mul_f32_e32 v9, v14, v9
	s_delay_alu instid0(VALU_DEP_3) | instskip(SKIP_1) | instid1(VALU_DEP_4)
	v_fma_f32 v2, v2, v10, -v20
	v_mul_f32_e32 v21, v5, v7
	v_fmac_f32_e32 v11, v3, v10
	s_delay_alu instid0(VALU_DEP_4) | instskip(SKIP_3) | instid1(VALU_DEP_1)
	v_fmac_f32_e32 v9, v15, v8
	v_fma_f32 v10, v14, v8, -v22
	v_dual_add_f32 v2, 0, v2 :: v_dual_mul_f32 v7, v4, v7
	v_fma_f32 v4, v4, v6, -v21
	v_dual_add_f32 v2, v2, v4 :: v_dual_fmac_f32 v7, v5, v6
	v_mul_f32_e32 v6, v16, v19
	v_add_f32_e32 v5, 0, v11
	s_delay_alu instid0(VALU_DEP_3) | instskip(NEXT) | instid1(VALU_DEP_3)
	v_dual_mul_f32 v3, v17, v19 :: v_dual_add_f32 v2, v2, v10
	v_fmac_f32_e32 v6, v17, v18
	s_delay_alu instid0(VALU_DEP_3) | instskip(NEXT) | instid1(VALU_DEP_3)
	v_add_f32_e32 v4, v5, v7
	v_fma_f32 v3, v16, v18, -v3
	s_delay_alu instid0(VALU_DEP_2) | instskip(NEXT) | instid1(VALU_DEP_1)
	v_add_f32_e32 v4, v4, v9
	v_dual_add_f32 v2, v2, v3 :: v_dual_add_f32 v3, v4, v6
	ds_store_b64 v106, v[2:3]
	s_wait_loadcnt_dscnt 0x0
	s_barrier_signal -1
	s_barrier_wait -1
	global_inv scope:SCOPE_SE
	s_and_saveexec_b32 s18, s16
	s_cbranch_execz .LBB116_53
; %bb.52:                               ;   in Loop: Header=BB116_4 Depth=1
	ds_load_2addr_b64 v[2:5], v104 offset1:7
	ds_load_2addr_b64 v[6:9], v104 offset0:1 offset1:2
	ds_load_2addr_b64 v[14:17], v104 offset0:3 offset1:4
	;; [unrolled: 1-line block ×3, first 2 shown]
	s_wait_dscnt 0x2
	v_dual_add_f32 v2, v6, v2 :: v_dual_add_f32 v3, v7, v3
	s_delay_alu instid0(VALU_DEP_1) | instskip(SKIP_1) | instid1(VALU_DEP_1)
	v_dual_add_f32 v2, v8, v2 :: v_dual_add_f32 v3, v9, v3
	s_wait_dscnt 0x1
	v_dual_add_f32 v2, v2, v14 :: v_dual_add_f32 v3, v3, v15
	s_delay_alu instid0(VALU_DEP_1) | instskip(SKIP_1) | instid1(VALU_DEP_1)
	v_dual_add_f32 v2, v2, v16 :: v_dual_add_f32 v3, v3, v17
	s_wait_dscnt 0x0
	v_dual_add_f32 v2, v2, v18 :: v_dual_add_f32 v3, v3, v19
	s_delay_alu instid0(VALU_DEP_1) | instskip(NEXT) | instid1(VALU_DEP_1)
	v_dual_add_f32 v2, v2, v20 :: v_dual_add_f32 v3, v3, v21
	v_dual_add_f32 v62, v2, v4 :: v_dual_add_f32 v63, v3, v5
.LBB116_53:                             ;   in Loop: Header=BB116_4 Depth=1
	s_wait_alu 0xfffe
	s_or_b32 exec_lo, exec_lo, s18
	v_add_co_u32 v2, vcc_lo, 0xffffff00, v0
	s_wait_alu 0xfffd
	v_add_co_ci_u32_e64 v3, null, -1, v1, vcc_lo
	s_and_b32 vcc_lo, exec_lo, s57
	s_mov_b32 s18, -1
	s_wait_loadcnt 0x0
	s_barrier_signal -1
	s_barrier_wait -1
	global_inv scope:SCOPE_SE
                                        ; implicit-def: $vgpr14_vgpr15
	s_wait_alu 0xfffe
	s_cbranch_vccz .LBB116_65
; %bb.54:                               ;   in Loop: Header=BB116_4 Depth=1
	s_and_saveexec_b32 s18, s12
	s_wait_alu 0xfffe
	s_xor_b32 s18, exec_lo, s18
; %bb.55:                               ;   in Loop: Header=BB116_4 Depth=1
	v_mov_b32_e32 v57, v56
	ds_store_b64 v166, v[56:57]
; %bb.56:                               ;   in Loop: Header=BB116_4 Depth=1
	s_wait_alu 0xfffe
	s_or_saveexec_b32 s18, s18
	v_add_co_u32 v4, vcc_lo, v0, v60
	s_wait_alu 0xfffd
	v_add_co_ci_u32_e64 v5, null, v1, v61, vcc_lo
	s_lshl_b64 s[52:53], s[24:25], 3
	s_wait_alu 0xfffe
	v_add_co_u32 v4, vcc_lo, v4, s52
	s_wait_alu 0xfffd
	v_add_co_ci_u32_e64 v5, null, s53, v5, vcc_lo
	s_delay_alu instid0(VALU_DEP_2) | instskip(SKIP_1) | instid1(VALU_DEP_2)
	v_add_co_u32 v4, vcc_lo, 0xfffffef8, v4
	s_wait_alu 0xfffd
	v_add_co_ci_u32_e64 v5, null, -1, v5, vcc_lo
	s_delay_alu instid0(VALU_DEP_2) | instskip(NEXT) | instid1(VALU_DEP_2)
	v_cndmask_b32_e64 v4, v4, v2, s1
	v_cndmask_b32_e64 v5, v5, v3, s1
	s_xor_b32 exec_lo, exec_lo, s18
	s_cbranch_execnz .LBB116_149
; %bb.57:                               ;   in Loop: Header=BB116_4 Depth=1
	s_or_b32 exec_lo, exec_lo, s18
	s_and_saveexec_b32 s18, s13
	s_wait_alu 0xfffe
	s_xor_b32 s18, exec_lo, s18
	s_cbranch_execnz .LBB116_150
.LBB116_58:                             ;   in Loop: Header=BB116_4 Depth=1
	s_wait_alu 0xfffe
	s_and_not1_saveexec_b32 s18, s18
	s_cbranch_execnz .LBB116_151
.LBB116_59:                             ;   in Loop: Header=BB116_4 Depth=1
	s_wait_alu 0xfffe
	s_or_b32 exec_lo, exec_lo, s18
	s_and_saveexec_b32 s18, s14
	s_wait_alu 0xfffe
	s_xor_b32 s18, exec_lo, s18
	s_cbranch_execnz .LBB116_152
.LBB116_60:                             ;   in Loop: Header=BB116_4 Depth=1
	s_wait_alu 0xfffe
	s_and_not1_saveexec_b32 s18, s18
	s_cbranch_execnz .LBB116_153
.LBB116_61:                             ;   in Loop: Header=BB116_4 Depth=1
	s_wait_alu 0xfffe
	s_or_b32 exec_lo, exec_lo, s18
	s_and_saveexec_b32 s18, s15
	s_wait_alu 0xfffe
	s_xor_b32 s18, exec_lo, s18
	s_cbranch_execnz .LBB116_154
.LBB116_62:                             ;   in Loop: Header=BB116_4 Depth=1
	s_wait_alu 0xfffe
	s_and_not1_saveexec_b32 s18, s18
	s_cbranch_execz .LBB116_64
.LBB116_63:                             ;   in Loop: Header=BB116_4 Depth=1
	v_add_co_u32 v6, vcc_lo, v4, s44
	s_wait_alu 0xfffd
	v_add_co_ci_u32_e64 v7, null, s45, v5, vcc_lo
	global_load_b64 v[6:7], v[6:7], off
	s_wait_loadcnt 0x0
	ds_store_b64 v166, v[6:7] offset:6336
.LBB116_64:                             ;   in Loop: Header=BB116_4 Depth=1
	s_wait_alu 0xfffe
	s_or_b32 exec_lo, exec_lo, s18
	v_add_co_u32 v4, vcc_lo, v4, v167
	s_wait_alu 0xfffd
	v_add_co_ci_u32_e64 v5, null, 0, v5, vcc_lo
	s_lshl_b64 s[18:19], s[46:47], 3
	s_wait_alu 0xfffe
	v_add_co_u32 v4, vcc_lo, v4, s18
	s_wait_alu 0xfffd
	v_add_co_ci_u32_e64 v5, null, s19, v5, vcc_lo
	s_mov_b32 s18, 0
	v_add_co_u32 v4, vcc_lo, v4, 8
	s_wait_alu 0xfffd
	v_add_co_ci_u32_e64 v5, null, 0, v5, vcc_lo
	s_delay_alu instid0(VALU_DEP_2) | instskip(NEXT) | instid1(VALU_DEP_2)
	v_cndmask_b32_e64 v14, v4, v2, s1
	v_cndmask_b32_e64 v15, v5, v3, s1
.LBB116_65:                             ;   in Loop: Header=BB116_4 Depth=1
	s_wait_alu 0xfffe
	s_and_b32 vcc_lo, exec_lo, s18
	s_wait_alu 0xfffe
	s_cbranch_vccz .LBB116_67
; %bb.66:                               ;   in Loop: Header=BB116_4 Depth=1
	v_add_co_u32 v4, vcc_lo, v0, s40
	s_wait_alu 0xfffd
	v_add_co_ci_u32_e64 v5, null, s41, v1, vcc_lo
	v_dual_mov_b32 v15, v3 :: v_dual_mov_b32 v14, v2
	s_delay_alu instid0(VALU_DEP_3) | instskip(SKIP_1) | instid1(VALU_DEP_3)
	v_add_co_u32 v6, vcc_lo, v4, s40
	s_wait_alu 0xfffd
	v_add_co_ci_u32_e64 v7, null, s41, v5, vcc_lo
	s_delay_alu instid0(VALU_DEP_2) | instskip(SKIP_1) | instid1(VALU_DEP_2)
	v_add_co_u32 v8, vcc_lo, v6, s40
	s_wait_alu 0xfffd
	v_add_co_ci_u32_e64 v9, null, s41, v7, vcc_lo
	s_clause 0x3
	global_load_b64 v[0:1], v[0:1], off offset:-256
	global_load_b64 v[4:5], v[4:5], off offset:-256
	;; [unrolled: 1-line block ×4, first 2 shown]
	s_wait_loadcnt 0x3
	ds_store_b64 v166, v[0:1]
	s_wait_loadcnt 0x2
	ds_store_b64 v166, v[4:5] offset:2112
	s_wait_loadcnt 0x1
	ds_store_b64 v166, v[6:7] offset:4224
	s_wait_loadcnt 0x0
	ds_store_b64 v166, v[8:9] offset:6336
.LBB116_67:                             ;   in Loop: Header=BB116_4 Depth=1
	v_add_nc_u32_e32 v0, v103, v107
	v_add_nc_u32_e32 v1, v105, v107
	s_wait_loadcnt_dscnt 0x0
	s_barrier_signal -1
	s_barrier_wait -1
	global_inv scope:SCOPE_SE
	ds_load_2addr_b64 v[20:23], v106 offset0:8 offset1:16
	ds_load_2addr_b64 v[24:27], v131 offset0:8 offset1:16
	ds_load_b64 v[28:29], v0
	ds_load_b64 v[30:31], v1
	ds_load_b64 v[32:33], v106 offset:192
	ds_load_b64 v[34:35], v131 offset:192
	ds_load_b128 v[8:11], v105 offset:256
	ds_load_b128 v[0:3], v105 offset:272
	ds_load_2addr_b64 v[4:7], v169 offset1:33
	ds_load_b64 v[18:19], v168
	ds_load_b64 v[16:17], v169 offset:528
	s_wait_loadcnt_dscnt 0x0
	s_barrier_signal -1
	s_barrier_wait -1
	global_inv scope:SCOPE_SE
	v_mul_f32_e32 v36, v25, v21
	v_dual_mul_f32 v38, v27, v23 :: v_dual_mul_f32 v21, v24, v21
	v_mul_f32_e32 v23, v26, v23
	s_delay_alu instid0(VALU_DEP_3) | instskip(SKIP_4) | instid1(VALU_DEP_4)
	v_fma_f32 v24, v24, v20, -v36
	v_mul_f32_e32 v37, v31, v29
	v_mul_f32_e32 v29, v30, v29
	v_fmac_f32_e32 v21, v25, v20
	v_fma_f32 v26, v26, v22, -v38
	v_fma_f32 v30, v30, v28, -v37
	s_delay_alu instid0(VALU_DEP_4) | instskip(SKIP_1) | instid1(VALU_DEP_3)
	v_fmac_f32_e32 v29, v31, v28
	v_mul_f32_e32 v28, v35, v33
	v_add_f32_e32 v20, 0, v30
	s_delay_alu instid0(VALU_DEP_1) | instskip(NEXT) | instid1(VALU_DEP_3)
	v_add_f32_e32 v20, v20, v24
	v_fma_f32 v24, v34, v32, -v28
	s_delay_alu instid0(VALU_DEP_2) | instskip(SKIP_1) | instid1(VALU_DEP_2)
	v_add_f32_e32 v20, v20, v26
	v_dual_fmac_f32 v23, v27, v22 :: v_dual_mul_f32 v22, v34, v33
	v_dual_add_f32 v25, 0, v29 :: v_dual_add_f32 v20, v20, v24
	s_delay_alu instid0(VALU_DEP_1) | instskip(NEXT) | instid1(VALU_DEP_1)
	v_dual_fmac_f32 v22, v35, v32 :: v_dual_add_f32 v21, v25, v21
	v_add_f32_e32 v21, v21, v23
	s_delay_alu instid0(VALU_DEP_1)
	v_add_f32_e32 v21, v21, v22
	ds_store_b64 v106, v[20:21]
	s_wait_loadcnt_dscnt 0x0
	s_barrier_signal -1
	s_barrier_wait -1
	global_inv scope:SCOPE_SE
	s_and_saveexec_b32 s18, s16
	s_cbranch_execz .LBB116_69
; %bb.68:                               ;   in Loop: Header=BB116_4 Depth=1
	ds_load_2addr_b64 v[20:23], v104 offset1:1
	ds_load_2addr_b64 v[24:27], v104 offset0:2 offset1:3
	ds_load_2addr_b64 v[28:31], v104 offset0:4 offset1:5
	s_wait_dscnt 0x2
	v_dual_add_f32 v20, v62, v20 :: v_dual_add_f32 v21, v63, v21
	s_delay_alu instid0(VALU_DEP_1) | instskip(SKIP_3) | instid1(VALU_DEP_1)
	v_dual_add_f32 v32, v20, v22 :: v_dual_add_f32 v33, v21, v23
	ds_load_2addr_b64 v[20:23], v104 offset0:6 offset1:7
	s_wait_dscnt 0x2
	v_dual_add_f32 v24, v32, v24 :: v_dual_add_f32 v25, v33, v25
	v_dual_add_f32 v24, v24, v26 :: v_dual_add_f32 v25, v25, v27
	s_wait_dscnt 0x1
	s_delay_alu instid0(VALU_DEP_1) | instskip(NEXT) | instid1(VALU_DEP_1)
	v_dual_add_f32 v24, v24, v28 :: v_dual_add_f32 v25, v25, v29
	v_dual_add_f32 v24, v24, v30 :: v_dual_add_f32 v25, v25, v31
	s_wait_dscnt 0x0
	s_delay_alu instid0(VALU_DEP_1) | instskip(NEXT) | instid1(VALU_DEP_1)
	v_dual_add_f32 v20, v24, v20 :: v_dual_add_f32 v21, v25, v21
	v_dual_add_f32 v62, v20, v22 :: v_dual_add_f32 v63, v21, v23
.LBB116_69:                             ;   in Loop: Header=BB116_4 Depth=1
	s_wait_alu 0xfffe
	s_or_b32 exec_lo, exec_lo, s18
	v_dual_mul_f32 v20, v9, v19 :: v_dual_mul_f32 v21, v11, v5
	v_mul_f32_e32 v19, v8, v19
	v_dual_mul_f32 v5, v10, v5 :: v_dual_mul_f32 v22, v1, v7
	s_delay_alu instid0(VALU_DEP_3) | instskip(NEXT) | instid1(VALU_DEP_4)
	v_fma_f32 v8, v8, v18, -v20
	v_fma_f32 v10, v10, v4, -v21
	v_mul_f32_e32 v7, v0, v7
	s_wait_loadcnt 0x0
	v_fma_f32 v0, v0, v6, -v22
	v_add_f32_e32 v8, 0, v8
	v_fmac_f32_e32 v5, v11, v4
	v_fmac_f32_e32 v7, v1, v6
	s_barrier_signal -1
	s_barrier_wait -1
	v_add_f32_e32 v8, v8, v10
	v_fmac_f32_e32 v19, v9, v18
	global_inv scope:SCOPE_SE
	v_dual_add_f32 v0, v8, v0 :: v_dual_mul_f32 v9, v3, v17
	v_dual_add_f32 v4, 0, v19 :: v_dual_mul_f32 v11, v2, v17
	s_delay_alu instid0(VALU_DEP_2) | instskip(NEXT) | instid1(VALU_DEP_2)
	v_fma_f32 v2, v2, v16, -v9
	v_add_f32_e32 v1, v4, v5
	s_delay_alu instid0(VALU_DEP_2) | instskip(NEXT) | instid1(VALU_DEP_2)
	v_dual_add_f32 v0, v0, v2 :: v_dual_fmac_f32 v11, v3, v16
	v_add_f32_e32 v1, v1, v7
	s_delay_alu instid0(VALU_DEP_1)
	v_add_f32_e32 v1, v1, v11
	ds_store_b64 v106, v[0:1]
	s_wait_loadcnt_dscnt 0x0
	s_barrier_signal -1
	s_barrier_wait -1
	global_inv scope:SCOPE_SE
	s_and_saveexec_b32 s18, s10
	s_cbranch_execz .LBB116_71
; %bb.70:                               ;   in Loop: Header=BB116_4 Depth=1
	ds_load_2addr_b64 v[0:3], v104 offset1:1
	ds_load_2addr_b64 v[4:7], v104 offset0:2 offset1:3
	ds_load_2addr_b64 v[8:11], v104 offset0:4 offset1:5
	s_wait_dscnt 0x2
	v_dual_add_f32 v0, v62, v0 :: v_dual_add_f32 v1, v63, v1
	s_delay_alu instid0(VALU_DEP_1) | instskip(SKIP_3) | instid1(VALU_DEP_1)
	v_dual_add_f32 v16, v0, v2 :: v_dual_add_f32 v17, v1, v3
	ds_load_2addr_b64 v[0:3], v104 offset0:6 offset1:7
	s_wait_dscnt 0x2
	v_dual_add_f32 v4, v16, v4 :: v_dual_add_f32 v5, v17, v5
	v_dual_add_f32 v4, v4, v6 :: v_dual_add_f32 v5, v5, v7
	s_wait_dscnt 0x1
	s_delay_alu instid0(VALU_DEP_1) | instskip(NEXT) | instid1(VALU_DEP_1)
	v_dual_add_f32 v4, v4, v8 :: v_dual_add_f32 v5, v5, v9
	v_dual_add_f32 v4, v4, v10 :: v_dual_add_f32 v5, v5, v11
	s_wait_dscnt 0x0
	s_delay_alu instid0(VALU_DEP_1) | instskip(NEXT) | instid1(VALU_DEP_1)
	v_dual_add_f32 v0, v4, v0 :: v_dual_add_f32 v1, v5, v1
	v_dual_add_f32 v62, v0, v2 :: v_dual_add_f32 v63, v1, v3
.LBB116_71:                             ;   in Loop: Header=BB116_4 Depth=1
	s_wait_alu 0xfffe
	s_or_b32 exec_lo, exec_lo, s18
	s_mul_u64 s[18:19], s[26:27], s[34:35]
	s_and_not1_b32 vcc_lo, exec_lo, s37
	s_wait_alu 0xfffe
	s_lshl_b64 s[18:19], s[18:19], 3
	s_wait_loadcnt 0x0
	s_wait_alu 0xfffe
	s_add_nc_u64 s[52:53], s[38:39], s[18:19]
	s_barrier_signal -1
	s_barrier_wait -1
	global_inv scope:SCOPE_SE
	s_cbranch_vccnz .LBB116_129
; %bb.72:                               ;   in Loop: Header=BB116_4 Depth=1
	v_add_co_u32 v170, vcc_lo, v12, s50
	s_wait_alu 0xfffd
	v_add_co_ci_u32_e64 v171, null, s51, v13, vcc_lo
	v_add_co_u32 v172, vcc_lo, v14, v132
	s_wait_alu 0xfffd
	v_add_co_ci_u32_e64 v173, null, v15, v133, vcc_lo
	v_add_co_u32 v174, vcc_lo, v14, v134
	s_wait_alu 0xfffd
	v_add_co_ci_u32_e64 v175, null, v15, v135, vcc_lo
	v_add_co_u32 v176, vcc_lo, v14, v136
	s_wait_alu 0xfffd
	v_add_co_ci_u32_e64 v177, null, v15, v137, vcc_lo
	v_add_co_u32 v178, vcc_lo, v14, v138
	s_wait_alu 0xfffd
	v_add_co_ci_u32_e64 v179, null, v15, v139, vcc_lo
	v_add_co_u32 v180, vcc_lo, v14, v140
	s_wait_alu 0xfffd
	v_add_co_ci_u32_e64 v181, null, v15, v141, vcc_lo
	v_add_co_u32 v182, vcc_lo, v14, v142
	s_wait_alu 0xfffd
	v_add_co_ci_u32_e64 v183, null, v15, v143, vcc_lo
	v_add_co_u32 v184, vcc_lo, v14, v144
	s_wait_alu 0xfffd
	v_add_co_ci_u32_e64 v185, null, v15, v145, vcc_lo
	v_add_co_u32 v186, vcc_lo, v14, v146
	s_wait_alu 0xfffd
	v_add_co_ci_u32_e64 v187, null, v15, v147, vcc_lo
	v_add_co_u32 v188, vcc_lo, v14, v148
	s_wait_alu 0xfffd
	v_add_co_ci_u32_e64 v189, null, v15, v149, vcc_lo
	v_add_co_u32 v190, vcc_lo, v14, v150
	s_wait_alu 0xfffd
	v_add_co_ci_u32_e64 v191, null, v15, v151, vcc_lo
	v_add_co_u32 v192, vcc_lo, v14, v152
	s_wait_alu 0xfffd
	v_add_co_ci_u32_e64 v193, null, v15, v153, vcc_lo
	v_add_co_u32 v194, vcc_lo, v14, v154
	s_wait_alu 0xfffd
	v_add_co_ci_u32_e64 v195, null, v15, v155, vcc_lo
	v_add_co_u32 v196, vcc_lo, v14, v156
	s_wait_alu 0xfffd
	v_add_co_ci_u32_e64 v197, null, v15, v157, vcc_lo
	v_add_co_u32 v198, vcc_lo, v14, v158
	s_wait_alu 0xfffd
	v_add_co_ci_u32_e64 v199, null, v15, v159, vcc_lo
	v_add_co_u32 v200, vcc_lo, v14, v160
	s_wait_alu 0xfffd
	v_add_co_ci_u32_e64 v201, null, v15, v161, vcc_lo
	v_add_co_u32 v202, vcc_lo, v14, v162
	s_wait_alu 0xfffd
	v_add_co_ci_u32_e64 v203, null, v15, v163, vcc_lo
	s_mov_b32 s19, ttmp9
	s_mov_b32 s54, s61
	s_wait_alu 0xfffe
	s_cmp_eq_u32 s59, s19
	s_cselect_b32 s63, s56, 0
	s_and_saveexec_b32 s18, s0
	s_cbranch_execz .LBB116_77
.LBB116_73:                             ;   in Loop: Header=BB116_4 Depth=1
	s_wait_alu 0xfffe
	v_cmp_le_i32_e32 vcc_lo, s63, v96
	s_cmp_lg_u32 s63, 0
	s_cselect_b32 s55, -1, 0
	s_wait_alu 0xfffe
	s_and_b32 s55, s55, vcc_lo
	s_wait_alu 0xfffe
	s_and_saveexec_b32 s64, s55
	s_wait_alu 0xfffe
	s_xor_b32 s55, exec_lo, s64
; %bb.74:                               ;   in Loop: Header=BB116_4 Depth=1
	v_mov_b32_e32 v57, v56
	ds_store_b64 v109, v[56:57]
; %bb.75:                               ;   in Loop: Header=BB116_4 Depth=1
	s_wait_alu 0xfffe
	s_and_not1_saveexec_b32 s55, s55
	s_cbranch_execz .LBB116_77
; %bb.76:                               ;   in Loop: Header=BB116_4 Depth=1
	s_ashr_i32 s55, s54, 31
	s_wait_alu 0xfffe
	s_mul_u64 s[64:65], s[28:29], s[54:55]
	s_wait_alu 0xfffe
	s_lshl_b64 s[64:65], s[64:65], 3
	s_wait_alu 0xfffe
	v_add_co_u32 v0, vcc_lo, v170, s64
	s_wait_alu 0xfffd
	v_add_co_ci_u32_e64 v1, null, s65, v171, vcc_lo
	global_load_b64 v[0:1], v[0:1], off
	s_wait_loadcnt 0x0
	ds_store_b64 v109, v[0:1]
.LBB116_77:                             ;   Parent Loop BB116_4 Depth=1
                                        ; =>  This Inner Loop Header: Depth=2
	s_wait_alu 0xfffe
	s_or_b32 exec_lo, exec_lo, s18
	s_cmp_eq_u32 s63, 0
	v_add_co_u32 v0, vcc_lo, v172, v97
	s_cselect_b32 s55, -1, 0
	s_cmp_lg_u32 s63, 0
	s_wait_alu 0xfffd
	v_add_co_ci_u32_e64 v1, null, 0, v173, vcc_lo
	s_cselect_b32 s18, -1, 0
	s_wait_loadcnt_dscnt 0x0
	s_wait_alu 0xfffe
	s_and_b32 vcc_lo, exec_lo, s18
	s_barrier_signal -1
	s_barrier_wait -1
	global_inv scope:SCOPE_SE
	s_wait_alu 0xfffe
	s_cbranch_vccz .LBB116_85
; %bb.78:                               ;   in Loop: Header=BB116_77 Depth=2
	v_mov_b32_e32 v64, 0
	v_dual_mov_b32 v65, 0 :: v_dual_mov_b32 v66, 0
	v_mov_b32_e32 v67, 0
	s_mov_b32 s64, exec_lo
	v_cmpx_gt_i32_e64 s63, v108
	s_cbranch_execz .LBB116_80
; %bb.79:                               ;   in Loop: Header=BB116_77 Depth=2
	global_load_b64 v[66:67], v[0:1], off
.LBB116_80:                             ;   in Loop: Header=BB116_77 Depth=2
	s_wait_alu 0xfffe
	s_or_b32 exec_lo, exec_lo, s64
	s_delay_alu instid0(SALU_CYCLE_1)
	s_mov_b32 s64, exec_lo
	v_cmpx_gt_i32_e64 s63, v115
	s_cbranch_execz .LBB116_82
; %bb.81:                               ;   in Loop: Header=BB116_77 Depth=2
	v_add_co_u32 v2, vcc_lo, v176, v97
	s_wait_alu 0xfffd
	v_add_co_ci_u32_e64 v3, null, 0, v177, vcc_lo
	global_load_b64 v[64:65], v[2:3], off
.LBB116_82:                             ;   in Loop: Header=BB116_77 Depth=2
	s_wait_alu 0xfffe
	s_or_b32 exec_lo, exec_lo, s64
	v_mov_b32_e32 v68, 0
	v_mov_b32_e32 v69, 0
	s_mov_b32 s64, exec_lo
	v_cmpx_gt_i32_e64 s63, v116
	s_cbranch_execz .LBB116_84
; %bb.83:                               ;   in Loop: Header=BB116_77 Depth=2
	v_add_co_u32 v2, vcc_lo, v174, v97
	s_wait_alu 0xfffd
	v_add_co_ci_u32_e64 v3, null, 0, v175, vcc_lo
	global_load_b64 v[68:69], v[2:3], off
.LBB116_84:                             ;   in Loop: Header=BB116_77 Depth=2
	s_wait_alu 0xfffe
	s_or_b32 exec_lo, exec_lo, s64
	v_cmp_gt_i32_e64 s64, s63, v117
	s_branch .LBB116_87
.LBB116_85:                             ;   in Loop: Header=BB116_77 Depth=2
	s_mov_b32 s64, 0
                                        ; implicit-def: $vgpr68_vgpr69
                                        ; implicit-def: $vgpr64_vgpr65
                                        ; implicit-def: $vgpr66_vgpr67
	s_cbranch_execz .LBB116_87
; %bb.86:                               ;   in Loop: Header=BB116_77 Depth=2
	v_add_co_u32 v2, vcc_lo, v176, v97
	s_wait_alu 0xfffd
	v_add_co_ci_u32_e64 v3, null, 0, v177, vcc_lo
	v_add_co_u32 v4, vcc_lo, v174, v97
	s_wait_alu 0xfffd
	v_add_co_ci_u32_e64 v5, null, 0, v175, vcc_lo
	s_wait_loadcnt 0x0
	global_load_b64 v[66:67], v[0:1], off
	global_load_b64 v[64:65], v[2:3], off
	;; [unrolled: 1-line block ×3, first 2 shown]
	s_wait_alu 0xfffe
	s_or_b32 s64, s64, exec_lo
.LBB116_87:                             ;   in Loop: Header=BB116_77 Depth=2
	v_mov_b32_e32 v70, 0
	v_mov_b32_e32 v71, 0
	s_wait_alu 0xfffe
	s_and_saveexec_b32 s65, s64
	s_cbranch_execz .LBB116_89
; %bb.88:                               ;   in Loop: Header=BB116_77 Depth=2
	v_add_co_u32 v0, vcc_lo, v178, v97
	s_wait_alu 0xfffd
	v_add_co_ci_u32_e64 v1, null, 0, v179, vcc_lo
	global_load_b64 v[70:71], v[0:1], off
.LBB116_89:                             ;   in Loop: Header=BB116_77 Depth=2
	s_wait_alu 0xfffe
	s_or_b32 exec_lo, exec_lo, s65
	ds_load_b64 v[4:5], v100
	ds_load_b128 v[0:3], v110
	v_cndmask_b32_e64 v40, 0, 1, s18
	s_wait_loadcnt_dscnt 0x1
	v_mul_f32_e32 v9, v5, v66
	v_mul_f32_e32 v7, v5, v65
	;; [unrolled: 1-line block ×4, first 2 shown]
	v_dual_mul_f32 v12, v5, v69 :: v_dual_mul_f32 v15, v4, v71
	v_mul_f32_e32 v13, v5, v68
	v_mul_f32_e32 v14, v5, v71
	v_fmac_f32_e32 v9, v4, v67
	v_fma_f32 v10, v4, v64, -v7
	v_fmac_f32_e32 v11, v4, v65
	v_fma_f32 v8, v4, v66, -v6
	v_fma_f32 v12, v4, v68, -v12
	v_fmac_f32_e32 v13, v4, v69
	v_fma_f32 v14, v4, v70, -v14
	v_fmac_f32_e32 v15, v5, v70
	ds_load_b128 v[4:7], v110 offset:16
	ds_store_2addr_b64 v111, v[8:9], v[10:11] offset1:67
	ds_store_2addr_b64 v111, v[12:13], v[14:15] offset0:134 offset1:201
	s_wait_dscnt 0x0
	s_barrier_signal -1
	s_barrier_wait -1
	global_inv scope:SCOPE_SE
	ds_load_2addr_b64 v[20:23], v112 offset1:1
	ds_load_2addr_b64 v[16:19], v112 offset0:2 offset1:3
	v_add_co_u32 v8, vcc_lo, v180, v97
	s_wait_alu 0xfffd
	v_add_co_ci_u32_e64 v9, null, 0, v181, vcc_lo
	s_and_not1_b32 vcc_lo, exec_lo, s18
	s_wait_loadcnt_dscnt 0x0
	s_barrier_signal -1
	s_barrier_wait -1
	global_inv scope:SCOPE_SE
	s_wait_alu 0xfffe
	s_cbranch_vccnz .LBB116_97
; %bb.90:                               ;   in Loop: Header=BB116_77 Depth=2
	v_mov_b32_e32 v72, 0
	v_dual_mov_b32 v73, 0 :: v_dual_mov_b32 v74, 0
	v_mov_b32_e32 v75, 0
	s_mov_b32 s18, exec_lo
	v_cmpx_gt_i32_e64 s63, v118
	s_cbranch_execz .LBB116_92
; %bb.91:                               ;   in Loop: Header=BB116_77 Depth=2
	global_load_b64 v[74:75], v[8:9], off
.LBB116_92:                             ;   in Loop: Header=BB116_77 Depth=2
	s_wait_alu 0xfffe
	s_or_b32 exec_lo, exec_lo, s18
	s_delay_alu instid0(SALU_CYCLE_1)
	s_mov_b32 s18, exec_lo
	v_cmpx_gt_i32_e64 s63, v119
	s_cbranch_execz .LBB116_94
; %bb.93:                               ;   in Loop: Header=BB116_77 Depth=2
	v_add_co_u32 v10, vcc_lo, v182, v97
	s_wait_alu 0xfffd
	v_add_co_ci_u32_e64 v11, null, 0, v183, vcc_lo
	global_load_b64 v[72:73], v[10:11], off
.LBB116_94:                             ;   in Loop: Header=BB116_77 Depth=2
	s_wait_alu 0xfffe
	s_or_b32 exec_lo, exec_lo, s18
	v_mov_b32_e32 v76, 0
	v_mov_b32_e32 v77, 0
	s_mov_b32 s18, exec_lo
	v_cmpx_gt_i32_e64 s63, v120
	s_cbranch_execz .LBB116_96
; %bb.95:                               ;   in Loop: Header=BB116_77 Depth=2
	v_add_co_u32 v10, vcc_lo, v184, v97
	s_wait_alu 0xfffd
	v_add_co_ci_u32_e64 v11, null, 0, v185, vcc_lo
	global_load_b64 v[76:77], v[10:11], off
.LBB116_96:                             ;   in Loop: Header=BB116_77 Depth=2
	s_wait_alu 0xfffe
	s_or_b32 exec_lo, exec_lo, s18
	v_cmp_gt_i32_e64 s18, s63, v121
	s_branch .LBB116_99
.LBB116_97:                             ;   in Loop: Header=BB116_77 Depth=2
	s_mov_b32 s18, 0
                                        ; implicit-def: $vgpr76_vgpr77
                                        ; implicit-def: $vgpr72_vgpr73
                                        ; implicit-def: $vgpr74_vgpr75
	s_cbranch_execz .LBB116_99
; %bb.98:                               ;   in Loop: Header=BB116_77 Depth=2
	v_add_co_u32 v10, vcc_lo, v182, v97
	s_wait_alu 0xfffd
	v_add_co_ci_u32_e64 v11, null, 0, v183, vcc_lo
	v_add_co_u32 v12, vcc_lo, v184, v97
	s_wait_alu 0xfffd
	v_add_co_ci_u32_e64 v13, null, 0, v185, vcc_lo
	s_wait_loadcnt 0x0
	global_load_b64 v[74:75], v[8:9], off
	global_load_b64 v[72:73], v[10:11], off
	;; [unrolled: 1-line block ×3, first 2 shown]
	s_wait_alu 0xfffe
	s_or_b32 s18, s18, exec_lo
.LBB116_99:                             ;   in Loop: Header=BB116_77 Depth=2
	v_mov_b32_e32 v78, 0
	v_mov_b32_e32 v79, 0
	s_wait_alu 0xfffe
	s_and_saveexec_b32 s64, s18
	s_cbranch_execz .LBB116_101
; %bb.100:                              ;   in Loop: Header=BB116_77 Depth=2
	v_add_co_u32 v8, vcc_lo, v186, v97
	s_wait_alu 0xfffd
	v_add_co_ci_u32_e64 v9, null, 0, v187, vcc_lo
	global_load_b64 v[78:79], v[8:9], off
.LBB116_101:                            ;   in Loop: Header=BB116_77 Depth=2
	s_wait_alu 0xfffe
	s_or_b32 exec_lo, exec_lo, s64
	ds_load_b64 v[12:13], v100
	ds_load_b128 v[8:11], v110 offset:128
	v_cmp_ne_u32_e32 vcc_lo, 1, v40
	s_and_b32 vcc_lo, exec_lo, vcc_lo
	s_wait_loadcnt_dscnt 0x1
	v_mul_f32_e32 v25, v13, v74
	v_mul_f32_e32 v15, v13, v73
	;; [unrolled: 1-line block ×4, first 2 shown]
	v_dual_mul_f32 v28, v13, v77 :: v_dual_mul_f32 v31, v12, v79
	v_mul_f32_e32 v29, v13, v76
	v_mul_f32_e32 v30, v13, v79
	v_fmac_f32_e32 v25, v12, v75
	v_fma_f32 v26, v12, v72, -v15
	v_fmac_f32_e32 v27, v12, v73
	v_fma_f32 v24, v12, v74, -v14
	v_fma_f32 v28, v12, v76, -v28
	v_fmac_f32_e32 v29, v12, v77
	v_fma_f32 v30, v12, v78, -v30
	v_fmac_f32_e32 v31, v13, v78
	ds_load_b128 v[12:15], v110 offset:144
	ds_store_2addr_b64 v111, v[24:25], v[26:27] offset1:67
	ds_store_2addr_b64 v111, v[28:29], v[30:31] offset0:134 offset1:201
	s_wait_dscnt 0x0
	s_barrier_signal -1
	s_barrier_wait -1
	global_inv scope:SCOPE_SE
	ds_load_2addr_b64 v[36:39], v112 offset1:1
	ds_load_2addr_b64 v[32:35], v112 offset0:2 offset1:3
	v_add_co_u32 v24, s18, v188, v97
	s_wait_alu 0xf1ff
	v_add_co_ci_u32_e64 v25, null, 0, v189, s18
	s_wait_loadcnt_dscnt 0x0
	s_barrier_signal -1
	s_barrier_wait -1
	global_inv scope:SCOPE_SE
	s_wait_alu 0xfffe
	s_cbranch_vccnz .LBB116_109
; %bb.102:                              ;   in Loop: Header=BB116_77 Depth=2
	v_mov_b32_e32 v80, 0
	v_dual_mov_b32 v81, 0 :: v_dual_mov_b32 v82, 0
	v_mov_b32_e32 v83, 0
	s_mov_b32 s18, exec_lo
	v_cmpx_gt_i32_e64 s63, v122
	s_cbranch_execz .LBB116_104
; %bb.103:                              ;   in Loop: Header=BB116_77 Depth=2
	global_load_b64 v[82:83], v[24:25], off
.LBB116_104:                            ;   in Loop: Header=BB116_77 Depth=2
	s_wait_alu 0xfffe
	s_or_b32 exec_lo, exec_lo, s18
	s_delay_alu instid0(SALU_CYCLE_1)
	s_mov_b32 s18, exec_lo
	v_cmpx_gt_i32_e64 s63, v123
	s_cbranch_execz .LBB116_106
; %bb.105:                              ;   in Loop: Header=BB116_77 Depth=2
	v_add_co_u32 v26, vcc_lo, v190, v97
	s_wait_alu 0xfffd
	v_add_co_ci_u32_e64 v27, null, 0, v191, vcc_lo
	global_load_b64 v[80:81], v[26:27], off
.LBB116_106:                            ;   in Loop: Header=BB116_77 Depth=2
	s_wait_alu 0xfffe
	s_or_b32 exec_lo, exec_lo, s18
	v_mov_b32_e32 v84, 0
	v_mov_b32_e32 v85, 0
	s_mov_b32 s18, exec_lo
	v_cmpx_gt_i32_e64 s63, v124
	s_cbranch_execz .LBB116_108
; %bb.107:                              ;   in Loop: Header=BB116_77 Depth=2
	v_add_co_u32 v26, vcc_lo, v192, v97
	s_wait_alu 0xfffd
	v_add_co_ci_u32_e64 v27, null, 0, v193, vcc_lo
	global_load_b64 v[84:85], v[26:27], off
.LBB116_108:                            ;   in Loop: Header=BB116_77 Depth=2
	s_wait_alu 0xfffe
	s_or_b32 exec_lo, exec_lo, s18
	v_cmp_gt_i32_e64 s18, s63, v125
	s_branch .LBB116_111
.LBB116_109:                            ;   in Loop: Header=BB116_77 Depth=2
	s_mov_b32 s18, 0
                                        ; implicit-def: $vgpr84_vgpr85
                                        ; implicit-def: $vgpr80_vgpr81
                                        ; implicit-def: $vgpr82_vgpr83
	s_cbranch_execz .LBB116_111
; %bb.110:                              ;   in Loop: Header=BB116_77 Depth=2
	v_add_co_u32 v26, vcc_lo, v190, v97
	s_wait_alu 0xfffd
	v_add_co_ci_u32_e64 v27, null, 0, v191, vcc_lo
	v_add_co_u32 v28, vcc_lo, v192, v97
	s_wait_alu 0xfffd
	v_add_co_ci_u32_e64 v29, null, 0, v193, vcc_lo
	s_wait_loadcnt 0x0
	global_load_b64 v[82:83], v[24:25], off
	global_load_b64 v[80:81], v[26:27], off
	;; [unrolled: 1-line block ×3, first 2 shown]
	s_wait_alu 0xfffe
	s_or_b32 s18, s18, exec_lo
.LBB116_111:                            ;   in Loop: Header=BB116_77 Depth=2
	v_mov_b32_e32 v86, 0
	v_mov_b32_e32 v87, 0
	s_wait_alu 0xfffe
	s_and_saveexec_b32 s64, s18
	s_cbranch_execz .LBB116_113
; %bb.112:                              ;   in Loop: Header=BB116_77 Depth=2
	v_add_co_u32 v24, vcc_lo, v194, v97
	s_wait_alu 0xfffd
	v_add_co_ci_u32_e64 v25, null, 0, v195, vcc_lo
	global_load_b64 v[86:87], v[24:25], off
.LBB116_113:                            ;   in Loop: Header=BB116_77 Depth=2
	s_wait_alu 0xfffe
	s_or_b32 exec_lo, exec_lo, s64
	ds_load_b64 v[28:29], v100
	ds_load_b128 v[24:27], v110 offset:256
	v_cmp_ne_u32_e32 vcc_lo, 1, v40
	v_add_co_u32 v40, s18, v196, v97
	s_and_b32 vcc_lo, exec_lo, vcc_lo
	s_wait_loadcnt_dscnt 0x1
	v_mul_f32_e32 v30, v29, v83
	v_mul_f32_e32 v42, v29, v82
	v_dual_mul_f32 v31, v29, v81 :: v_dual_mul_f32 v48, v28, v87
	v_mul_f32_e32 v44, v29, v80
	s_delay_alu instid0(VALU_DEP_3) | instskip(SKIP_1) | instid1(VALU_DEP_3)
	v_dual_mul_f32 v45, v29, v85 :: v_dual_fmac_f32 v42, v28, v83
	v_mul_f32_e32 v46, v29, v84
	v_dual_mul_f32 v47, v29, v87 :: v_dual_fmac_f32 v44, v28, v81
	v_fma_f32 v41, v28, v82, -v30
	v_fma_f32 v43, v28, v80, -v31
	v_fma_f32 v45, v28, v84, -v45
	v_fmac_f32_e32 v46, v28, v85
	v_fma_f32 v47, v28, v86, -v47
	v_fmac_f32_e32 v48, v29, v86
	ds_load_b128 v[28:31], v110 offset:272
	ds_store_2addr_b64 v111, v[41:42], v[43:44] offset1:67
	ds_store_2addr_b64 v111, v[45:46], v[47:48] offset0:134 offset1:201
	s_wait_dscnt 0x0
	s_barrier_signal -1
	s_barrier_wait -1
	global_inv scope:SCOPE_SE
	ds_load_2addr_b64 v[52:55], v112 offset1:1
	ds_load_2addr_b64 v[48:51], v112 offset0:2 offset1:3
	s_wait_alu 0xf1ff
	v_add_co_ci_u32_e64 v41, null, 0, v197, s18
	s_wait_loadcnt_dscnt 0x0
	s_barrier_signal -1
	s_barrier_wait -1
	global_inv scope:SCOPE_SE
	s_wait_alu 0xfffe
	s_cbranch_vccnz .LBB116_121
; %bb.114:                              ;   in Loop: Header=BB116_77 Depth=2
	v_mov_b32_e32 v88, 0
	v_dual_mov_b32 v89, 0 :: v_dual_mov_b32 v90, 0
	v_mov_b32_e32 v91, 0
	s_mov_b32 s18, exec_lo
	v_cmpx_gt_i32_e64 s63, v126
	s_cbranch_execz .LBB116_116
; %bb.115:                              ;   in Loop: Header=BB116_77 Depth=2
	global_load_b64 v[90:91], v[40:41], off
.LBB116_116:                            ;   in Loop: Header=BB116_77 Depth=2
	s_wait_alu 0xfffe
	s_or_b32 exec_lo, exec_lo, s18
	s_delay_alu instid0(SALU_CYCLE_1)
	s_mov_b32 s18, exec_lo
	v_cmpx_gt_i32_e64 s63, v127
	s_cbranch_execz .LBB116_118
; %bb.117:                              ;   in Loop: Header=BB116_77 Depth=2
	v_add_co_u32 v42, vcc_lo, v198, v97
	s_wait_alu 0xfffd
	v_add_co_ci_u32_e64 v43, null, 0, v199, vcc_lo
	global_load_b64 v[88:89], v[42:43], off
.LBB116_118:                            ;   in Loop: Header=BB116_77 Depth=2
	s_wait_alu 0xfffe
	s_or_b32 exec_lo, exec_lo, s18
	v_mov_b32_e32 v92, 0
	v_mov_b32_e32 v93, 0
	s_mov_b32 s18, exec_lo
	v_cmpx_gt_i32_e64 s63, v128
	s_cbranch_execz .LBB116_120
; %bb.119:                              ;   in Loop: Header=BB116_77 Depth=2
	v_add_co_u32 v42, vcc_lo, v200, v97
	s_wait_alu 0xfffd
	v_add_co_ci_u32_e64 v43, null, 0, v201, vcc_lo
	global_load_b64 v[92:93], v[42:43], off
.LBB116_120:                            ;   in Loop: Header=BB116_77 Depth=2
	s_wait_alu 0xfffe
	s_or_b32 exec_lo, exec_lo, s18
	v_cmp_gt_i32_e64 s18, s63, v129
	s_branch .LBB116_123
.LBB116_121:                            ;   in Loop: Header=BB116_77 Depth=2
	s_mov_b32 s18, 0
                                        ; implicit-def: $vgpr92_vgpr93
                                        ; implicit-def: $vgpr88_vgpr89
                                        ; implicit-def: $vgpr90_vgpr91
	s_cbranch_execz .LBB116_123
; %bb.122:                              ;   in Loop: Header=BB116_77 Depth=2
	v_add_co_u32 v42, vcc_lo, v198, v97
	s_wait_alu 0xfffd
	v_add_co_ci_u32_e64 v43, null, 0, v199, vcc_lo
	v_add_co_u32 v44, vcc_lo, v200, v97
	s_wait_alu 0xfffd
	v_add_co_ci_u32_e64 v45, null, 0, v201, vcc_lo
	s_wait_loadcnt 0x0
	global_load_b64 v[90:91], v[40:41], off
	global_load_b64 v[88:89], v[42:43], off
	;; [unrolled: 1-line block ×3, first 2 shown]
	s_wait_alu 0xfffe
	s_or_b32 s18, s18, exec_lo
.LBB116_123:                            ;   in Loop: Header=BB116_77 Depth=2
	v_mov_b32_e32 v94, 0
	v_mov_b32_e32 v95, 0
	s_wait_alu 0xfffe
	s_and_saveexec_b32 s64, s18
	s_cbranch_execz .LBB116_125
; %bb.124:                              ;   in Loop: Header=BB116_77 Depth=2
	v_add_co_u32 v40, vcc_lo, v202, v97
	s_wait_alu 0xfffd
	v_add_co_ci_u32_e64 v41, null, 0, v203, vcc_lo
	global_load_b64 v[94:95], v[40:41], off
.LBB116_125:                            ;   in Loop: Header=BB116_77 Depth=2
	s_wait_alu 0xfffe
	s_or_b32 exec_lo, exec_lo, s64
	ds_load_b64 v[44:45], v100
	ds_load_b128 v[40:43], v110 offset:384
	v_cmp_gt_i32_e32 vcc_lo, s63, v96
	v_add_f32_e32 v36, 0, v36
	v_add_f32_e32 v52, 0, v52
	;; [unrolled: 1-line block ×3, first 2 shown]
	s_or_b32 s18, s55, vcc_lo
	s_delay_alu instid0(VALU_DEP_3) | instskip(SKIP_3) | instid1(VALU_DEP_2)
	v_add_f32_e32 v36, v36, v38
	s_wait_alu 0xfffe
	s_and_b32 s55, s17, s18
	v_dual_add_f32 v20, v20, v22 :: v_dual_add_f32 v53, 0, v53
	v_add_f32_e32 v32, v36, v32
	s_delay_alu instid0(VALU_DEP_2) | instskip(SKIP_1) | instid1(VALU_DEP_2)
	v_dual_add_f32 v38, v20, v16 :: v_dual_add_f32 v37, 0, v37
	s_wait_loadcnt_dscnt 0x1
	v_dual_add_f32 v20, v32, v34 :: v_dual_mul_f32 v47, v45, v89
	v_mul_f32_e32 v205, v45, v90
	v_mul_f32_e32 v57, v45, v93
	;; [unrolled: 1-line block ×6, first 2 shown]
	v_fma_f32 v208, v44, v92, -v57
	v_add_f32_e32 v57, v52, v54
	v_mul_f32_e32 v211, v44, v95
	v_fmac_f32_e32 v205, v44, v91
	v_fma_f32 v206, v44, v88, -v47
	v_fmac_f32_e32 v207, v44, v89
	v_fma_f32 v204, v44, v90, -v46
	;; [unrolled: 2-line block ×3, first 2 shown]
	v_add_f32_e32 v22, v57, v48
	v_fmac_f32_e32 v211, v45, v94
	ds_load_b128 v[44:47], v110 offset:400
	ds_store_2addr_b64 v111, v[204:205], v[206:207] offset1:67
	ds_store_2addr_b64 v111, v[208:209], v[210:211] offset0:134 offset1:201
	s_wait_dscnt 0x0
	s_barrier_signal -1
	s_barrier_wait -1
	global_inv scope:SCOPE_SE
	ds_load_2addr_b64 v[204:207], v112 offset1:1
	v_add_f32_e32 v208, v53, v55
	ds_load_2addr_b64 v[52:55], v112 offset0:2 offset1:3
	v_dual_add_f32 v21, 0, v21 :: v_dual_add_f32 v16, v22, v50
	s_wait_loadcnt_dscnt 0x0
	s_barrier_signal -1
	s_barrier_wait -1
	s_delay_alu instid0(VALU_DEP_1) | instskip(SKIP_3) | instid1(VALU_DEP_1)
	v_add_f32_e32 v21, v21, v23
	global_inv scope:SCOPE_SE
	v_add_f32_e32 v18, v38, v18
	v_dual_add_f32 v36, 0, v204 :: v_dual_add_f32 v37, v37, v39
	v_dual_add_f32 v39, v21, v17 :: v_dual_add_f32 v22, v36, v206
	v_add_f32_e32 v23, v208, v49
	s_delay_alu instid0(VALU_DEP_3) | instskip(NEXT) | instid1(VALU_DEP_3)
	v_add_f32_e32 v33, v37, v33
	v_dual_add_f32 v19, v39, v19 :: v_dual_add_f32 v22, v22, v52
	v_add_f32_e32 v37, 0, v205
	s_delay_alu instid0(VALU_DEP_4) | instskip(NEXT) | instid1(VALU_DEP_3)
	v_add_f32_e32 v17, v23, v51
	v_dual_add_f32 v21, v33, v35 :: v_dual_add_f32 v22, v22, v54
	s_delay_alu instid0(VALU_DEP_3) | instskip(NEXT) | instid1(VALU_DEP_1)
	v_add_f32_e32 v36, v37, v207
	v_add_f32_e32 v23, v36, v53
	s_delay_alu instid0(VALU_DEP_1)
	v_add_f32_e32 v23, v23, v55
	ds_store_2addr_b64 v165, v[18:19], v[20:21] offset1:16
	ds_store_2addr_b64 v165, v[16:17], v[22:23] offset0:32 offset1:48
	s_wait_loadcnt_dscnt 0x0
	s_barrier_signal -1
	s_barrier_wait -1
	global_inv scope:SCOPE_SE
	s_wait_alu 0xfffe
	s_and_saveexec_b32 s18, s55
	s_cbranch_execz .LBB116_127
; %bb.126:                              ;   in Loop: Header=BB116_77 Depth=2
	ds_load_b64 v[36:37], v113
	ds_load_2addr_b64 v[16:19], v113 offset0:1 offset1:2
	ds_load_2addr_b64 v[20:23], v113 offset0:3 offset1:4
	;; [unrolled: 1-line block ×3, first 2 shown]
	s_wait_dscnt 0x2
	v_dual_add_f32 v16, v16, v36 :: v_dual_add_f32 v17, v17, v37
	s_delay_alu instid0(VALU_DEP_1) | instskip(SKIP_3) | instid1(VALU_DEP_1)
	v_dual_add_f32 v36, v18, v16 :: v_dual_add_f32 v37, v19, v17
	ds_load_2addr_b64 v[16:19], v113 offset0:7 offset1:8
	s_wait_dscnt 0x2
	v_dual_add_f32 v20, v36, v20 :: v_dual_add_f32 v21, v37, v21
	v_dual_add_f32 v36, v20, v22 :: v_dual_add_f32 v37, v21, v23
	ds_load_2addr_b64 v[20:23], v113 offset0:9 offset1:10
	s_wait_dscnt 0x2
	v_dual_add_f32 v32, v36, v32 :: v_dual_add_f32 v33, v37, v33
	s_delay_alu instid0(VALU_DEP_1) | instskip(SKIP_3) | instid1(VALU_DEP_1)
	v_dual_add_f32 v36, v32, v34 :: v_dual_add_f32 v37, v33, v35
	ds_load_2addr_b64 v[32:35], v113 offset0:11 offset1:12
	s_wait_dscnt 0x2
	v_dual_add_f32 v16, v36, v16 :: v_dual_add_f32 v17, v37, v17
	v_dual_add_f32 v36, v16, v18 :: v_dual_add_f32 v37, v17, v19
	ds_load_2addr_b64 v[16:19], v113 offset0:13 offset1:14
	s_wait_dscnt 0x2
	v_dual_add_f32 v20, v36, v20 :: v_dual_add_f32 v21, v37, v21
	s_delay_alu instid0(VALU_DEP_1) | instskip(SKIP_3) | instid1(VALU_DEP_1)
	v_dual_add_f32 v22, v20, v22 :: v_dual_add_f32 v23, v21, v23
	ds_load_b64 v[20:21], v114
	s_wait_dscnt 0x2
	v_dual_add_f32 v22, v22, v32 :: v_dual_add_f32 v23, v23, v33
	v_dual_add_f32 v32, v22, v34 :: v_dual_add_f32 v23, v23, v35
	s_wait_dscnt 0x1
	s_delay_alu instid0(VALU_DEP_1) | instskip(NEXT) | instid1(VALU_DEP_2)
	v_dual_add_f32 v17, v23, v17 :: v_dual_add_nc_u32 v22, s54, v96
	v_add_f32_e32 v16, v32, v16
	s_delay_alu instid0(VALU_DEP_2) | instskip(NEXT) | instid1(VALU_DEP_2)
	v_ashrrev_i32_e32 v23, 31, v22
	v_dual_add_f32 v19, v17, v19 :: v_dual_add_f32 v18, v16, v18
	s_delay_alu instid0(VALU_DEP_2) | instskip(SKIP_1) | instid1(VALU_DEP_2)
	v_lshlrev_b64_e32 v[16:17], 3, v[22:23]
	s_wait_dscnt 0x0
	v_dual_add_f32 v19, v19, v21 :: v_dual_add_f32 v18, v18, v20
	s_delay_alu instid0(VALU_DEP_2) | instskip(SKIP_1) | instid1(VALU_DEP_3)
	v_add_co_u32 v16, vcc_lo, s52, v16
	s_wait_alu 0xfffd
	v_add_co_ci_u32_e64 v17, null, s53, v17, vcc_lo
	global_store_b64 v[16:17], v[18:19], off
.LBB116_127:                            ;   in Loop: Header=BB116_77 Depth=2
	s_wait_alu 0xfffe
	s_or_b32 exec_lo, exec_lo, s18
	v_dual_mul_f32 v16, v1, v67 :: v_dual_mul_f32 v17, v3, v65
	v_dual_mul_f32 v3, v3, v64 :: v_dual_mul_f32 v18, v5, v69
	v_add_co_u32 v172, vcc_lo, v172, s20
	s_delay_alu instid0(VALU_DEP_3)
	v_fma_f32 v16, v0, v66, -v16
	v_mul_f32_e32 v1, v1, v66
	v_fma_f32 v17, v2, v64, -v17
	v_fmac_f32_e32 v3, v2, v65
	s_wait_alu 0xfffd
	v_add_co_ci_u32_e64 v173, null, s21, v173, vcc_lo
	v_add_f32_e32 v16, v62, v16
	v_mul_f32_e32 v5, v5, v68
	v_fmac_f32_e32 v1, v0, v67
	v_fma_f32 v0, v4, v68, -v18
	v_mul_f32_e32 v20, v9, v75
	v_dual_add_f32 v16, v16, v17 :: v_dual_mul_f32 v19, v7, v71
	v_mul_f32_e32 v7, v7, v70
	v_fmac_f32_e32 v5, v4, v69
	v_add_co_u32 v174, vcc_lo, v174, s20
	s_delay_alu instid0(VALU_DEP_4)
	v_add_f32_e32 v0, v16, v0
	v_fma_f32 v2, v6, v70, -v19
	v_mul_f32_e32 v17, v11, v73
	v_fmac_f32_e32 v7, v6, v71
	s_wait_alu 0xfffd
	v_add_co_ci_u32_e64 v175, null, s21, v175, vcc_lo
	v_add_f32_e32 v0, v0, v2
	v_mul_f32_e32 v2, v13, v77
	v_add_f32_e32 v1, v63, v1
	v_fma_f32 v4, v10, v72, -v17
	v_add_co_u32 v176, vcc_lo, v176, s20
	s_delay_alu instid0(VALU_DEP_4) | instskip(NEXT) | instid1(VALU_DEP_4)
	v_fma_f32 v2, v12, v76, -v2
	v_add_f32_e32 v1, v1, v3
	v_fma_f32 v3, v8, v74, -v20
	v_mul_f32_e32 v9, v9, v74
	s_wait_alu 0xfffd
	v_add_co_ci_u32_e64 v177, null, s21, v177, vcc_lo
	v_add_co_u32 v178, vcc_lo, v178, s20
	v_add_f32_e32 v0, v0, v3
	v_fmac_f32_e32 v9, v8, v75
	s_wait_alu 0xfffd
	v_add_co_ci_u32_e64 v179, null, s21, v179, vcc_lo
	v_add_co_u32 v180, vcc_lo, v180, s20
	v_add_f32_e32 v0, v0, v4
	v_mul_f32_e32 v11, v11, v72
	v_mul_f32_e32 v4, v13, v76
	s_wait_alu 0xfffd
	v_add_co_ci_u32_e64 v181, null, s21, v181, vcc_lo
	v_add_f32_e32 v0, v0, v2
	v_mul_f32_e32 v2, v25, v83
	v_fmac_f32_e32 v4, v12, v77
	v_fmac_f32_e32 v11, v10, v73
	v_add_co_u32 v182, vcc_lo, v182, s20
	s_delay_alu instid0(VALU_DEP_4) | instskip(SKIP_4) | instid1(VALU_DEP_3)
	v_fma_f32 v2, v24, v82, -v2
	v_mul_f32_e32 v3, v15, v79
	s_wait_alu 0xfffd
	v_add_co_ci_u32_e64 v183, null, s21, v183, vcc_lo
	v_add_co_u32 v184, vcc_lo, v184, s20
	v_fma_f32 v3, v14, v78, -v3
	v_add_f32_e32 v1, v1, v5
	v_mul_f32_e32 v5, v15, v78
	s_wait_alu 0xfffd
	v_add_co_ci_u32_e64 v185, null, s21, v185, vcc_lo
	v_dual_add_f32 v0, v0, v3 :: v_dual_mul_f32 v3, v27, v81
	s_delay_alu instid0(VALU_DEP_3) | instskip(SKIP_1) | instid1(VALU_DEP_3)
	v_fmac_f32_e32 v5, v14, v79
	v_add_co_u32 v186, vcc_lo, v186, s20
	v_add_f32_e32 v0, v0, v2
	s_delay_alu instid0(VALU_DEP_4)
	v_fma_f32 v2, v26, v80, -v3
	v_mul_f32_e32 v3, v29, v85
	v_add_f32_e32 v1, v1, v7
	s_wait_alu 0xfffd
	v_add_co_ci_u32_e64 v187, null, s21, v187, vcc_lo
	v_add_f32_e32 v0, v0, v2
	v_fma_f32 v2, v28, v84, -v3
	v_mul_f32_e32 v3, v31, v87
	v_dual_add_f32 v1, v1, v9 :: v_dual_mul_f32 v6, v47, v94
	v_add_co_u32 v188, vcc_lo, v188, s20
	s_delay_alu instid0(VALU_DEP_4) | instskip(NEXT) | instid1(VALU_DEP_4)
	v_add_f32_e32 v0, v0, v2
	v_fma_f32 v2, v30, v86, -v3
	v_mul_f32_e32 v3, v41, v91
	v_add_f32_e32 v1, v1, v11
	v_fmac_f32_e32 v6, v46, v95
	s_wait_alu 0xfffd
	v_add_co_ci_u32_e64 v189, null, s21, v189, vcc_lo
	v_add_f32_e32 v0, v0, v2
	v_fma_f32 v2, v40, v90, -v3
	v_mul_f32_e32 v3, v43, v89
	v_add_f32_e32 v1, v1, v4
	v_mul_f32_e32 v4, v25, v82
	v_add_co_u32 v190, vcc_lo, v190, s20
	v_add_f32_e32 v0, v0, v2
	v_fma_f32 v2, v42, v88, -v3
	s_delay_alu instid0(VALU_DEP_4)
	v_dual_add_f32 v1, v1, v5 :: v_dual_fmac_f32 v4, v24, v83
	v_mul_f32_e32 v3, v43, v88
	s_wait_alu 0xfffd
	v_add_co_ci_u32_e64 v191, null, s21, v191, vcc_lo
	v_add_f32_e32 v0, v0, v2
	v_mul_f32_e32 v2, v45, v92
	v_mul_f32_e32 v5, v27, v80
	v_add_f32_e32 v1, v1, v4
	v_dual_mul_f32 v4, v29, v84 :: v_dual_fmac_f32 v3, v42, v89
	s_delay_alu instid0(VALU_DEP_4) | instskip(NEXT) | instid1(VALU_DEP_4)
	v_fmac_f32_e32 v2, v44, v93
	v_fmac_f32_e32 v5, v26, v81
	v_add_co_u32 v192, vcc_lo, v192, s20
	s_delay_alu instid0(VALU_DEP_4)
	v_fmac_f32_e32 v4, v28, v85
	s_wait_alu 0xfffd
	v_add_co_ci_u32_e64 v193, null, s21, v193, vcc_lo
	v_add_f32_e32 v1, v1, v5
	v_mul_f32_e32 v5, v31, v86
	v_add_co_u32 v194, vcc_lo, v194, s20
	s_wait_alu 0xfffd
	v_add_co_ci_u32_e64 v195, null, s21, v195, vcc_lo
	v_add_f32_e32 v1, v1, v4
	v_dual_fmac_f32 v5, v30, v87 :: v_dual_mul_f32 v4, v41, v90
	v_add_co_u32 v196, vcc_lo, v196, s20
	s_wait_alu 0xfffd
	v_add_co_ci_u32_e64 v197, null, s21, v197, vcc_lo
	s_delay_alu instid0(VALU_DEP_3)
	v_dual_add_f32 v1, v1, v5 :: v_dual_fmac_f32 v4, v40, v91
	v_mul_f32_e32 v5, v45, v93
	v_add_co_u32 v198, vcc_lo, v198, s20
	s_wait_alu 0xfffd
	v_add_co_ci_u32_e64 v199, null, s21, v199, vcc_lo
	v_add_f32_e32 v1, v1, v4
	v_fma_f32 v4, v44, v92, -v5
	v_mul_f32_e32 v5, v47, v95
	v_add_co_u32 v200, vcc_lo, v200, s20
	s_delay_alu instid0(VALU_DEP_3) | instskip(NEXT) | instid1(VALU_DEP_3)
	v_dual_add_f32 v1, v1, v3 :: v_dual_add_f32 v0, v0, v4
	v_fma_f32 v3, v46, v94, -v5
	s_wait_alu 0xfffd
	v_add_co_ci_u32_e64 v201, null, s21, v201, vcc_lo
	s_delay_alu instid0(VALU_DEP_3)
	v_add_f32_e32 v1, v1, v2
	v_add_co_u32 v202, vcc_lo, v202, s20
	v_add_f32_e32 v62, v0, v3
	s_wait_alu 0xfffd
	v_add_co_ci_u32_e64 v203, null, s21, v203, vcc_lo
	v_add_f32_e32 v63, v1, v6
	s_add_co_i32 s18, s19, 1
	s_add_co_i32 s19, s19, 2
	;; [unrolled: 1-line block ×3, first 2 shown]
	s_wait_alu 0xfffe
	s_cmp_ge_u32 s19, s36
	s_wait_loadcnt 0x0
	s_wait_storecnt 0x0
	s_barrier_signal -1
	s_barrier_wait -1
	global_inv scope:SCOPE_SE
	s_cbranch_scc1 .LBB116_129
; %bb.128:                              ;   in Loop: Header=BB116_77 Depth=2
	s_mov_b32 s19, s18
	s_wait_alu 0xfffe
	s_cmp_eq_u32 s59, s19
	s_cselect_b32 s63, s56, 0
	s_and_saveexec_b32 s18, s0
	s_cbranch_execnz .LBB116_73
	s_branch .LBB116_77
.LBB116_129:                            ;   in Loop: Header=BB116_4 Depth=1
	ds_store_b64 v130, v[62:63]
	s_wait_loadcnt_dscnt 0x0
	s_barrier_signal -1
	s_barrier_wait -1
	global_inv scope:SCOPE_SE
	s_and_saveexec_b32 s18, s60
	s_cbranch_execz .LBB116_2
; %bb.130:                              ;   in Loop: Header=BB116_4 Depth=1
	ds_load_2addr_b64 v[0:3], v97 offset1:67
	ds_load_2addr_b64 v[4:7], v97 offset0:134 offset1:201
	s_wait_dscnt 0x1
	v_dual_add_f32 v0, v2, v0 :: v_dual_add_f32 v1, v3, v1
	s_wait_alu 0xfffe
	v_add_co_u32 v2, vcc_lo, s52, v58
	s_wait_alu 0xfffd
	v_add_co_ci_u32_e64 v3, null, s53, v59, vcc_lo
	s_wait_dscnt 0x0
	v_dual_add_f32 v0, v4, v0 :: v_dual_add_f32 v1, v5, v1
	s_delay_alu instid0(VALU_DEP_1)
	v_dual_add_f32 v0, v0, v6 :: v_dual_add_f32 v1, v1, v7
	global_store_b64 v[2:3], v[0:1], off
	s_branch .LBB116_2
.LBB116_131:                            ;   in Loop: Header=BB116_4 Depth=1
	ds_load_b64 v[2:3], v168
	s_wait_dscnt 0x0
	ds_store_b64 v103, v[2:3]
	s_wait_alu 0xfffe
	s_or_b32 exec_lo, exec_lo, s18
	s_and_saveexec_b32 s18, s7
	s_cbranch_execz .LBB116_27
.LBB116_132:                            ;   in Loop: Header=BB116_4 Depth=1
	ds_load_b64 v[2:3], v169
	s_wait_dscnt 0x0
	ds_store_b64 v103, v[2:3] offset:8
	s_wait_alu 0xfffe
	s_or_b32 exec_lo, exec_lo, s18
	s_and_saveexec_b32 s18, s8
	s_cbranch_execz .LBB116_28
.LBB116_133:                            ;   in Loop: Header=BB116_4 Depth=1
	ds_load_b64 v[2:3], v169 offset:264
	s_wait_dscnt 0x0
	ds_store_b64 v103, v[2:3] offset:16
	s_wait_alu 0xfffe
	s_or_b32 exec_lo, exec_lo, s18
	s_and_saveexec_b32 s18, s9
	s_cbranch_execnz .LBB116_29
	s_branch .LBB116_30
.LBB116_134:                            ;   in Loop: Header=BB116_4 Depth=1
	ds_load_b64 v[2:3], v168
	s_wait_dscnt 0x0
	ds_store_b64 v103, v[2:3]
	s_wait_alu 0xfffe
	s_or_b32 exec_lo, exec_lo, s18
	s_and_saveexec_b32 s18, s7
	s_cbranch_execz .LBB116_48
.LBB116_135:                            ;   in Loop: Header=BB116_4 Depth=1
	ds_load_b64 v[2:3], v169
	s_wait_dscnt 0x0
	ds_store_b64 v103, v[2:3] offset:8
	s_wait_alu 0xfffe
	s_or_b32 exec_lo, exec_lo, s18
	s_and_saveexec_b32 s18, s8
	s_cbranch_execz .LBB116_49
.LBB116_136:                            ;   in Loop: Header=BB116_4 Depth=1
	ds_load_b64 v[2:3], v169 offset:264
	s_wait_dscnt 0x0
	ds_store_b64 v103, v[2:3] offset:16
	s_wait_alu 0xfffe
	s_or_b32 exec_lo, exec_lo, s18
	s_and_saveexec_b32 s18, s9
	s_cbranch_execnz .LBB116_50
	s_branch .LBB116_51
.LBB116_137:                            ;   in Loop: Header=BB116_4 Depth=1
	global_load_b64 v[4:5], v[0:1], off
	s_wait_loadcnt 0x0
	ds_store_b64 v166, v[4:5]
	s_or_b32 exec_lo, exec_lo, s18
	s_and_saveexec_b32 s18, s3
	s_wait_alu 0xfffe
	s_xor_b32 s18, exec_lo, s18
	s_cbranch_execz .LBB116_16
.LBB116_138:                            ;   in Loop: Header=BB116_4 Depth=1
	v_mov_b32_e32 v57, v56
	ds_store_b64 v166, v[56:57] offset:2112
	s_wait_alu 0xfffe
	s_and_not1_saveexec_b32 s18, s18
	s_cbranch_execz .LBB116_17
.LBB116_139:                            ;   in Loop: Header=BB116_4 Depth=1
	v_add_co_u32 v4, vcc_lo, v0, s40
	s_wait_alu 0xfffd
	v_add_co_ci_u32_e64 v5, null, s41, v1, vcc_lo
	global_load_b64 v[4:5], v[4:5], off
	s_wait_loadcnt 0x0
	ds_store_b64 v166, v[4:5] offset:2112
	s_wait_alu 0xfffe
	s_or_b32 exec_lo, exec_lo, s18
	s_and_saveexec_b32 s18, s4
	s_wait_alu 0xfffe
	s_xor_b32 s18, exec_lo, s18
	s_cbranch_execz .LBB116_18
.LBB116_140:                            ;   in Loop: Header=BB116_4 Depth=1
	v_mov_b32_e32 v57, v56
	ds_store_b64 v166, v[56:57] offset:4224
	s_wait_alu 0xfffe
	s_and_not1_saveexec_b32 s18, s18
	s_cbranch_execz .LBB116_19
.LBB116_141:                            ;   in Loop: Header=BB116_4 Depth=1
	v_add_co_u32 v4, vcc_lo, v0, s42
	s_wait_alu 0xfffd
	v_add_co_ci_u32_e64 v5, null, s43, v1, vcc_lo
	global_load_b64 v[4:5], v[4:5], off
	s_wait_loadcnt 0x0
	ds_store_b64 v166, v[4:5] offset:4224
	s_wait_alu 0xfffe
	s_or_b32 exec_lo, exec_lo, s18
	s_and_saveexec_b32 s18, s5
	s_wait_alu 0xfffe
	s_xor_b32 s18, exec_lo, s18
	s_cbranch_execz .LBB116_20
.LBB116_142:                            ;   in Loop: Header=BB116_4 Depth=1
	v_mov_b32_e32 v57, v56
	ds_store_b64 v166, v[56:57] offset:6336
	s_wait_alu 0xfffe
	s_and_not1_saveexec_b32 s18, s18
	s_cbranch_execnz .LBB116_21
	s_branch .LBB116_22
.LBB116_143:                            ;   in Loop: Header=BB116_4 Depth=1
	global_load_b64 v[6:7], v[0:1], off
	s_wait_loadcnt 0x0
	ds_store_b64 v166, v[6:7]
	s_or_b32 exec_lo, exec_lo, s18
	s_and_saveexec_b32 s18, s13
	s_wait_alu 0xfffe
	s_xor_b32 s18, exec_lo, s18
	s_cbranch_execz .LBB116_37
.LBB116_144:                            ;   in Loop: Header=BB116_4 Depth=1
	v_mov_b32_e32 v57, v56
	ds_store_b64 v166, v[56:57] offset:2112
	s_wait_alu 0xfffe
	s_and_not1_saveexec_b32 s18, s18
	s_cbranch_execz .LBB116_38
.LBB116_145:                            ;   in Loop: Header=BB116_4 Depth=1
	v_add_co_u32 v6, vcc_lo, v0, s40
	s_wait_alu 0xfffd
	v_add_co_ci_u32_e64 v7, null, s41, v1, vcc_lo
	global_load_b64 v[6:7], v[6:7], off
	s_wait_loadcnt 0x0
	ds_store_b64 v166, v[6:7] offset:2112
	s_wait_alu 0xfffe
	s_or_b32 exec_lo, exec_lo, s18
	s_and_saveexec_b32 s18, s14
	s_wait_alu 0xfffe
	s_xor_b32 s18, exec_lo, s18
	s_cbranch_execz .LBB116_39
.LBB116_146:                            ;   in Loop: Header=BB116_4 Depth=1
	v_mov_b32_e32 v57, v56
	ds_store_b64 v166, v[56:57] offset:4224
	s_wait_alu 0xfffe
	s_and_not1_saveexec_b32 s18, s18
	s_cbranch_execz .LBB116_40
.LBB116_147:                            ;   in Loop: Header=BB116_4 Depth=1
	v_add_co_u32 v6, vcc_lo, v0, s42
	s_wait_alu 0xfffd
	v_add_co_ci_u32_e64 v7, null, s43, v1, vcc_lo
	global_load_b64 v[6:7], v[6:7], off
	s_wait_loadcnt 0x0
	ds_store_b64 v166, v[6:7] offset:4224
	s_wait_alu 0xfffe
	s_or_b32 exec_lo, exec_lo, s18
	s_and_saveexec_b32 s18, s15
	s_wait_alu 0xfffe
	s_xor_b32 s18, exec_lo, s18
	s_cbranch_execz .LBB116_41
.LBB116_148:                            ;   in Loop: Header=BB116_4 Depth=1
	v_mov_b32_e32 v57, v56
	ds_store_b64 v166, v[56:57] offset:6336
	s_wait_alu 0xfffe
	s_and_not1_saveexec_b32 s18, s18
	s_cbranch_execnz .LBB116_42
	s_branch .LBB116_43
.LBB116_149:                            ;   in Loop: Header=BB116_4 Depth=1
	global_load_b64 v[6:7], v[4:5], off
	s_wait_loadcnt 0x0
	ds_store_b64 v166, v[6:7]
	s_or_b32 exec_lo, exec_lo, s18
	s_and_saveexec_b32 s18, s13
	s_wait_alu 0xfffe
	s_xor_b32 s18, exec_lo, s18
	s_cbranch_execz .LBB116_58
.LBB116_150:                            ;   in Loop: Header=BB116_4 Depth=1
	v_mov_b32_e32 v57, v56
	ds_store_b64 v166, v[56:57] offset:2112
	s_wait_alu 0xfffe
	s_and_not1_saveexec_b32 s18, s18
	s_cbranch_execz .LBB116_59
.LBB116_151:                            ;   in Loop: Header=BB116_4 Depth=1
	v_add_co_u32 v6, vcc_lo, v4, s40
	s_wait_alu 0xfffd
	v_add_co_ci_u32_e64 v7, null, s41, v5, vcc_lo
	global_load_b64 v[6:7], v[6:7], off
	s_wait_loadcnt 0x0
	ds_store_b64 v166, v[6:7] offset:2112
	s_wait_alu 0xfffe
	s_or_b32 exec_lo, exec_lo, s18
	s_and_saveexec_b32 s18, s14
	s_wait_alu 0xfffe
	s_xor_b32 s18, exec_lo, s18
	s_cbranch_execz .LBB116_60
.LBB116_152:                            ;   in Loop: Header=BB116_4 Depth=1
	v_mov_b32_e32 v57, v56
	ds_store_b64 v166, v[56:57] offset:4224
	s_wait_alu 0xfffe
	s_and_not1_saveexec_b32 s18, s18
	s_cbranch_execz .LBB116_61
.LBB116_153:                            ;   in Loop: Header=BB116_4 Depth=1
	v_add_co_u32 v6, vcc_lo, v4, s42
	s_wait_alu 0xfffd
	v_add_co_ci_u32_e64 v7, null, s43, v5, vcc_lo
	global_load_b64 v[6:7], v[6:7], off
	s_wait_loadcnt 0x0
	ds_store_b64 v166, v[6:7] offset:4224
	s_wait_alu 0xfffe
	s_or_b32 exec_lo, exec_lo, s18
	s_and_saveexec_b32 s18, s15
	s_wait_alu 0xfffe
	s_xor_b32 s18, exec_lo, s18
	s_cbranch_execz .LBB116_62
.LBB116_154:                            ;   in Loop: Header=BB116_4 Depth=1
	v_mov_b32_e32 v57, v56
	ds_store_b64 v166, v[56:57] offset:6336
	s_wait_alu 0xfffe
	s_and_not1_saveexec_b32 s18, s18
	s_cbranch_execnz .LBB116_63
	s_branch .LBB116_64
.LBB116_155:
	s_nop 0
	s_sendmsg sendmsg(MSG_DEALLOC_VGPRS)
	s_endpgm
	.section	.rodata,"a",@progbits
	.p2align	6, 0x0
	.amdhsa_kernel _ZL26rocblas_hemvn_kernel_upperILb0ELi64ELi4ELi33ELi32ELi16El19rocblas_complex_numIfEPKS1_PS1_EviT6_lT7_lT5_lS6_lS7_lS5_lT8_i
		.amdhsa_group_segment_fixed_size 9600
		.amdhsa_private_segment_fixed_size 0
		.amdhsa_kernarg_size 376
		.amdhsa_user_sgpr_count 2
		.amdhsa_user_sgpr_dispatch_ptr 0
		.amdhsa_user_sgpr_queue_ptr 0
		.amdhsa_user_sgpr_kernarg_segment_ptr 1
		.amdhsa_user_sgpr_dispatch_id 0
		.amdhsa_user_sgpr_private_segment_size 0
		.amdhsa_wavefront_size32 1
		.amdhsa_uses_dynamic_stack 0
		.amdhsa_enable_private_segment 0
		.amdhsa_system_sgpr_workgroup_id_x 1
		.amdhsa_system_sgpr_workgroup_id_y 0
		.amdhsa_system_sgpr_workgroup_id_z 1
		.amdhsa_system_sgpr_workgroup_info 0
		.amdhsa_system_vgpr_workitem_id 1
		.amdhsa_next_free_vgpr 212
		.amdhsa_next_free_sgpr 66
		.amdhsa_reserve_vcc 1
		.amdhsa_float_round_mode_32 0
		.amdhsa_float_round_mode_16_64 0
		.amdhsa_float_denorm_mode_32 3
		.amdhsa_float_denorm_mode_16_64 3
		.amdhsa_fp16_overflow 0
		.amdhsa_workgroup_processor_mode 1
		.amdhsa_memory_ordered 1
		.amdhsa_forward_progress 1
		.amdhsa_inst_pref_size 88
		.amdhsa_round_robin_scheduling 0
		.amdhsa_exception_fp_ieee_invalid_op 0
		.amdhsa_exception_fp_denorm_src 0
		.amdhsa_exception_fp_ieee_div_zero 0
		.amdhsa_exception_fp_ieee_overflow 0
		.amdhsa_exception_fp_ieee_underflow 0
		.amdhsa_exception_fp_ieee_inexact 0
		.amdhsa_exception_int_div_zero 0
	.end_amdhsa_kernel
	.section	.text._ZL26rocblas_hemvn_kernel_upperILb0ELi64ELi4ELi33ELi32ELi16El19rocblas_complex_numIfEPKS1_PS1_EviT6_lT7_lT5_lS6_lS7_lS5_lT8_i,"axG",@progbits,_ZL26rocblas_hemvn_kernel_upperILb0ELi64ELi4ELi33ELi32ELi16El19rocblas_complex_numIfEPKS1_PS1_EviT6_lT7_lT5_lS6_lS7_lS5_lT8_i,comdat
.Lfunc_end116:
	.size	_ZL26rocblas_hemvn_kernel_upperILb0ELi64ELi4ELi33ELi32ELi16El19rocblas_complex_numIfEPKS1_PS1_EviT6_lT7_lT5_lS6_lS7_lS5_lT8_i, .Lfunc_end116-_ZL26rocblas_hemvn_kernel_upperILb0ELi64ELi4ELi33ELi32ELi16El19rocblas_complex_numIfEPKS1_PS1_EviT6_lT7_lT5_lS6_lS7_lS5_lT8_i
                                        ; -- End function
	.set _ZL26rocblas_hemvn_kernel_upperILb0ELi64ELi4ELi33ELi32ELi16El19rocblas_complex_numIfEPKS1_PS1_EviT6_lT7_lT5_lS6_lS7_lS5_lT8_i.num_vgpr, 212
	.set _ZL26rocblas_hemvn_kernel_upperILb0ELi64ELi4ELi33ELi32ELi16El19rocblas_complex_numIfEPKS1_PS1_EviT6_lT7_lT5_lS6_lS7_lS5_lT8_i.num_agpr, 0
	.set _ZL26rocblas_hemvn_kernel_upperILb0ELi64ELi4ELi33ELi32ELi16El19rocblas_complex_numIfEPKS1_PS1_EviT6_lT7_lT5_lS6_lS7_lS5_lT8_i.numbered_sgpr, 66
	.set _ZL26rocblas_hemvn_kernel_upperILb0ELi64ELi4ELi33ELi32ELi16El19rocblas_complex_numIfEPKS1_PS1_EviT6_lT7_lT5_lS6_lS7_lS5_lT8_i.num_named_barrier, 0
	.set _ZL26rocblas_hemvn_kernel_upperILb0ELi64ELi4ELi33ELi32ELi16El19rocblas_complex_numIfEPKS1_PS1_EviT6_lT7_lT5_lS6_lS7_lS5_lT8_i.private_seg_size, 0
	.set _ZL26rocblas_hemvn_kernel_upperILb0ELi64ELi4ELi33ELi32ELi16El19rocblas_complex_numIfEPKS1_PS1_EviT6_lT7_lT5_lS6_lS7_lS5_lT8_i.uses_vcc, 1
	.set _ZL26rocblas_hemvn_kernel_upperILb0ELi64ELi4ELi33ELi32ELi16El19rocblas_complex_numIfEPKS1_PS1_EviT6_lT7_lT5_lS6_lS7_lS5_lT8_i.uses_flat_scratch, 0
	.set _ZL26rocblas_hemvn_kernel_upperILb0ELi64ELi4ELi33ELi32ELi16El19rocblas_complex_numIfEPKS1_PS1_EviT6_lT7_lT5_lS6_lS7_lS5_lT8_i.has_dyn_sized_stack, 0
	.set _ZL26rocblas_hemvn_kernel_upperILb0ELi64ELi4ELi33ELi32ELi16El19rocblas_complex_numIfEPKS1_PS1_EviT6_lT7_lT5_lS6_lS7_lS5_lT8_i.has_recursion, 0
	.set _ZL26rocblas_hemvn_kernel_upperILb0ELi64ELi4ELi33ELi32ELi16El19rocblas_complex_numIfEPKS1_PS1_EviT6_lT7_lT5_lS6_lS7_lS5_lT8_i.has_indirect_call, 0
	.section	.AMDGPU.csdata,"",@progbits
; Kernel info:
; codeLenInByte = 11204
; TotalNumSgprs: 68
; NumVgprs: 212
; ScratchSize: 0
; MemoryBound: 1
; FloatMode: 240
; IeeeMode: 1
; LDSByteSize: 9600 bytes/workgroup (compile time only)
; SGPRBlocks: 0
; VGPRBlocks: 26
; NumSGPRsForWavesPerEU: 68
; NumVGPRsForWavesPerEU: 212
; Occupancy: 7
; WaveLimiterHint : 1
; COMPUTE_PGM_RSRC2:SCRATCH_EN: 0
; COMPUTE_PGM_RSRC2:USER_SGPR: 2
; COMPUTE_PGM_RSRC2:TRAP_HANDLER: 0
; COMPUTE_PGM_RSRC2:TGID_X_EN: 1
; COMPUTE_PGM_RSRC2:TGID_Y_EN: 0
; COMPUTE_PGM_RSRC2:TGID_Z_EN: 1
; COMPUTE_PGM_RSRC2:TIDIG_COMP_CNT: 1
	.section	.text._ZL26rocblas_hemvn_kernel_upperILb0ELi64ELi4ELi33ELi32ELi16Ei19rocblas_complex_numIfEPKS1_PS1_EviT6_lT7_lT5_lS6_lS7_lS5_lT8_i,"axG",@progbits,_ZL26rocblas_hemvn_kernel_upperILb0ELi64ELi4ELi33ELi32ELi16Ei19rocblas_complex_numIfEPKS1_PS1_EviT6_lT7_lT5_lS6_lS7_lS5_lT8_i,comdat
	.globl	_ZL26rocblas_hemvn_kernel_upperILb0ELi64ELi4ELi33ELi32ELi16Ei19rocblas_complex_numIfEPKS1_PS1_EviT6_lT7_lT5_lS6_lS7_lS5_lT8_i ; -- Begin function _ZL26rocblas_hemvn_kernel_upperILb0ELi64ELi4ELi33ELi32ELi16Ei19rocblas_complex_numIfEPKS1_PS1_EviT6_lT7_lT5_lS6_lS7_lS5_lT8_i
	.p2align	8
	.type	_ZL26rocblas_hemvn_kernel_upperILb0ELi64ELi4ELi33ELi32ELi16Ei19rocblas_complex_numIfEPKS1_PS1_EviT6_lT7_lT5_lS6_lS7_lS5_lT8_i,@function
_ZL26rocblas_hemvn_kernel_upperILb0ELi64ELi4ELi33ELi32ELi16Ei19rocblas_complex_numIfEPKS1_PS1_EviT6_lT7_lT5_lS6_lS7_lS5_lT8_i: ; @_ZL26rocblas_hemvn_kernel_upperILb0ELi64ELi4ELi33ELi32ELi16Ei19rocblas_complex_numIfEPKS1_PS1_EviT6_lT7_lT5_lS6_lS7_lS5_lT8_i
; %bb.0:
	s_clause 0x1
	s_load_b64 s[2:3], s[0:1], 0x84
	s_load_b32 s19, s[0:1], 0x70
	s_lshr_b32 s28, ttmp7, 16
	s_wait_kmcnt 0x0
	s_lshr_b32 s4, s2, 16
	s_and_b32 s2, s2, 0xffff
	s_and_b32 s3, s3, 0xffff
	s_mul_i32 s2, s4, s2
	s_delay_alu instid0(SALU_CYCLE_1) | instskip(NEXT) | instid1(SALU_CYCLE_1)
	s_mul_i32 s2, s2, s3
	s_cmp_lg_u32 s2, 0x100
	s_cselect_b32 s2, -1, 0
	s_cmp_ge_u32 s28, s19
	s_cselect_b32 s3, -1, 0
	s_delay_alu instid0(SALU_CYCLE_1) | instskip(NEXT) | instid1(SALU_CYCLE_1)
	s_or_b32 s2, s2, s3
	s_and_b32 vcc_lo, exec_lo, s2
	s_cbranch_vccnz .LBB117_155
; %bb.1:
	s_clause 0x6
	s_load_b32 s2, s[0:1], 0x0
	s_load_b32 s46, s[0:1], 0x28
	s_load_b64 s[12:13], s[0:1], 0x4
	s_load_b96 s[16:18], s[0:1], 0x40
	s_load_b128 s[4:7], s[0:1], 0x18
	s_load_b128 s[20:23], s[0:1], 0x50
	;; [unrolled: 1-line block ×3, first 2 shown]
	s_add_nc_u64 s[14:15], s[0:1], 0x78
	s_load_b64 s[10:11], s[0:1], 0x68
	s_load_b32 s30, s[14:15], 0x0
	v_dual_mov_b32 v57, 0 :: v_dual_and_b32 v56, 0x3ff, v0
	v_bfe_u32 v10, v0, 10, 10
	v_and_b32_e32 v1, 31, v0
	s_mov_b32 s29, 0
	s_mov_b32 s8, ttmp9
	s_mov_b32 s31, s29
	v_lshl_add_u32 v11, v10, 6, v56
	v_lshlrev_b32_e32 v12, 3, v1
	v_lshlrev_b32_e32 v111, 2, v10
	s_wait_kmcnt 0x0
	s_ashr_i32 s3, s2, 31
	s_ashr_i32 s47, s46, 31
	s_or_b32 s0, s12, s13
	s_lshl_b64 s[12:13], s[16:17], 3
	s_bitset0_b32 s0, 31
	s_lshl_b64 s[6:7], s[6:7], 3
	s_cmp_lg_u32 s0, 0
	v_lshrrev_b32_e32 v8, 5, v11
	s_cselect_b32 s54, -1, 0
	s_cmp_neq_f32 s22, 1.0
	s_add_nc_u64 s[12:13], s[26:27], s[12:13]
	s_add_nc_u64 s[4:5], s[4:5], s[6:7]
	s_mul_u64 s[26:27], s[30:31], s[2:3]
	s_cselect_b32 s42, -1, 0
	s_cmp_neq_f32 s23, 0
	v_add_nc_u32_e32 v9, 16, v8
	v_lshl_or_b32 v16, v1, 8, v12
	v_and_b32_e32 v17, 0x7fe0, v11
	s_cselect_b32 s43, -1, 0
	s_lshl_b32 s40, ttmp9, 6
	s_lshr_b32 s1, s3, 26
	v_add_nc_u32_e32 v2, s40, v56
	s_add_co_i32 s1, s2, s1
	s_add_co_i32 s9, s30, -1
	s_and_not1_b32 s1, s1, 63
	v_mul_u32_u24_e32 v13, 0x108, v8
	v_mul_lo_u32 v3, s18, v2
	s_sub_co_i32 s33, s2, s1
	v_mad_co_u64_u32 v[5:6], null, s46, v8, v[1:2]
	s_cmp_eq_u32 ttmp9, s9
	v_add_nc_u32_e32 v14, 24, v8
	s_cselect_b32 s22, s33, 0
	v_lshlrev_b32_e32 v15, 2, v8
	v_ashrrev_i32_e32 v4, 31, v3
	s_cmp_lg_u32 s22, 0
	v_cmp_gt_i32_e32 vcc_lo, s22, v56
	s_cselect_b32 s56, -1, 0
	s_cmp_eq_u32 s22, 0
	v_lshlrev_b64_e32 v[3:4], 3, v[3:4]
	v_ashrrev_i32_e32 v6, 31, v5
	s_cselect_b32 s1, -1, 0
	s_ashr_i32 s9, ttmp9, 31
	s_or_b32 s44, s1, vcc_lo
	s_ashr_i32 s41, s40, 31
	v_add_co_u32 v103, vcc_lo, s12, v3
	s_delay_alu instid0(VALU_DEP_1)
	v_add_co_ci_u32_e64 v104, null, s13, v4, vcc_lo
	v_lshlrev_b64_e32 v[4:5], 3, v[5:6]
	s_mul_u64 s[6:7], s[2:3], s[8:9]
	s_wait_alu 0xfffe
	s_lshl_b64 s[2:3], s[40:41], 3
	s_lshl_b64 s[6:7], s[6:7], 3
	s_add_nc_u64 s[2:3], s[4:5], s[2:3]
	s_add_nc_u64 s[34:35], s[10:11], s[6:7]
	s_mul_i32 s6, s46, s40
	v_add_co_u32 v3, vcc_lo, s2, v4
	s_ashr_i32 s7, s6, 31
	s_wait_alu 0xfffd
	v_add_co_ci_u32_e64 v6, null, s3, v5, vcc_lo
	s_lshl_b64 s[2:3], s[6:7], 3
	s_sub_co_i32 s15, s22, 32
	s_wait_alu 0xfffe
	v_add_co_u32 v105, vcc_lo, v3, s2
	s_wait_alu 0xfffd
	v_add_co_ci_u32_e64 v106, null, s3, v6, vcc_lo
	v_sub_co_u32 v6, s2, 0, v1
	s_wait_alu 0xf1ff
	v_sub_co_ci_u32_e64 v7, null, 0, 0, s2
	v_add_nc_u32_e32 v3, 8, v8
	v_cmp_le_i32_e64 s2, s22, v8
	v_cmp_le_i32_e64 s4, s22, v9
	v_add_nc_u32_e32 v107, v16, v17
	v_mul_u32_u24_e32 v16, 0x420, v8
	v_lshlrev_b32_e32 v21, 3, v8
	v_cmp_le_i32_e64 s12, s15, v8
	v_cmp_le_i32_e64 s14, s15, v9
	v_cmp_eq_u32_e64 s16, 1, v8
	v_mul_i32_i24_e32 v112, 0xffffffe8, v8
	v_mad_co_u64_u32 v[8:9], null, s46, v111, v[56:57]
	v_lshlrev_b32_e32 v101, 3, v56
	v_cmp_eq_u32_e64 s0, 0, v10
	s_lshl_b32 s36, s46, 3
	s_lshl_b32 s48, s46, 4
	s_mul_i32 s38, s46, 24
	s_lshl_b32 s52, s46, 5
	v_ashrrev_i32_e32 v9, 31, v8
	s_mul_i32 s40, s18, s40
	v_cmp_le_i32_e64 s3, s22, v3
	v_cmp_gt_u32_e64 s10, 32, v11
	v_cmp_le_i32_e64 s13, s15, v3
	s_add_co_i32 s45, ttmp9, 1
	v_lshrrev_b32_e32 v3, 4, v11
	v_lshl_add_u32 v114, v10, 5, 0x2180
	v_mad_u32_u24 v115, 0x860, v10, v101
	v_cmp_gt_u32_e64 s17, 64, v11
	v_mad_u32_u24 v134, 0x218, v10, v101
	v_lshlrev_b64_e32 v[10:11], 3, v[8:9]
	s_xor_b32 s57, s44, -1
	s_ashr_i32 s23, s22, 31
	s_ashr_i32 s37, s36, 31
	;; [unrolled: 1-line block ×5, first 2 shown]
	s_wait_alu 0xfffe
	s_ashr_i32 s41, s40, 31
	s_cmp_lt_u32 s45, s30
	v_sub_co_u32 v137, vcc_lo, 0, v4
	s_cselect_b32 s31, -1, 0
	s_lshl_b32 s59, s18, 6
	s_lshl_b32 s62, s46, 1
	s_and_b32 s60, s0, s44
	s_mul_i32 s18, s18, s45
	s_lshl_b64 s[44:45], s[52:53], 3
	s_lshl_b64 s[68:69], s[46:47], 4
	s_ashr_i32 s63, s62, 31
	s_mul_i32 s64, s46, 3
	s_lshl_b64 s[66:67], s[46:47], 3
	s_wait_alu 0xfffd
	v_sub_co_ci_u32_e64 v138, null, 0, v5, vcc_lo
	v_add_co_u32 v139, vcc_lo, s44, v10
	s_add_nc_u64 s[70:71], s[68:69], s[44:45]
	s_ashr_i32 s65, s64, 31
	s_wait_alu 0xfffd
	v_add_co_ci_u32_e64 v140, null, s45, v11, vcc_lo
	v_add_co_u32 v141, vcc_lo, s70, v10
	s_add_nc_u64 s[72:73], s[66:67], s[44:45]
	s_lshl_b64 s[62:63], s[62:63], 3
	s_or_b32 s55, s42, s43
	s_lshl_b64 s[42:43], s[46:47], 6
	s_wait_alu 0xfffd
	v_add_co_ci_u32_e64 v142, null, s71, v11, vcc_lo
	v_add_co_u32 v143, vcc_lo, s72, v10
	s_add_nc_u64 s[46:47], s[44:45], s[62:63]
	s_lshl_b64 s[64:65], s[64:65], 3
	s_wait_alu 0xfffd
	v_add_co_ci_u32_e64 v144, null, s73, v11, vcc_lo
	s_wait_alu 0xfffe
	v_add_co_u32 v145, vcc_lo, s46, v10
	s_add_nc_u64 s[74:75], s[44:45], s[64:65]
	s_wait_alu 0xfffd
	v_add_co_ci_u32_e64 v146, null, s47, v11, vcc_lo
	s_lshl_b64 s[46:47], s[48:49], 3
	v_add_co_u32 v147, vcc_lo, s74, v10
	s_wait_alu 0xfffd
	v_add_co_ci_u32_e64 v148, null, s75, v11, vcc_lo
	s_wait_alu 0xfffe
	s_add_nc_u64 s[74:75], s[44:45], s[46:47]
	s_add_nc_u64 s[72:73], s[72:73], s[46:47]
	s_wait_alu 0xfffe
	v_add_co_u32 v149, vcc_lo, s74, v10
	s_wait_alu 0xfffd
	v_add_co_ci_u32_e64 v150, null, s75, v11, vcc_lo
	v_add_co_u32 v151, vcc_lo, s72, v10
	s_wait_alu 0xfffd
	v_add_co_ci_u32_e64 v152, null, s73, v11, vcc_lo
	s_add_nc_u64 s[72:73], s[74:75], s[62:63]
	v_cmp_gt_u32_e64 s6, v15, v1
	s_wait_alu 0xfffe
	v_add_co_u32 v153, vcc_lo, s72, v10
	s_wait_alu 0xfffd
	v_add_co_ci_u32_e64 v154, null, s73, v11, vcc_lo
	s_add_nc_u64 s[72:73], s[70:71], s[46:47]
	v_or_b32_e32 v18, 1, v15
	s_wait_alu 0xfffe
	v_add_co_u32 v155, vcc_lo, s72, v10
	s_wait_alu 0xfffd
	v_add_co_ci_u32_e64 v156, null, s73, v11, vcc_lo
	s_add_nc_u64 s[72:73], s[74:75], s[64:65]
	s_lshl_b64 s[74:75], s[48:49], 4
	s_wait_alu 0xfffe
	v_add_co_u32 v157, vcc_lo, s72, v10
	s_wait_alu 0xfffd
	v_add_co_ci_u32_e64 v158, null, s73, v11, vcc_lo
	s_add_nc_u64 s[72:73], s[74:75], s[44:45]
	v_cmp_ge_u32_e64 s7, v15, v1
	s_wait_alu 0xfffe
	v_add_co_u32 v159, vcc_lo, s72, v10
	s_add_nc_u64 s[76:77], s[72:73], s[66:67]
	s_wait_alu 0xfffd
	v_add_co_ci_u32_e64 v160, null, s73, v11, vcc_lo
	v_add_co_u32 v161, vcc_lo, s76, v10
	s_wait_alu 0xfffd
	v_add_co_ci_u32_e64 v162, null, s77, v11, vcc_lo
	v_add_co_u32 v4, vcc_lo, s52, v8
	s_wait_alu 0xfffd
	v_add_co_ci_u32_e64 v5, null, s53, v9, vcc_lo
	v_or_b32_e32 v20, 2, v15
	v_or_b32_e32 v15, 3, v15
	s_add_nc_u64 s[76:77], s[72:73], s[62:63]
	s_delay_alu instid0(VALU_DEP_3)
	v_lshlrev_b64_e32 v[4:5], 3, v[4:5]
	s_wait_alu 0xfffe
	v_add_co_u32 v163, vcc_lo, s76, v10
	v_cmp_gt_u32_e64 s9, v15, v1
	v_or_b32_e32 v15, 32, v1
	s_add_nc_u64 s[52:53], s[70:71], s[74:75]
	v_mad_co_i64_i32 v[59:60], null, s48, 24, v[4:5]
	s_wait_alu 0xfffd
	v_add_co_ci_u32_e64 v164, null, s77, v11, vcc_lo
	s_wait_alu 0xfffe
	v_add_co_u32 v165, vcc_lo, s52, v10
	s_wait_alu 0xfffd
	v_add_co_ci_u32_e64 v166, null, s53, v11, vcc_lo
	s_add_nc_u64 s[52:53], s[72:73], s[64:65]
	v_cmp_le_i32_e64 s5, s22, v14
	v_cmp_gt_i32_e64 s11, s22, v15
	v_cmp_le_i32_e64 s15, s15, v14
	v_and_b32_e32 v14, 15, v0
	v_lshlrev_b32_e32 v15, 5, v3
	v_mul_u32_u24_e32 v19, 33, v1
	v_and_b32_e32 v0, 48, v0
	s_wait_alu 0xfffe
	v_add_co_u32 v167, vcc_lo, s52, v10
	s_wait_alu 0xfffd
	v_add_co_ci_u32_e64 v168, null, s53, v11, vcc_lo
	s_mul_u64 s[52:53], s[48:49], 24
	v_add_co_u32 v169, vcc_lo, v59, s66
	v_mad_u32_u24 v116, 0x218, v14, v15
	v_mul_i32_i24_e32 v15, 0xffffffe8, v3
	v_ashrrev_i32_e32 v3, 31, v2
	s_wait_alu 0xfffd
	v_add_co_ci_u32_e64 v170, null, s67, v60, vcc_lo
	v_add_co_u32 v171, vcc_lo, v59, s62
	s_wait_alu 0xfffe
	s_add_nc_u64 s[52:53], s[52:53], s[68:69]
	v_lshlrev_b32_e32 v108, 3, v19
	v_mul_u32_u24_e32 v18, 0x108, v18
	v_add_nc_u32_e32 v109, 0x2380, v17
	v_lshlrev_b32_e32 v0, 3, v0
	v_or_b32_e32 v17, 0x78, v101
	s_wait_alu 0xfffd
	v_add_co_ci_u32_e64 v172, null, s63, v60, vcc_lo
	s_wait_alu 0xfffe
	v_add_co_u32 v173, vcc_lo, s52, v4
	s_wait_alu 0xfffd
	v_add_co_ci_u32_e64 v174, null, s53, v5, vcc_lo
	v_add_co_u32 v178, vcc_lo, v59, s64
	v_lshlrev_b64_e32 v[61:62], 3, v[6:7]
	v_lshlrev_b64_e32 v[63:64], 3, v[2:3]
	v_add_nc_u32_e32 v102, 0x2380, v101
	v_cmp_gt_i32_e64 s1, s22, v1
	v_cmp_gt_u32_e64 s8, v20, v1
	v_add_nc_u32_e32 v110, v108, v21
	v_add_nc_u32_e32 v113, 0x2180, v101
	v_mad_u32_u24 v117, 0x218, v14, v0
	v_mad_u32_u24 v118, 0x218, v14, v17
	v_or_b32_e32 v119, 1, v111
	v_or_b32_e32 v120, 2, v111
	;; [unrolled: 1-line block ×3, first 2 shown]
	v_add_nc_u32_e32 v122, 16, v111
	v_add_nc_u32_e32 v123, 17, v111
	;; [unrolled: 1-line block ×17, first 2 shown]
	s_wait_alu 0xfffd
	v_add_co_ci_u32_e64 v179, null, s65, v60, vcc_lo
	v_lshlrev_b32_e32 v180, 3, v1
	v_cndmask_b32_e64 v181, 0, 1, s54
	v_add_nc_u32_e32 v182, v116, v15
	s_sub_nc_u64 s[50:51], 0, s[40:41]
	s_add_co_i32 s58, s30, -2
	s_sub_nc_u64 s[40:41], 0, s[22:23]
	s_or_b32 s61, s55, s54
	s_lshl_b32 s62, s18, 6
	s_lshl_b64 s[48:49], s[48:49], 5
	s_lshl_b64 s[50:51], s[50:51], 3
	s_branch .LBB117_4
.LBB117_2:                              ;   in Loop: Header=BB117_4 Depth=1
	s_wait_alu 0xfffe
	s_or_b32 exec_lo, exec_lo, s18
.LBB117_3:                              ;   in Loop: Header=BB117_4 Depth=1
	s_add_co_i32 s28, s28, 0x10000
	s_delay_alu instid0(SALU_CYCLE_1)
	s_cmp_lt_u32 s28, s19
	s_cbranch_scc0 .LBB117_155
.LBB117_4:                              ; =>This Loop Header: Depth=1
                                        ;     Child Loop BB117_77 Depth 2
	s_and_not1_b32 vcc_lo, exec_lo, s61
	s_wait_alu 0xfffe
	s_cbranch_vccnz .LBB117_3
; %bb.5:                                ;   in Loop: Header=BB117_4 Depth=1
	v_cmp_ne_u32_e32 vcc_lo, 1, v181
	s_cbranch_vccnz .LBB117_3
; %bb.6:                                ;   in Loop: Header=BB117_4 Depth=1
	s_mul_u64 s[52:53], s[20:21], s[28:29]
	s_wait_alu 0xfffe
	s_lshl_b64 s[52:53], s[52:53], 3
	s_wait_alu 0xfffe
	v_add_co_u32 v12, vcc_lo, v103, s52
	s_wait_alu 0xfffd
	v_add_co_ci_u32_e64 v13, null, s53, v104, vcc_lo
	s_and_saveexec_b32 s18, s0
	s_cbranch_execz .LBB117_11
; %bb.7:                                ;   in Loop: Header=BB117_4 Depth=1
	s_and_saveexec_b32 s52, s57
	s_wait_alu 0xfffe
	s_xor_b32 s52, exec_lo, s52
; %bb.8:                                ;   in Loop: Header=BB117_4 Depth=1
	v_mov_b32_e32 v58, v57
	ds_store_b64 v102, v[57:58]
; %bb.9:                                ;   in Loop: Header=BB117_4 Depth=1
	s_wait_alu 0xfffe
	s_and_not1_saveexec_b32 s52, s52
	s_cbranch_execz .LBB117_11
; %bb.10:                               ;   in Loop: Header=BB117_4 Depth=1
	global_load_b64 v[0:1], v[12:13], off
	s_wait_loadcnt 0x0
	ds_store_b64 v102, v[0:1]
.LBB117_11:                             ;   in Loop: Header=BB117_4 Depth=1
	s_wait_alu 0xfffe
	s_or_b32 exec_lo, exec_lo, s18
	s_mul_u64 s[52:53], s[24:25], s[28:29]
	s_mov_b32 s18, -1
	s_wait_alu 0xfffe
	s_lshl_b64 s[52:53], s[52:53], 3
                                        ; implicit-def: $vgpr0_vgpr1
	s_wait_alu 0xfffe
	v_add_co_u32 v2, vcc_lo, v105, s52
	s_wait_alu 0xfffd
	v_add_co_ci_u32_e64 v3, null, s53, v106, vcc_lo
	s_and_b32 vcc_lo, exec_lo, s56
	s_wait_alu 0xfffe
	s_cbranch_vccz .LBB117_23
; %bb.12:                               ;   in Loop: Header=BB117_4 Depth=1
	s_and_saveexec_b32 s18, s2
	s_wait_alu 0xfffe
	s_xor_b32 s18, exec_lo, s18
; %bb.13:                               ;   in Loop: Header=BB117_4 Depth=1
	v_mov_b32_e32 v58, v57
	ds_store_b64 v175, v[57:58]
; %bb.14:                               ;   in Loop: Header=BB117_4 Depth=1
	s_wait_alu 0xfffe
	s_or_saveexec_b32 s18, s18
	v_add_co_u32 v0, vcc_lo, v2, v61
	s_wait_alu 0xfffd
	v_add_co_ci_u32_e64 v1, null, v3, v62, vcc_lo
	s_lshl_b64 s[52:53], s[22:23], 3
	s_wait_alu 0xfffe
	v_add_co_u32 v0, vcc_lo, v0, s52
	s_wait_alu 0xfffd
	v_add_co_ci_u32_e64 v1, null, s53, v1, vcc_lo
	s_delay_alu instid0(VALU_DEP_2) | instskip(SKIP_1) | instid1(VALU_DEP_2)
	v_add_co_u32 v0, vcc_lo, v0, -8
	s_wait_alu 0xfffd
	v_add_co_ci_u32_e64 v1, null, -1, v1, vcc_lo
	s_delay_alu instid0(VALU_DEP_2) | instskip(NEXT) | instid1(VALU_DEP_2)
	v_cndmask_b32_e64 v0, v0, v2, s1
	v_cndmask_b32_e64 v1, v1, v3, s1
	s_xor_b32 exec_lo, exec_lo, s18
	s_cbranch_execnz .LBB117_137
; %bb.15:                               ;   in Loop: Header=BB117_4 Depth=1
	s_or_b32 exec_lo, exec_lo, s18
	s_and_saveexec_b32 s18, s3
	s_wait_alu 0xfffe
	s_xor_b32 s18, exec_lo, s18
	s_cbranch_execnz .LBB117_138
.LBB117_16:                             ;   in Loop: Header=BB117_4 Depth=1
	s_wait_alu 0xfffe
	s_and_not1_saveexec_b32 s18, s18
	s_cbranch_execnz .LBB117_139
.LBB117_17:                             ;   in Loop: Header=BB117_4 Depth=1
	s_wait_alu 0xfffe
	s_or_b32 exec_lo, exec_lo, s18
	s_and_saveexec_b32 s18, s4
	s_wait_alu 0xfffe
	s_xor_b32 s18, exec_lo, s18
	s_cbranch_execnz .LBB117_140
.LBB117_18:                             ;   in Loop: Header=BB117_4 Depth=1
	s_wait_alu 0xfffe
	s_and_not1_saveexec_b32 s18, s18
	s_cbranch_execnz .LBB117_141
.LBB117_19:                             ;   in Loop: Header=BB117_4 Depth=1
	s_wait_alu 0xfffe
	s_or_b32 exec_lo, exec_lo, s18
	s_and_saveexec_b32 s18, s5
	s_wait_alu 0xfffe
	s_xor_b32 s18, exec_lo, s18
	s_cbranch_execnz .LBB117_142
.LBB117_20:                             ;   in Loop: Header=BB117_4 Depth=1
	s_wait_alu 0xfffe
	s_and_not1_saveexec_b32 s18, s18
	s_cbranch_execz .LBB117_22
.LBB117_21:                             ;   in Loop: Header=BB117_4 Depth=1
	s_lshl_b64 s[52:53], s[38:39], 3
	s_wait_alu 0xfffe
	v_add_co_u32 v4, vcc_lo, v0, s52
	s_wait_alu 0xfffd
	v_add_co_ci_u32_e64 v5, null, s53, v1, vcc_lo
	global_load_b64 v[4:5], v[4:5], off
	s_wait_loadcnt 0x0
	ds_store_b64 v175, v[4:5] offset:6336
.LBB117_22:                             ;   in Loop: Header=BB117_4 Depth=1
	s_wait_alu 0xfffe
	s_or_b32 exec_lo, exec_lo, s18
	v_add_co_u32 v0, vcc_lo, v0, v180
	s_wait_alu 0xfffd
	v_add_co_ci_u32_e64 v1, null, 0, v1, vcc_lo
	s_lshl_b64 s[52:53], s[40:41], 3
	s_mov_b32 s18, 0
	s_wait_alu 0xfffe
	v_add_co_u32 v0, vcc_lo, v0, s52
	s_wait_alu 0xfffd
	v_add_co_ci_u32_e64 v1, null, s53, v1, vcc_lo
	s_delay_alu instid0(VALU_DEP_2) | instskip(SKIP_1) | instid1(VALU_DEP_2)
	v_add_co_u32 v0, vcc_lo, v0, 8
	s_wait_alu 0xfffd
	v_add_co_ci_u32_e64 v1, null, 0, v1, vcc_lo
	s_delay_alu instid0(VALU_DEP_2) | instskip(NEXT) | instid1(VALU_DEP_2)
	v_cndmask_b32_e64 v0, v0, v2, s1
	v_cndmask_b32_e64 v1, v1, v3, s1
.LBB117_23:                             ;   in Loop: Header=BB117_4 Depth=1
	s_and_b32 vcc_lo, exec_lo, s18
	s_wait_alu 0xfffe
	s_cbranch_vccz .LBB117_25
; %bb.24:                               ;   in Loop: Header=BB117_4 Depth=1
	s_lshl_b64 s[52:53], s[36:37], 3
	s_wait_alu 0xfffe
	v_add_co_u32 v0, vcc_lo, v2, s52
	s_wait_alu 0xfffd
	v_add_co_ci_u32_e64 v1, null, s53, v3, vcc_lo
	s_delay_alu instid0(VALU_DEP_2) | instskip(SKIP_1) | instid1(VALU_DEP_2)
	v_add_co_u32 v4, vcc_lo, v0, s42
	s_wait_alu 0xfffd
	v_add_co_ci_u32_e64 v5, null, s43, v1, vcc_lo
	s_delay_alu instid0(VALU_DEP_2) | instskip(SKIP_1) | instid1(VALU_DEP_2)
	v_add_co_u32 v6, vcc_lo, v4, s42
	s_wait_alu 0xfffd
	v_add_co_ci_u32_e64 v7, null, s43, v5, vcc_lo
	s_clause 0x3
	global_load_b64 v[8:9], v[2:3], off
	global_load_b64 v[10:11], v[0:1], off
	global_load_b64 v[4:5], v[4:5], off
	global_load_b64 v[6:7], v[6:7], off
	v_dual_mov_b32 v0, v2 :: v_dual_mov_b32 v1, v3
	s_wait_loadcnt 0x3
	ds_store_b64 v175, v[8:9]
	s_wait_loadcnt 0x2
	ds_store_b64 v175, v[10:11] offset:2112
	s_wait_loadcnt 0x1
	ds_store_b64 v175, v[4:5] offset:4224
	;; [unrolled: 2-line block ×3, first 2 shown]
.LBB117_25:                             ;   in Loop: Header=BB117_4 Depth=1
	s_wait_dscnt 0x0
	s_barrier_signal -1
	s_barrier_wait -1
	global_inv scope:SCOPE_SE
	s_and_saveexec_b32 s18, s6
	s_cbranch_execnz .LBB117_131
; %bb.26:                               ;   in Loop: Header=BB117_4 Depth=1
	s_wait_alu 0xfffe
	s_or_b32 exec_lo, exec_lo, s18
	s_and_saveexec_b32 s18, s7
	s_cbranch_execnz .LBB117_132
.LBB117_27:                             ;   in Loop: Header=BB117_4 Depth=1
	s_wait_alu 0xfffe
	s_or_b32 exec_lo, exec_lo, s18
	s_and_saveexec_b32 s18, s8
	s_cbranch_execnz .LBB117_133
.LBB117_28:                             ;   in Loop: Header=BB117_4 Depth=1
	s_wait_alu 0xfffe
	s_or_b32 exec_lo, exec_lo, s18
	s_and_saveexec_b32 s18, s9
	s_cbranch_execz .LBB117_30
.LBB117_29:                             ;   in Loop: Header=BB117_4 Depth=1
	ds_load_b64 v[2:3], v177 offset:528
	s_wait_dscnt 0x0
	ds_store_b64 v107, v[2:3] offset:24
.LBB117_30:                             ;   in Loop: Header=BB117_4 Depth=1
	s_wait_alu 0xfffe
	s_or_b32 exec_lo, exec_lo, s18
	s_wait_loadcnt_dscnt 0x0
	s_barrier_signal -1
	s_barrier_wait -1
	global_inv scope:SCOPE_SE
	ds_load_b64 v[10:11], v176
	ds_load_b128 v[2:5], v109
	ds_load_2addr_b64 v[6:9], v177 offset1:33
	ds_load_b128 v[14:17], v109 offset:16
	ds_load_b64 v[18:19], v177 offset:528
	s_wait_loadcnt_dscnt 0x0
	s_barrier_signal -1
	s_barrier_wait -1
	global_inv scope:SCOPE_SE
	v_mov_b32_e32 v66, 0
	v_mul_f32_e32 v20, v3, v11
	v_dual_mul_f32 v11, v2, v11 :: v_dual_mul_f32 v22, v15, v9
	v_mul_f32_e32 v9, v14, v9
	s_delay_alu instid0(VALU_DEP_3) | instskip(SKIP_1) | instid1(VALU_DEP_4)
	v_fma_f32 v2, v2, v10, -v20
	v_mul_f32_e32 v21, v5, v7
	v_fmac_f32_e32 v11, v3, v10
	s_delay_alu instid0(VALU_DEP_4) | instskip(SKIP_3) | instid1(VALU_DEP_1)
	v_fmac_f32_e32 v9, v15, v8
	v_fma_f32 v10, v14, v8, -v22
	v_dual_add_f32 v2, 0, v2 :: v_dual_mul_f32 v7, v4, v7
	v_fma_f32 v4, v4, v6, -v21
	v_dual_add_f32 v2, v2, v4 :: v_dual_fmac_f32 v7, v5, v6
	v_mul_f32_e32 v6, v16, v19
	v_add_f32_e32 v5, 0, v11
	s_delay_alu instid0(VALU_DEP_3) | instskip(NEXT) | instid1(VALU_DEP_3)
	v_dual_mul_f32 v3, v17, v19 :: v_dual_add_f32 v2, v2, v10
	v_fmac_f32_e32 v6, v17, v18
	s_delay_alu instid0(VALU_DEP_3) | instskip(NEXT) | instid1(VALU_DEP_3)
	v_add_f32_e32 v4, v5, v7
	v_fma_f32 v3, v16, v18, -v3
	s_delay_alu instid0(VALU_DEP_2) | instskip(NEXT) | instid1(VALU_DEP_1)
	v_dual_mov_b32 v65, 0 :: v_dual_add_f32 v4, v4, v9
	v_dual_add_f32 v2, v2, v3 :: v_dual_add_f32 v3, v4, v6
	ds_store_b64 v110, v[2:3]
	s_wait_loadcnt_dscnt 0x0
	s_barrier_signal -1
	s_barrier_wait -1
	global_inv scope:SCOPE_SE
	s_and_saveexec_b32 s18, s10
	s_cbranch_execz .LBB117_32
; %bb.31:                               ;   in Loop: Header=BB117_4 Depth=1
	ds_load_2addr_b64 v[2:5], v108 offset1:7
	ds_load_2addr_b64 v[6:9], v108 offset0:1 offset1:2
	ds_load_2addr_b64 v[14:17], v108 offset0:3 offset1:4
	;; [unrolled: 1-line block ×3, first 2 shown]
	s_wait_dscnt 0x2
	v_dual_add_f32 v2, v6, v2 :: v_dual_add_f32 v3, v7, v3
	s_delay_alu instid0(VALU_DEP_1) | instskip(SKIP_1) | instid1(VALU_DEP_1)
	v_dual_add_f32 v2, v8, v2 :: v_dual_add_f32 v3, v9, v3
	s_wait_dscnt 0x1
	v_dual_add_f32 v2, v2, v14 :: v_dual_add_f32 v3, v3, v15
	s_delay_alu instid0(VALU_DEP_1) | instskip(SKIP_1) | instid1(VALU_DEP_1)
	v_dual_add_f32 v2, v2, v16 :: v_dual_add_f32 v3, v3, v17
	s_wait_dscnt 0x0
	v_dual_add_f32 v2, v2, v18 :: v_dual_add_f32 v3, v3, v19
	s_delay_alu instid0(VALU_DEP_1) | instskip(NEXT) | instid1(VALU_DEP_1)
	v_dual_add_f32 v2, v2, v20 :: v_dual_add_f32 v3, v3, v21
	v_dual_add_f32 v65, v2, v4 :: v_dual_add_f32 v66, v3, v5
.LBB117_32:                             ;   in Loop: Header=BB117_4 Depth=1
	s_wait_alu 0xfffe
	s_or_b32 exec_lo, exec_lo, s18
	v_add_co_u32 v4, vcc_lo, v0, s44
	s_wait_alu 0xfffd
	v_add_co_ci_u32_e64 v5, null, s45, v1, vcc_lo
	s_mov_b32 s18, -1
	v_add_co_u32 v2, vcc_lo, 0x100, v4
	s_wait_alu 0xfffd
	v_add_co_ci_u32_e64 v3, null, 0, v5, vcc_lo
	s_and_b32 vcc_lo, exec_lo, s56
	s_wait_loadcnt 0x0
	s_barrier_signal -1
	s_barrier_wait -1
	global_inv scope:SCOPE_SE
                                        ; implicit-def: $vgpr0_vgpr1
	s_wait_alu 0xfffe
	s_cbranch_vccz .LBB117_44
; %bb.33:                               ;   in Loop: Header=BB117_4 Depth=1
	s_and_saveexec_b32 s18, s12
	s_wait_alu 0xfffe
	s_xor_b32 s18, exec_lo, s18
; %bb.34:                               ;   in Loop: Header=BB117_4 Depth=1
	v_mov_b32_e32 v58, v57
	ds_store_b64 v175, v[57:58]
; %bb.35:                               ;   in Loop: Header=BB117_4 Depth=1
	s_wait_alu 0xfffe
	s_or_saveexec_b32 s18, s18
	v_add_co_u32 v0, vcc_lo, v4, v61
	s_wait_alu 0xfffd
	v_add_co_ci_u32_e64 v1, null, v5, v62, vcc_lo
	s_lshl_b64 s[52:53], s[22:23], 3
	s_wait_alu 0xfffe
	v_add_co_u32 v0, vcc_lo, v0, s52
	s_wait_alu 0xfffd
	v_add_co_ci_u32_e64 v1, null, s53, v1, vcc_lo
	s_delay_alu instid0(VALU_DEP_2) | instskip(SKIP_1) | instid1(VALU_DEP_2)
	v_add_co_u32 v0, vcc_lo, v0, -8
	s_wait_alu 0xfffd
	v_add_co_ci_u32_e64 v1, null, -1, v1, vcc_lo
	s_delay_alu instid0(VALU_DEP_2) | instskip(NEXT) | instid1(VALU_DEP_2)
	v_cndmask_b32_e64 v0, v0, v2, s11
	v_cndmask_b32_e64 v1, v1, v3, s11
	s_xor_b32 exec_lo, exec_lo, s18
	s_cbranch_execnz .LBB117_143
; %bb.36:                               ;   in Loop: Header=BB117_4 Depth=1
	s_or_b32 exec_lo, exec_lo, s18
	s_and_saveexec_b32 s18, s13
	s_wait_alu 0xfffe
	s_xor_b32 s18, exec_lo, s18
	s_cbranch_execnz .LBB117_144
.LBB117_37:                             ;   in Loop: Header=BB117_4 Depth=1
	s_wait_alu 0xfffe
	s_and_not1_saveexec_b32 s18, s18
	s_cbranch_execnz .LBB117_145
.LBB117_38:                             ;   in Loop: Header=BB117_4 Depth=1
	s_wait_alu 0xfffe
	s_or_b32 exec_lo, exec_lo, s18
	s_and_saveexec_b32 s18, s14
	s_wait_alu 0xfffe
	s_xor_b32 s18, exec_lo, s18
	s_cbranch_execnz .LBB117_146
.LBB117_39:                             ;   in Loop: Header=BB117_4 Depth=1
	s_wait_alu 0xfffe
	s_and_not1_saveexec_b32 s18, s18
	s_cbranch_execnz .LBB117_147
.LBB117_40:                             ;   in Loop: Header=BB117_4 Depth=1
	s_wait_alu 0xfffe
	s_or_b32 exec_lo, exec_lo, s18
	s_and_saveexec_b32 s18, s15
	s_wait_alu 0xfffe
	s_xor_b32 s18, exec_lo, s18
	s_cbranch_execnz .LBB117_148
.LBB117_41:                             ;   in Loop: Header=BB117_4 Depth=1
	s_wait_alu 0xfffe
	s_and_not1_saveexec_b32 s18, s18
	s_cbranch_execz .LBB117_43
.LBB117_42:                             ;   in Loop: Header=BB117_4 Depth=1
	s_lshl_b64 s[52:53], s[38:39], 3
	s_wait_alu 0xfffe
	v_add_co_u32 v6, vcc_lo, v0, s52
	s_wait_alu 0xfffd
	v_add_co_ci_u32_e64 v7, null, s53, v1, vcc_lo
	global_load_b64 v[6:7], v[6:7], off
	s_wait_loadcnt 0x0
	ds_store_b64 v175, v[6:7] offset:6336
.LBB117_43:                             ;   in Loop: Header=BB117_4 Depth=1
	s_wait_alu 0xfffe
	s_or_b32 exec_lo, exec_lo, s18
	v_add_co_u32 v0, vcc_lo, v0, v180
	s_wait_alu 0xfffd
	v_add_co_ci_u32_e64 v1, null, 0, v1, vcc_lo
	s_lshl_b64 s[52:53], s[40:41], 3
	s_mov_b32 s18, 0
	s_wait_alu 0xfffe
	v_add_co_u32 v0, vcc_lo, v0, s52
	s_wait_alu 0xfffd
	v_add_co_ci_u32_e64 v1, null, s53, v1, vcc_lo
	s_delay_alu instid0(VALU_DEP_2) | instskip(SKIP_1) | instid1(VALU_DEP_2)
	v_add_co_u32 v0, vcc_lo, 0x108, v0
	s_wait_alu 0xfffd
	v_add_co_ci_u32_e64 v1, null, 0, v1, vcc_lo
	s_delay_alu instid0(VALU_DEP_2) | instskip(NEXT) | instid1(VALU_DEP_2)
	v_cndmask_b32_e64 v0, v0, v2, s11
	v_cndmask_b32_e64 v1, v1, v3, s11
.LBB117_44:                             ;   in Loop: Header=BB117_4 Depth=1
	s_and_b32 vcc_lo, exec_lo, s18
	s_wait_alu 0xfffe
	s_cbranch_vccz .LBB117_46
; %bb.45:                               ;   in Loop: Header=BB117_4 Depth=1
	s_lshl_b64 s[52:53], s[36:37], 3
	s_wait_alu 0xfffe
	v_add_co_u32 v0, vcc_lo, v4, s52
	s_wait_alu 0xfffd
	v_add_co_ci_u32_e64 v1, null, s53, v5, vcc_lo
	s_delay_alu instid0(VALU_DEP_2) | instskip(SKIP_1) | instid1(VALU_DEP_2)
	v_add_co_u32 v6, vcc_lo, v0, s42
	s_wait_alu 0xfffd
	v_add_co_ci_u32_e64 v7, null, s43, v1, vcc_lo
	s_delay_alu instid0(VALU_DEP_2) | instskip(SKIP_1) | instid1(VALU_DEP_2)
	v_add_co_u32 v8, vcc_lo, v6, s42
	s_wait_alu 0xfffd
	v_add_co_ci_u32_e64 v9, null, s43, v7, vcc_lo
	s_clause 0x3
	global_load_b64 v[4:5], v[4:5], off offset:256
	global_load_b64 v[10:11], v[0:1], off offset:256
	;; [unrolled: 1-line block ×4, first 2 shown]
	v_dual_mov_b32 v0, v2 :: v_dual_mov_b32 v1, v3
	s_wait_loadcnt 0x3
	ds_store_b64 v175, v[4:5]
	s_wait_loadcnt 0x2
	ds_store_b64 v175, v[10:11] offset:2112
	s_wait_loadcnt 0x1
	ds_store_b64 v175, v[6:7] offset:4224
	;; [unrolled: 2-line block ×3, first 2 shown]
.LBB117_46:                             ;   in Loop: Header=BB117_4 Depth=1
	s_wait_loadcnt_dscnt 0x0
	s_barrier_signal -1
	s_barrier_wait -1
	global_inv scope:SCOPE_SE
	s_and_saveexec_b32 s18, s6
	s_cbranch_execnz .LBB117_134
; %bb.47:                               ;   in Loop: Header=BB117_4 Depth=1
	s_wait_alu 0xfffe
	s_or_b32 exec_lo, exec_lo, s18
	s_and_saveexec_b32 s18, s7
	s_cbranch_execnz .LBB117_135
.LBB117_48:                             ;   in Loop: Header=BB117_4 Depth=1
	s_wait_alu 0xfffe
	s_or_b32 exec_lo, exec_lo, s18
	s_and_saveexec_b32 s18, s8
	s_cbranch_execnz .LBB117_136
.LBB117_49:                             ;   in Loop: Header=BB117_4 Depth=1
	s_wait_alu 0xfffe
	s_or_b32 exec_lo, exec_lo, s18
	s_and_saveexec_b32 s18, s9
	s_cbranch_execz .LBB117_51
.LBB117_50:                             ;   in Loop: Header=BB117_4 Depth=1
	ds_load_b64 v[2:3], v177 offset:528
	s_wait_dscnt 0x0
	ds_store_b64 v107, v[2:3] offset:24
.LBB117_51:                             ;   in Loop: Header=BB117_4 Depth=1
	s_wait_alu 0xfffe
	s_or_b32 exec_lo, exec_lo, s18
	s_wait_loadcnt_dscnt 0x0
	s_barrier_signal -1
	s_barrier_wait -1
	global_inv scope:SCOPE_SE
	ds_load_b64 v[10:11], v176
	ds_load_b128 v[2:5], v109 offset:256
	ds_load_2addr_b64 v[6:9], v177 offset1:33
	ds_load_b128 v[14:17], v109 offset:272
	ds_load_b64 v[18:19], v177 offset:528
	s_wait_loadcnt_dscnt 0x0
	s_barrier_signal -1
	s_barrier_wait -1
	global_inv scope:SCOPE_SE
	v_mul_f32_e32 v20, v3, v11
	v_dual_mul_f32 v11, v2, v11 :: v_dual_mul_f32 v22, v15, v9
	v_mul_f32_e32 v9, v14, v9
	s_delay_alu instid0(VALU_DEP_3) | instskip(SKIP_1) | instid1(VALU_DEP_4)
	v_fma_f32 v2, v2, v10, -v20
	v_mul_f32_e32 v21, v5, v7
	v_fmac_f32_e32 v11, v3, v10
	s_delay_alu instid0(VALU_DEP_4) | instskip(SKIP_3) | instid1(VALU_DEP_1)
	v_fmac_f32_e32 v9, v15, v8
	v_fma_f32 v10, v14, v8, -v22
	v_dual_add_f32 v2, 0, v2 :: v_dual_mul_f32 v7, v4, v7
	v_fma_f32 v4, v4, v6, -v21
	v_dual_add_f32 v2, v2, v4 :: v_dual_fmac_f32 v7, v5, v6
	v_mul_f32_e32 v6, v16, v19
	v_add_f32_e32 v5, 0, v11
	s_delay_alu instid0(VALU_DEP_3) | instskip(NEXT) | instid1(VALU_DEP_3)
	v_dual_mul_f32 v3, v17, v19 :: v_dual_add_f32 v2, v2, v10
	v_fmac_f32_e32 v6, v17, v18
	s_delay_alu instid0(VALU_DEP_3) | instskip(NEXT) | instid1(VALU_DEP_3)
	v_add_f32_e32 v4, v5, v7
	v_fma_f32 v3, v16, v18, -v3
	s_delay_alu instid0(VALU_DEP_2) | instskip(NEXT) | instid1(VALU_DEP_1)
	v_add_f32_e32 v4, v4, v9
	v_dual_add_f32 v2, v2, v3 :: v_dual_add_f32 v3, v4, v6
	ds_store_b64 v110, v[2:3]
	s_wait_loadcnt_dscnt 0x0
	s_barrier_signal -1
	s_barrier_wait -1
	global_inv scope:SCOPE_SE
	s_and_saveexec_b32 s18, s16
	s_cbranch_execz .LBB117_53
; %bb.52:                               ;   in Loop: Header=BB117_4 Depth=1
	ds_load_2addr_b64 v[2:5], v108 offset1:7
	ds_load_2addr_b64 v[6:9], v108 offset0:1 offset1:2
	ds_load_2addr_b64 v[14:17], v108 offset0:3 offset1:4
	;; [unrolled: 1-line block ×3, first 2 shown]
	s_wait_dscnt 0x2
	v_dual_add_f32 v2, v6, v2 :: v_dual_add_f32 v3, v7, v3
	s_delay_alu instid0(VALU_DEP_1) | instskip(SKIP_1) | instid1(VALU_DEP_1)
	v_dual_add_f32 v2, v8, v2 :: v_dual_add_f32 v3, v9, v3
	s_wait_dscnt 0x1
	v_dual_add_f32 v2, v2, v14 :: v_dual_add_f32 v3, v3, v15
	s_delay_alu instid0(VALU_DEP_1) | instskip(SKIP_1) | instid1(VALU_DEP_1)
	v_dual_add_f32 v2, v2, v16 :: v_dual_add_f32 v3, v3, v17
	s_wait_dscnt 0x0
	v_dual_add_f32 v2, v2, v18 :: v_dual_add_f32 v3, v3, v19
	s_delay_alu instid0(VALU_DEP_1) | instskip(NEXT) | instid1(VALU_DEP_1)
	v_dual_add_f32 v2, v2, v20 :: v_dual_add_f32 v3, v3, v21
	v_dual_add_f32 v65, v2, v4 :: v_dual_add_f32 v66, v3, v5
.LBB117_53:                             ;   in Loop: Header=BB117_4 Depth=1
	s_wait_alu 0xfffe
	s_or_b32 exec_lo, exec_lo, s18
	v_add_co_u32 v2, vcc_lo, 0xffffff00, v0
	s_wait_alu 0xfffd
	v_add_co_ci_u32_e64 v3, null, -1, v1, vcc_lo
	s_and_b32 vcc_lo, exec_lo, s56
	s_mov_b32 s18, -1
	s_wait_loadcnt 0x0
	s_barrier_signal -1
	s_barrier_wait -1
	global_inv scope:SCOPE_SE
                                        ; implicit-def: $vgpr14_vgpr15
	s_wait_alu 0xfffe
	s_cbranch_vccz .LBB117_65
; %bb.54:                               ;   in Loop: Header=BB117_4 Depth=1
	s_and_saveexec_b32 s18, s12
	s_wait_alu 0xfffe
	s_xor_b32 s18, exec_lo, s18
; %bb.55:                               ;   in Loop: Header=BB117_4 Depth=1
	v_mov_b32_e32 v58, v57
	ds_store_b64 v175, v[57:58]
; %bb.56:                               ;   in Loop: Header=BB117_4 Depth=1
	s_wait_alu 0xfffe
	s_or_saveexec_b32 s18, s18
	v_add_co_u32 v4, vcc_lo, v0, v61
	s_wait_alu 0xfffd
	v_add_co_ci_u32_e64 v5, null, v1, v62, vcc_lo
	s_lshl_b64 s[52:53], s[22:23], 3
	s_wait_alu 0xfffe
	v_add_co_u32 v4, vcc_lo, v4, s52
	s_wait_alu 0xfffd
	v_add_co_ci_u32_e64 v5, null, s53, v5, vcc_lo
	s_delay_alu instid0(VALU_DEP_2) | instskip(SKIP_1) | instid1(VALU_DEP_2)
	v_add_co_u32 v4, vcc_lo, 0xfffffef8, v4
	s_wait_alu 0xfffd
	v_add_co_ci_u32_e64 v5, null, -1, v5, vcc_lo
	s_delay_alu instid0(VALU_DEP_2) | instskip(NEXT) | instid1(VALU_DEP_2)
	v_cndmask_b32_e64 v4, v4, v2, s1
	v_cndmask_b32_e64 v5, v5, v3, s1
	s_xor_b32 exec_lo, exec_lo, s18
	s_cbranch_execnz .LBB117_149
; %bb.57:                               ;   in Loop: Header=BB117_4 Depth=1
	s_or_b32 exec_lo, exec_lo, s18
	s_and_saveexec_b32 s18, s13
	s_wait_alu 0xfffe
	s_xor_b32 s18, exec_lo, s18
	s_cbranch_execnz .LBB117_150
.LBB117_58:                             ;   in Loop: Header=BB117_4 Depth=1
	s_wait_alu 0xfffe
	s_and_not1_saveexec_b32 s18, s18
	s_cbranch_execnz .LBB117_151
.LBB117_59:                             ;   in Loop: Header=BB117_4 Depth=1
	s_wait_alu 0xfffe
	s_or_b32 exec_lo, exec_lo, s18
	s_and_saveexec_b32 s18, s14
	s_wait_alu 0xfffe
	s_xor_b32 s18, exec_lo, s18
	s_cbranch_execnz .LBB117_152
.LBB117_60:                             ;   in Loop: Header=BB117_4 Depth=1
	s_wait_alu 0xfffe
	s_and_not1_saveexec_b32 s18, s18
	s_cbranch_execnz .LBB117_153
.LBB117_61:                             ;   in Loop: Header=BB117_4 Depth=1
	s_wait_alu 0xfffe
	s_or_b32 exec_lo, exec_lo, s18
	s_and_saveexec_b32 s18, s15
	s_wait_alu 0xfffe
	s_xor_b32 s18, exec_lo, s18
	s_cbranch_execnz .LBB117_154
.LBB117_62:                             ;   in Loop: Header=BB117_4 Depth=1
	s_wait_alu 0xfffe
	s_and_not1_saveexec_b32 s18, s18
	s_cbranch_execz .LBB117_64
.LBB117_63:                             ;   in Loop: Header=BB117_4 Depth=1
	s_lshl_b64 s[52:53], s[38:39], 3
	s_wait_alu 0xfffe
	v_add_co_u32 v6, vcc_lo, v4, s52
	s_wait_alu 0xfffd
	v_add_co_ci_u32_e64 v7, null, s53, v5, vcc_lo
	global_load_b64 v[6:7], v[6:7], off
	s_wait_loadcnt 0x0
	ds_store_b64 v175, v[6:7] offset:6336
.LBB117_64:                             ;   in Loop: Header=BB117_4 Depth=1
	s_wait_alu 0xfffe
	s_or_b32 exec_lo, exec_lo, s18
	v_add_co_u32 v4, vcc_lo, v4, v180
	s_wait_alu 0xfffd
	v_add_co_ci_u32_e64 v5, null, 0, v5, vcc_lo
	s_lshl_b64 s[52:53], s[40:41], 3
	s_mov_b32 s18, 0
	s_wait_alu 0xfffe
	v_add_co_u32 v4, vcc_lo, v4, s52
	s_wait_alu 0xfffd
	v_add_co_ci_u32_e64 v5, null, s53, v5, vcc_lo
	s_delay_alu instid0(VALU_DEP_2) | instskip(SKIP_1) | instid1(VALU_DEP_2)
	v_add_co_u32 v4, vcc_lo, v4, 8
	s_wait_alu 0xfffd
	v_add_co_ci_u32_e64 v5, null, 0, v5, vcc_lo
	s_delay_alu instid0(VALU_DEP_2) | instskip(NEXT) | instid1(VALU_DEP_2)
	v_cndmask_b32_e64 v14, v4, v2, s1
	v_cndmask_b32_e64 v15, v5, v3, s1
.LBB117_65:                             ;   in Loop: Header=BB117_4 Depth=1
	s_and_b32 vcc_lo, exec_lo, s18
	s_wait_alu 0xfffe
	s_cbranch_vccz .LBB117_67
; %bb.66:                               ;   in Loop: Header=BB117_4 Depth=1
	s_lshl_b64 s[52:53], s[36:37], 3
	v_dual_mov_b32 v15, v3 :: v_dual_mov_b32 v14, v2
	s_wait_alu 0xfffe
	v_add_co_u32 v4, vcc_lo, v0, s52
	s_wait_alu 0xfffd
	v_add_co_ci_u32_e64 v5, null, s53, v1, vcc_lo
	s_delay_alu instid0(VALU_DEP_2) | instskip(SKIP_1) | instid1(VALU_DEP_2)
	v_add_co_u32 v6, vcc_lo, v4, s42
	s_wait_alu 0xfffd
	v_add_co_ci_u32_e64 v7, null, s43, v5, vcc_lo
	s_delay_alu instid0(VALU_DEP_2) | instskip(SKIP_1) | instid1(VALU_DEP_2)
	v_add_co_u32 v8, vcc_lo, v6, s42
	s_wait_alu 0xfffd
	v_add_co_ci_u32_e64 v9, null, s43, v7, vcc_lo
	s_clause 0x3
	global_load_b64 v[0:1], v[0:1], off offset:-256
	global_load_b64 v[4:5], v[4:5], off offset:-256
	;; [unrolled: 1-line block ×4, first 2 shown]
	s_wait_loadcnt 0x3
	ds_store_b64 v175, v[0:1]
	s_wait_loadcnt 0x2
	ds_store_b64 v175, v[4:5] offset:2112
	s_wait_loadcnt 0x1
	ds_store_b64 v175, v[6:7] offset:4224
	;; [unrolled: 2-line block ×3, first 2 shown]
.LBB117_67:                             ;   in Loop: Header=BB117_4 Depth=1
	v_add_nc_u32_e32 v0, v107, v112
	v_add_nc_u32_e32 v1, v109, v112
	s_wait_loadcnt_dscnt 0x0
	s_barrier_signal -1
	s_barrier_wait -1
	global_inv scope:SCOPE_SE
	ds_load_2addr_b64 v[20:23], v110 offset0:8 offset1:16
	ds_load_2addr_b64 v[24:27], v135 offset0:8 offset1:16
	ds_load_b64 v[28:29], v0
	ds_load_b64 v[30:31], v1
	ds_load_b64 v[32:33], v110 offset:192
	ds_load_b64 v[34:35], v135 offset:192
	ds_load_b128 v[8:11], v109 offset:256
	ds_load_b128 v[0:3], v109 offset:272
	ds_load_2addr_b64 v[4:7], v177 offset1:33
	ds_load_b64 v[18:19], v176
	ds_load_b64 v[16:17], v177 offset:528
	s_wait_loadcnt_dscnt 0x0
	s_barrier_signal -1
	s_barrier_wait -1
	global_inv scope:SCOPE_SE
	v_mul_f32_e32 v38, v27, v23
	v_mul_f32_e32 v37, v31, v29
	;; [unrolled: 1-line block ×4, first 2 shown]
	s_delay_alu instid0(VALU_DEP_3) | instskip(NEXT) | instid1(VALU_DEP_3)
	v_fma_f32 v30, v30, v28, -v37
	v_dual_fmac_f32 v29, v31, v28 :: v_dual_mul_f32 v28, v34, v33
	v_mul_f32_e32 v21, v24, v21
	s_delay_alu instid0(VALU_DEP_4) | instskip(NEXT) | instid1(VALU_DEP_3)
	v_fma_f32 v24, v24, v20, -v36
	v_fmac_f32_e32 v28, v35, v32
	s_delay_alu instid0(VALU_DEP_3) | instskip(SKIP_1) | instid1(VALU_DEP_2)
	v_dual_fmac_f32 v21, v25, v20 :: v_dual_add_f32 v20, 0, v30
	v_mul_f32_e32 v39, v35, v33
	v_dual_add_f32 v25, 0, v29 :: v_dual_add_f32 v20, v20, v24
	v_mul_f32_e32 v23, v26, v23
	v_fma_f32 v26, v26, v22, -v38
	s_delay_alu instid0(VALU_DEP_1) | instskip(NEXT) | instid1(VALU_DEP_3)
	v_add_f32_e32 v20, v20, v26
	v_fmac_f32_e32 v23, v27, v22
	v_fma_f32 v22, v34, v32, -v39
	s_delay_alu instid0(VALU_DEP_1) | instskip(NEXT) | instid1(VALU_DEP_1)
	v_dual_add_f32 v20, v20, v22 :: v_dual_add_f32 v21, v25, v21
	v_add_f32_e32 v21, v21, v23
	s_delay_alu instid0(VALU_DEP_1)
	v_add_f32_e32 v21, v21, v28
	ds_store_b64 v110, v[20:21]
	s_wait_loadcnt_dscnt 0x0
	s_barrier_signal -1
	s_barrier_wait -1
	global_inv scope:SCOPE_SE
	s_and_saveexec_b32 s18, s16
	s_cbranch_execz .LBB117_69
; %bb.68:                               ;   in Loop: Header=BB117_4 Depth=1
	ds_load_2addr_b64 v[20:23], v108 offset1:1
	ds_load_2addr_b64 v[24:27], v108 offset0:2 offset1:3
	ds_load_2addr_b64 v[28:31], v108 offset0:4 offset1:5
	s_wait_dscnt 0x2
	v_dual_add_f32 v20, v65, v20 :: v_dual_add_f32 v21, v66, v21
	s_delay_alu instid0(VALU_DEP_1) | instskip(SKIP_3) | instid1(VALU_DEP_1)
	v_dual_add_f32 v32, v20, v22 :: v_dual_add_f32 v33, v21, v23
	ds_load_2addr_b64 v[20:23], v108 offset0:6 offset1:7
	s_wait_dscnt 0x2
	v_dual_add_f32 v24, v32, v24 :: v_dual_add_f32 v25, v33, v25
	v_dual_add_f32 v24, v24, v26 :: v_dual_add_f32 v25, v25, v27
	s_wait_dscnt 0x1
	s_delay_alu instid0(VALU_DEP_1) | instskip(NEXT) | instid1(VALU_DEP_1)
	v_dual_add_f32 v24, v24, v28 :: v_dual_add_f32 v25, v25, v29
	v_dual_add_f32 v24, v24, v30 :: v_dual_add_f32 v25, v25, v31
	s_wait_dscnt 0x0
	s_delay_alu instid0(VALU_DEP_1) | instskip(NEXT) | instid1(VALU_DEP_1)
	v_dual_add_f32 v20, v24, v20 :: v_dual_add_f32 v21, v25, v21
	v_dual_add_f32 v65, v20, v22 :: v_dual_add_f32 v66, v21, v23
.LBB117_69:                             ;   in Loop: Header=BB117_4 Depth=1
	s_wait_alu 0xfffe
	s_or_b32 exec_lo, exec_lo, s18
	v_dual_mul_f32 v20, v9, v19 :: v_dual_mul_f32 v21, v11, v5
	v_mul_f32_e32 v19, v8, v19
	v_dual_mul_f32 v5, v10, v5 :: v_dual_mul_f32 v22, v1, v7
	s_delay_alu instid0(VALU_DEP_3) | instskip(NEXT) | instid1(VALU_DEP_4)
	v_fma_f32 v8, v8, v18, -v20
	v_fma_f32 v10, v10, v4, -v21
	v_mul_f32_e32 v7, v0, v7
	s_wait_loadcnt 0x0
	v_fma_f32 v0, v0, v6, -v22
	v_add_f32_e32 v8, 0, v8
	v_fmac_f32_e32 v5, v11, v4
	v_fmac_f32_e32 v7, v1, v6
	s_barrier_signal -1
	s_barrier_wait -1
	v_add_f32_e32 v8, v8, v10
	v_fmac_f32_e32 v19, v9, v18
	global_inv scope:SCOPE_SE
	v_dual_add_f32 v0, v8, v0 :: v_dual_mul_f32 v9, v3, v17
	v_dual_add_f32 v4, 0, v19 :: v_dual_mul_f32 v11, v2, v17
	s_delay_alu instid0(VALU_DEP_2) | instskip(NEXT) | instid1(VALU_DEP_2)
	v_fma_f32 v2, v2, v16, -v9
	v_add_f32_e32 v1, v4, v5
	s_delay_alu instid0(VALU_DEP_2) | instskip(NEXT) | instid1(VALU_DEP_2)
	v_dual_add_f32 v0, v0, v2 :: v_dual_fmac_f32 v11, v3, v16
	v_add_f32_e32 v1, v1, v7
	s_delay_alu instid0(VALU_DEP_1)
	v_add_f32_e32 v1, v1, v11
	ds_store_b64 v110, v[0:1]
	s_wait_loadcnt_dscnt 0x0
	s_barrier_signal -1
	s_barrier_wait -1
	global_inv scope:SCOPE_SE
	s_and_saveexec_b32 s18, s10
	s_cbranch_execz .LBB117_71
; %bb.70:                               ;   in Loop: Header=BB117_4 Depth=1
	ds_load_2addr_b64 v[0:3], v108 offset1:1
	ds_load_2addr_b64 v[4:7], v108 offset0:2 offset1:3
	ds_load_2addr_b64 v[8:11], v108 offset0:4 offset1:5
	s_wait_dscnt 0x2
	v_dual_add_f32 v0, v65, v0 :: v_dual_add_f32 v1, v66, v1
	s_delay_alu instid0(VALU_DEP_1) | instskip(SKIP_3) | instid1(VALU_DEP_1)
	v_dual_add_f32 v16, v0, v2 :: v_dual_add_f32 v17, v1, v3
	ds_load_2addr_b64 v[0:3], v108 offset0:6 offset1:7
	s_wait_dscnt 0x2
	v_dual_add_f32 v4, v16, v4 :: v_dual_add_f32 v5, v17, v5
	v_dual_add_f32 v4, v4, v6 :: v_dual_add_f32 v5, v5, v7
	s_wait_dscnt 0x1
	s_delay_alu instid0(VALU_DEP_1) | instskip(NEXT) | instid1(VALU_DEP_1)
	v_dual_add_f32 v4, v4, v8 :: v_dual_add_f32 v5, v5, v9
	v_dual_add_f32 v4, v4, v10 :: v_dual_add_f32 v5, v5, v11
	s_wait_dscnt 0x0
	s_delay_alu instid0(VALU_DEP_1) | instskip(NEXT) | instid1(VALU_DEP_1)
	v_dual_add_f32 v0, v4, v0 :: v_dual_add_f32 v1, v5, v1
	v_dual_add_f32 v65, v0, v2 :: v_dual_add_f32 v66, v1, v3
.LBB117_71:                             ;   in Loop: Header=BB117_4 Depth=1
	s_wait_alu 0xfffe
	s_or_b32 exec_lo, exec_lo, s18
	s_mul_u64 s[52:53], s[26:27], s[28:29]
	s_and_not1_b32 vcc_lo, exec_lo, s31
	s_wait_alu 0xfffe
	s_lshl_b64 s[52:53], s[52:53], 3
	s_wait_loadcnt 0x0
	s_wait_alu 0xfffe
	s_add_nc_u64 s[52:53], s[34:35], s[52:53]
	s_barrier_signal -1
	s_barrier_wait -1
	global_inv scope:SCOPE_SE
	s_cbranch_vccnz .LBB117_129
; %bb.72:                               ;   in Loop: Header=BB117_4 Depth=1
	v_add_co_u32 v183, vcc_lo, v12, s50
	s_wait_alu 0xfffd
	v_add_co_ci_u32_e64 v184, null, s51, v13, vcc_lo
	v_add_co_u32 v185, vcc_lo, v14, v139
	s_wait_alu 0xfffd
	v_add_co_ci_u32_e64 v186, null, v15, v140, vcc_lo
	;; [unrolled: 3-line block ×21, first 2 shown]
	v_mov_b32_e32 v67, v136
	s_mov_b32 s63, ttmp9
	s_mov_b32 s54, s62
	s_wait_alu 0xfffe
	s_cmp_eq_u32 s58, s63
	s_cselect_b32 s64, s33, 0
	s_and_saveexec_b32 s18, s0
	s_cbranch_execz .LBB117_77
.LBB117_73:                             ;   in Loop: Header=BB117_4 Depth=1
	s_wait_alu 0xfffe
	v_cmp_le_i32_e32 vcc_lo, s64, v56
	s_cmp_lg_u32 s64, 0
	s_cselect_b32 s55, -1, 0
	s_wait_alu 0xfffe
	s_and_b32 s55, s55, vcc_lo
	s_wait_alu 0xfffe
	s_and_saveexec_b32 s65, s55
	s_wait_alu 0xfffe
	s_xor_b32 s55, exec_lo, s65
; %bb.74:                               ;   in Loop: Header=BB117_4 Depth=1
	v_mov_b32_e32 v58, v57
	ds_store_b64 v113, v[57:58]
; %bb.75:                               ;   in Loop: Header=BB117_4 Depth=1
	s_wait_alu 0xfffe
	s_and_not1_saveexec_b32 s55, s55
	s_cbranch_execz .LBB117_77
; %bb.76:                               ;   in Loop: Header=BB117_4 Depth=1
	s_ashr_i32 s55, s54, 31
	s_wait_alu 0xfffe
	s_lshl_b64 s[66:67], s[54:55], 3
	s_wait_alu 0xfffe
	v_add_co_u32 v0, vcc_lo, v183, s66
	s_wait_alu 0xfffd
	v_add_co_ci_u32_e64 v1, null, s67, v184, vcc_lo
	global_load_b64 v[0:1], v[0:1], off
	s_wait_loadcnt 0x0
	ds_store_b64 v113, v[0:1]
.LBB117_77:                             ;   Parent Loop BB117_4 Depth=1
                                        ; =>  This Inner Loop Header: Depth=2
	s_wait_alu 0xfffe
	s_or_b32 exec_lo, exec_lo, s18
	s_cmp_eq_u32 s64, 0
	v_add_co_u32 v0, vcc_lo, v185, v137
	s_cselect_b32 s55, -1, 0
	s_cmp_lg_u32 s64, 0
	s_wait_alu 0xfffd
	v_add_co_ci_u32_e64 v1, null, v186, v138, vcc_lo
	s_cselect_b32 s18, -1, 0
	s_wait_loadcnt_dscnt 0x0
	s_wait_alu 0xfffe
	s_and_b32 vcc_lo, exec_lo, s18
	s_barrier_signal -1
	s_barrier_wait -1
	global_inv scope:SCOPE_SE
	s_wait_alu 0xfffe
	s_cbranch_vccz .LBB117_85
; %bb.78:                               ;   in Loop: Header=BB117_77 Depth=2
	v_mov_b32_e32 v69, 0
	v_dual_mov_b32 v70, 0 :: v_dual_mov_b32 v71, 0
	v_mov_b32_e32 v72, 0
	s_mov_b32 s65, exec_lo
	v_cmpx_gt_i32_e64 s64, v111
	s_cbranch_execz .LBB117_80
; %bb.79:                               ;   in Loop: Header=BB117_77 Depth=2
	global_load_b64 v[71:72], v[0:1], off
.LBB117_80:                             ;   in Loop: Header=BB117_77 Depth=2
	s_wait_alu 0xfffe
	s_or_b32 exec_lo, exec_lo, s65
	s_delay_alu instid0(SALU_CYCLE_1)
	s_mov_b32 s65, exec_lo
	v_cmpx_gt_i32_e64 s64, v119
	s_cbranch_execz .LBB117_82
; %bb.81:                               ;   in Loop: Header=BB117_77 Depth=2
	v_add_co_u32 v2, vcc_lo, v189, v137
	s_wait_alu 0xfffd
	v_add_co_ci_u32_e64 v3, null, v190, v138, vcc_lo
	global_load_b64 v[69:70], v[2:3], off
.LBB117_82:                             ;   in Loop: Header=BB117_77 Depth=2
	s_wait_alu 0xfffe
	s_or_b32 exec_lo, exec_lo, s65
	v_mov_b32_e32 v73, 0
	v_mov_b32_e32 v74, 0
	s_mov_b32 s65, exec_lo
	v_cmpx_gt_i32_e64 s64, v120
	s_cbranch_execz .LBB117_84
; %bb.83:                               ;   in Loop: Header=BB117_77 Depth=2
	v_add_co_u32 v2, vcc_lo, v191, v137
	s_wait_alu 0xfffd
	v_add_co_ci_u32_e64 v3, null, v192, v138, vcc_lo
	global_load_b64 v[73:74], v[2:3], off
.LBB117_84:                             ;   in Loop: Header=BB117_77 Depth=2
	s_wait_alu 0xfffe
	s_or_b32 exec_lo, exec_lo, s65
	v_cmp_gt_i32_e64 s65, s64, v121
	s_branch .LBB117_87
.LBB117_85:                             ;   in Loop: Header=BB117_77 Depth=2
	s_mov_b32 s65, 0
                                        ; implicit-def: $vgpr73_vgpr74
                                        ; implicit-def: $vgpr69_vgpr70
                                        ; implicit-def: $vgpr71_vgpr72
	s_cbranch_execz .LBB117_87
; %bb.86:                               ;   in Loop: Header=BB117_77 Depth=2
	v_add_co_u32 v2, vcc_lo, v189, v137
	s_wait_alu 0xfffd
	v_add_co_ci_u32_e64 v3, null, v190, v138, vcc_lo
	v_add_co_u32 v4, vcc_lo, v187, v137
	s_wait_alu 0xfffd
	v_add_co_ci_u32_e64 v5, null, v188, v138, vcc_lo
	s_wait_loadcnt 0x0
	global_load_b64 v[71:72], v[0:1], off
	global_load_b64 v[69:70], v[2:3], off
	;; [unrolled: 1-line block ×3, first 2 shown]
	s_wait_alu 0xfffe
	s_or_b32 s65, s65, exec_lo
.LBB117_87:                             ;   in Loop: Header=BB117_77 Depth=2
	v_mov_b32_e32 v75, 0
	v_mov_b32_e32 v76, 0
	s_wait_alu 0xfffe
	s_and_saveexec_b32 s66, s65
	s_cbranch_execz .LBB117_89
; %bb.88:                               ;   in Loop: Header=BB117_77 Depth=2
	v_add_co_u32 v0, vcc_lo, v193, v137
	s_wait_alu 0xfffd
	v_add_co_ci_u32_e64 v1, null, v194, v138, vcc_lo
	global_load_b64 v[75:76], v[0:1], off
.LBB117_89:                             ;   in Loop: Header=BB117_77 Depth=2
	s_wait_alu 0xfffe
	s_or_b32 exec_lo, exec_lo, s66
	ds_load_b64 v[4:5], v102
	ds_load_b128 v[0:3], v114
	v_cndmask_b32_e64 v40, 0, 1, s18
	s_wait_loadcnt_dscnt 0x1
	v_mul_f32_e32 v9, v5, v71
	v_mul_f32_e32 v7, v5, v70
	;; [unrolled: 1-line block ×4, first 2 shown]
	v_dual_mul_f32 v12, v5, v74 :: v_dual_mul_f32 v15, v4, v76
	v_mul_f32_e32 v13, v5, v73
	v_mul_f32_e32 v14, v5, v76
	v_fmac_f32_e32 v9, v4, v72
	v_fma_f32 v10, v4, v69, -v7
	v_fmac_f32_e32 v11, v4, v70
	v_fma_f32 v8, v4, v71, -v6
	v_fma_f32 v12, v4, v73, -v12
	v_fmac_f32_e32 v13, v4, v74
	v_fma_f32 v14, v4, v75, -v14
	v_fmac_f32_e32 v15, v5, v75
	ds_load_b128 v[4:7], v114 offset:16
	ds_store_2addr_b64 v115, v[8:9], v[10:11] offset1:67
	ds_store_2addr_b64 v115, v[12:13], v[14:15] offset0:134 offset1:201
	s_wait_dscnt 0x0
	s_barrier_signal -1
	s_barrier_wait -1
	global_inv scope:SCOPE_SE
	ds_load_2addr_b64 v[20:23], v116 offset1:1
	ds_load_2addr_b64 v[16:19], v116 offset0:2 offset1:3
	v_add_co_u32 v8, vcc_lo, v195, v137
	s_wait_alu 0xfffd
	v_add_co_ci_u32_e64 v9, null, v196, v138, vcc_lo
	s_and_not1_b32 vcc_lo, exec_lo, s18
	s_wait_loadcnt_dscnt 0x0
	s_barrier_signal -1
	s_barrier_wait -1
	global_inv scope:SCOPE_SE
	s_wait_alu 0xfffe
	s_cbranch_vccnz .LBB117_97
; %bb.90:                               ;   in Loop: Header=BB117_77 Depth=2
	v_mov_b32_e32 v77, 0
	v_dual_mov_b32 v78, 0 :: v_dual_mov_b32 v79, 0
	v_mov_b32_e32 v80, 0
	s_mov_b32 s18, exec_lo
	v_cmpx_gt_i32_e64 s64, v122
	s_cbranch_execz .LBB117_92
; %bb.91:                               ;   in Loop: Header=BB117_77 Depth=2
	global_load_b64 v[79:80], v[8:9], off
.LBB117_92:                             ;   in Loop: Header=BB117_77 Depth=2
	s_wait_alu 0xfffe
	s_or_b32 exec_lo, exec_lo, s18
	s_delay_alu instid0(SALU_CYCLE_1)
	s_mov_b32 s18, exec_lo
	v_cmpx_gt_i32_e64 s64, v123
	s_cbranch_execz .LBB117_94
; %bb.93:                               ;   in Loop: Header=BB117_77 Depth=2
	v_add_co_u32 v10, vcc_lo, v197, v137
	s_wait_alu 0xfffd
	v_add_co_ci_u32_e64 v11, null, v198, v138, vcc_lo
	global_load_b64 v[77:78], v[10:11], off
.LBB117_94:                             ;   in Loop: Header=BB117_77 Depth=2
	s_wait_alu 0xfffe
	s_or_b32 exec_lo, exec_lo, s18
	v_mov_b32_e32 v81, 0
	v_mov_b32_e32 v82, 0
	s_mov_b32 s18, exec_lo
	v_cmpx_gt_i32_e64 s64, v124
	s_cbranch_execz .LBB117_96
; %bb.95:                               ;   in Loop: Header=BB117_77 Depth=2
	v_add_co_u32 v10, vcc_lo, v199, v137
	s_wait_alu 0xfffd
	v_add_co_ci_u32_e64 v11, null, v200, v138, vcc_lo
	global_load_b64 v[81:82], v[10:11], off
.LBB117_96:                             ;   in Loop: Header=BB117_77 Depth=2
	s_wait_alu 0xfffe
	s_or_b32 exec_lo, exec_lo, s18
	v_cmp_gt_i32_e64 s18, s64, v125
	s_branch .LBB117_99
.LBB117_97:                             ;   in Loop: Header=BB117_77 Depth=2
	s_mov_b32 s18, 0
                                        ; implicit-def: $vgpr81_vgpr82
                                        ; implicit-def: $vgpr77_vgpr78
                                        ; implicit-def: $vgpr79_vgpr80
	s_cbranch_execz .LBB117_99
; %bb.98:                               ;   in Loop: Header=BB117_77 Depth=2
	v_add_co_u32 v10, vcc_lo, v197, v137
	s_wait_alu 0xfffd
	v_add_co_ci_u32_e64 v11, null, v198, v138, vcc_lo
	v_add_co_u32 v12, vcc_lo, v201, v137
	s_wait_alu 0xfffd
	v_add_co_ci_u32_e64 v13, null, v202, v138, vcc_lo
	s_wait_loadcnt 0x0
	global_load_b64 v[79:80], v[8:9], off
	global_load_b64 v[77:78], v[10:11], off
	;; [unrolled: 1-line block ×3, first 2 shown]
	s_wait_alu 0xfffe
	s_or_b32 s18, s18, exec_lo
.LBB117_99:                             ;   in Loop: Header=BB117_77 Depth=2
	v_mov_b32_e32 v83, 0
	v_mov_b32_e32 v84, 0
	s_wait_alu 0xfffe
	s_and_saveexec_b32 s65, s18
	s_cbranch_execz .LBB117_101
; %bb.100:                              ;   in Loop: Header=BB117_77 Depth=2
	v_add_co_u32 v8, vcc_lo, v203, v137
	s_wait_alu 0xfffd
	v_add_co_ci_u32_e64 v9, null, v204, v138, vcc_lo
	global_load_b64 v[83:84], v[8:9], off
.LBB117_101:                            ;   in Loop: Header=BB117_77 Depth=2
	s_wait_alu 0xfffe
	s_or_b32 exec_lo, exec_lo, s65
	ds_load_b64 v[12:13], v102
	ds_load_b128 v[8:11], v114 offset:128
	v_cmp_ne_u32_e32 vcc_lo, 1, v40
	s_and_b32 vcc_lo, exec_lo, vcc_lo
	s_wait_loadcnt_dscnt 0x1
	v_mul_f32_e32 v25, v13, v79
	v_mul_f32_e32 v15, v13, v78
	;; [unrolled: 1-line block ×4, first 2 shown]
	v_dual_mul_f32 v28, v13, v82 :: v_dual_mul_f32 v31, v12, v84
	v_mul_f32_e32 v29, v13, v81
	v_mul_f32_e32 v30, v13, v84
	v_fmac_f32_e32 v25, v12, v80
	v_fma_f32 v26, v12, v77, -v15
	v_fmac_f32_e32 v27, v12, v78
	v_fma_f32 v24, v12, v79, -v14
	v_fma_f32 v28, v12, v81, -v28
	v_fmac_f32_e32 v29, v12, v82
	v_fma_f32 v30, v12, v83, -v30
	v_fmac_f32_e32 v31, v13, v83
	ds_load_b128 v[12:15], v114 offset:144
	ds_store_2addr_b64 v115, v[24:25], v[26:27] offset1:67
	ds_store_2addr_b64 v115, v[28:29], v[30:31] offset0:134 offset1:201
	s_wait_dscnt 0x0
	s_barrier_signal -1
	s_barrier_wait -1
	global_inv scope:SCOPE_SE
	ds_load_2addr_b64 v[36:39], v116 offset1:1
	ds_load_2addr_b64 v[32:35], v116 offset0:2 offset1:3
	v_add_co_u32 v24, s18, v205, v137
	s_wait_alu 0xf1ff
	v_add_co_ci_u32_e64 v25, null, v206, v138, s18
	s_wait_loadcnt_dscnt 0x0
	s_barrier_signal -1
	s_barrier_wait -1
	global_inv scope:SCOPE_SE
	s_wait_alu 0xfffe
	s_cbranch_vccnz .LBB117_109
; %bb.102:                              ;   in Loop: Header=BB117_77 Depth=2
	v_mov_b32_e32 v85, 0
	v_dual_mov_b32 v86, 0 :: v_dual_mov_b32 v87, 0
	v_mov_b32_e32 v88, 0
	s_mov_b32 s18, exec_lo
	v_cmpx_gt_i32_e64 s64, v126
	s_cbranch_execz .LBB117_104
; %bb.103:                              ;   in Loop: Header=BB117_77 Depth=2
	global_load_b64 v[87:88], v[24:25], off
.LBB117_104:                            ;   in Loop: Header=BB117_77 Depth=2
	s_wait_alu 0xfffe
	s_or_b32 exec_lo, exec_lo, s18
	s_delay_alu instid0(SALU_CYCLE_1)
	s_mov_b32 s18, exec_lo
	v_cmpx_gt_i32_e64 s64, v127
	s_cbranch_execz .LBB117_106
; %bb.105:                              ;   in Loop: Header=BB117_77 Depth=2
	v_add_co_u32 v26, vcc_lo, v207, v137
	s_wait_alu 0xfffd
	v_add_co_ci_u32_e64 v27, null, v208, v138, vcc_lo
	global_load_b64 v[85:86], v[26:27], off
.LBB117_106:                            ;   in Loop: Header=BB117_77 Depth=2
	s_wait_alu 0xfffe
	s_or_b32 exec_lo, exec_lo, s18
	v_mov_b32_e32 v89, 0
	v_mov_b32_e32 v90, 0
	s_mov_b32 s18, exec_lo
	v_cmpx_gt_i32_e64 s64, v128
	s_cbranch_execz .LBB117_108
; %bb.107:                              ;   in Loop: Header=BB117_77 Depth=2
	v_add_co_u32 v26, vcc_lo, v209, v137
	s_wait_alu 0xfffd
	v_add_co_ci_u32_e64 v27, null, v210, v138, vcc_lo
	global_load_b64 v[89:90], v[26:27], off
.LBB117_108:                            ;   in Loop: Header=BB117_77 Depth=2
	s_wait_alu 0xfffe
	s_or_b32 exec_lo, exec_lo, s18
	v_cmp_gt_i32_e64 s18, s64, v129
	s_branch .LBB117_111
.LBB117_109:                            ;   in Loop: Header=BB117_77 Depth=2
	s_mov_b32 s18, 0
                                        ; implicit-def: $vgpr89_vgpr90
                                        ; implicit-def: $vgpr85_vgpr86
                                        ; implicit-def: $vgpr87_vgpr88
	s_cbranch_execz .LBB117_111
; %bb.110:                              ;   in Loop: Header=BB117_77 Depth=2
	v_add_co_u32 v26, vcc_lo, v207, v137
	s_wait_alu 0xfffd
	v_add_co_ci_u32_e64 v27, null, v208, v138, vcc_lo
	v_add_co_u32 v28, vcc_lo, v211, v137
	s_wait_alu 0xfffd
	v_add_co_ci_u32_e64 v29, null, v212, v138, vcc_lo
	s_wait_loadcnt 0x0
	global_load_b64 v[87:88], v[24:25], off
	global_load_b64 v[85:86], v[26:27], off
	;; [unrolled: 1-line block ×3, first 2 shown]
	s_wait_alu 0xfffe
	s_or_b32 s18, s18, exec_lo
.LBB117_111:                            ;   in Loop: Header=BB117_77 Depth=2
	v_mov_b32_e32 v91, 0
	v_mov_b32_e32 v92, 0
	s_wait_alu 0xfffe
	s_and_saveexec_b32 s65, s18
	s_cbranch_execz .LBB117_113
; %bb.112:                              ;   in Loop: Header=BB117_77 Depth=2
	v_add_co_u32 v24, vcc_lo, v213, v137
	s_wait_alu 0xfffd
	v_add_co_ci_u32_e64 v25, null, v214, v138, vcc_lo
	global_load_b64 v[91:92], v[24:25], off
.LBB117_113:                            ;   in Loop: Header=BB117_77 Depth=2
	s_wait_alu 0xfffe
	s_or_b32 exec_lo, exec_lo, s65
	ds_load_b64 v[28:29], v102
	ds_load_b128 v[24:27], v114 offset:256
	v_cmp_ne_u32_e32 vcc_lo, 1, v40
	v_add_co_u32 v40, s18, v215, v137
	s_and_b32 vcc_lo, exec_lo, vcc_lo
	s_wait_loadcnt_dscnt 0x1
	v_mul_f32_e32 v30, v29, v88
	v_mul_f32_e32 v42, v29, v87
	v_dual_mul_f32 v31, v29, v86 :: v_dual_mul_f32 v48, v28, v92
	v_mul_f32_e32 v44, v29, v85
	s_delay_alu instid0(VALU_DEP_3) | instskip(SKIP_1) | instid1(VALU_DEP_3)
	v_dual_mul_f32 v45, v29, v90 :: v_dual_fmac_f32 v42, v28, v88
	v_mul_f32_e32 v46, v29, v89
	v_dual_mul_f32 v47, v29, v92 :: v_dual_fmac_f32 v44, v28, v86
	v_fma_f32 v41, v28, v87, -v30
	v_fma_f32 v43, v28, v85, -v31
	;; [unrolled: 1-line block ×3, first 2 shown]
	v_fmac_f32_e32 v46, v28, v90
	v_fma_f32 v47, v28, v91, -v47
	v_fmac_f32_e32 v48, v29, v91
	ds_load_b128 v[28:31], v114 offset:272
	ds_store_2addr_b64 v115, v[41:42], v[43:44] offset1:67
	ds_store_2addr_b64 v115, v[45:46], v[47:48] offset0:134 offset1:201
	s_wait_dscnt 0x0
	s_barrier_signal -1
	s_barrier_wait -1
	global_inv scope:SCOPE_SE
	ds_load_2addr_b64 v[52:55], v116 offset1:1
	ds_load_2addr_b64 v[48:51], v116 offset0:2 offset1:3
	s_wait_alu 0xf1ff
	v_add_co_ci_u32_e64 v41, null, v216, v138, s18
	s_wait_loadcnt_dscnt 0x0
	s_barrier_signal -1
	s_barrier_wait -1
	global_inv scope:SCOPE_SE
	s_wait_alu 0xfffe
	s_cbranch_vccnz .LBB117_121
; %bb.114:                              ;   in Loop: Header=BB117_77 Depth=2
	v_mov_b32_e32 v93, 0
	v_dual_mov_b32 v94, 0 :: v_dual_mov_b32 v95, 0
	v_mov_b32_e32 v96, 0
	s_mov_b32 s18, exec_lo
	v_cmpx_gt_i32_e64 s64, v130
	s_cbranch_execz .LBB117_116
; %bb.115:                              ;   in Loop: Header=BB117_77 Depth=2
	global_load_b64 v[95:96], v[40:41], off
.LBB117_116:                            ;   in Loop: Header=BB117_77 Depth=2
	s_wait_alu 0xfffe
	s_or_b32 exec_lo, exec_lo, s18
	s_delay_alu instid0(SALU_CYCLE_1)
	s_mov_b32 s18, exec_lo
	v_cmpx_gt_i32_e64 s64, v131
	s_cbranch_execz .LBB117_118
; %bb.117:                              ;   in Loop: Header=BB117_77 Depth=2
	v_add_co_u32 v42, vcc_lo, v217, v137
	s_wait_alu 0xfffd
	v_add_co_ci_u32_e64 v43, null, v218, v138, vcc_lo
	global_load_b64 v[93:94], v[42:43], off
.LBB117_118:                            ;   in Loop: Header=BB117_77 Depth=2
	s_wait_alu 0xfffe
	s_or_b32 exec_lo, exec_lo, s18
	v_mov_b32_e32 v97, 0
	v_mov_b32_e32 v98, 0
	s_mov_b32 s18, exec_lo
	v_cmpx_gt_i32_e64 s64, v132
	s_cbranch_execz .LBB117_120
; %bb.119:                              ;   in Loop: Header=BB117_77 Depth=2
	v_add_co_u32 v42, vcc_lo, v219, v137
	s_wait_alu 0xfffd
	v_add_co_ci_u32_e64 v43, null, v220, v138, vcc_lo
	global_load_b64 v[97:98], v[42:43], off
.LBB117_120:                            ;   in Loop: Header=BB117_77 Depth=2
	s_wait_alu 0xfffe
	s_or_b32 exec_lo, exec_lo, s18
	v_cmp_gt_i32_e64 s18, s64, v133
	s_branch .LBB117_123
.LBB117_121:                            ;   in Loop: Header=BB117_77 Depth=2
	s_mov_b32 s18, 0
                                        ; implicit-def: $vgpr97_vgpr98
                                        ; implicit-def: $vgpr93_vgpr94
                                        ; implicit-def: $vgpr95_vgpr96
	s_cbranch_execz .LBB117_123
; %bb.122:                              ;   in Loop: Header=BB117_77 Depth=2
	v_add_co_u32 v42, vcc_lo, v217, v137
	s_wait_alu 0xfffd
	v_add_co_ci_u32_e64 v43, null, v218, v138, vcc_lo
	v_add_co_u32 v44, vcc_lo, v221, v137
	s_wait_alu 0xfffd
	v_add_co_ci_u32_e64 v45, null, v222, v138, vcc_lo
	s_wait_loadcnt 0x0
	global_load_b64 v[95:96], v[40:41], off
	global_load_b64 v[93:94], v[42:43], off
	;; [unrolled: 1-line block ×3, first 2 shown]
	s_wait_alu 0xfffe
	s_or_b32 s18, s18, exec_lo
.LBB117_123:                            ;   in Loop: Header=BB117_77 Depth=2
	v_mov_b32_e32 v99, 0
	v_mov_b32_e32 v100, 0
	s_wait_alu 0xfffe
	s_and_saveexec_b32 s65, s18
	s_cbranch_execz .LBB117_125
; %bb.124:                              ;   in Loop: Header=BB117_77 Depth=2
	v_add_co_u32 v40, vcc_lo, v223, v137
	s_wait_alu 0xfffd
	v_add_co_ci_u32_e64 v41, null, v224, v138, vcc_lo
	global_load_b64 v[99:100], v[40:41], off
.LBB117_125:                            ;   in Loop: Header=BB117_77 Depth=2
	s_wait_alu 0xfffe
	s_or_b32 exec_lo, exec_lo, s65
	ds_load_b64 v[44:45], v102
	ds_load_b128 v[40:43], v114 offset:384
	v_cmp_gt_i32_e32 vcc_lo, s64, v56
	v_add_f32_e32 v53, 0, v53
	v_add_f32_e32 v21, 0, v21
	;; [unrolled: 1-line block ×3, first 2 shown]
	s_or_b32 s18, s55, vcc_lo
	s_wait_alu 0xfffe
	s_and_b32 s55, s17, s18
	v_add_f32_e32 v21, v21, v23
	v_dual_add_f32 v37, v37, v39 :: v_dual_add_f32 v52, 0, v52
	s_delay_alu instid0(VALU_DEP_2) | instskip(NEXT) | instid1(VALU_DEP_2)
	v_dual_add_f32 v39, v21, v17 :: v_dual_add_f32 v20, 0, v20
	v_dual_add_f32 v33, v37, v33 :: v_dual_add_f32 v36, 0, v36
	s_wait_loadcnt_dscnt 0x1
	v_mul_f32_e32 v46, v45, v96
	v_mul_f32_e32 v68, v45, v100
	v_dual_mul_f32 v47, v45, v94 :: v_dual_mul_f32 v232, v44, v100
	v_mul_f32_e32 v228, v45, v93
	v_mul_f32_e32 v58, v45, v98
	s_delay_alu instid0(VALU_DEP_4)
	v_fma_f32 v231, v44, v99, -v68
	v_add_f32_e32 v68, v53, v55
	v_mul_f32_e32 v226, v45, v95
	v_fmac_f32_e32 v228, v44, v94
	v_fmac_f32_e32 v232, v45, v99
	v_fma_f32 v225, v44, v95, -v46
	v_add_f32_e32 v23, v68, v49
	v_mul_f32_e32 v230, v45, v97
	v_fmac_f32_e32 v226, v44, v96
	v_fma_f32 v227, v44, v93, -v47
	v_fma_f32 v229, v44, v97, -v58
	s_delay_alu instid0(VALU_DEP_4)
	v_dual_add_f32 v17, v23, v51 :: v_dual_fmac_f32 v230, v44, v98
	ds_load_b128 v[44:47], v114 offset:400
	ds_store_2addr_b64 v115, v[225:226], v[227:228] offset1:67
	ds_store_2addr_b64 v115, v[229:230], v[231:232] offset0:134 offset1:201
	s_wait_dscnt 0x0
	s_barrier_signal -1
	s_barrier_wait -1
	global_inv scope:SCOPE_SE
	ds_load_2addr_b64 v[225:228], v116 offset1:1
	v_add_f32_e32 v58, v52, v54
	ds_load_2addr_b64 v[52:55], v116 offset0:2 offset1:3
	v_dual_add_f32 v21, v33, v35 :: v_dual_add_f32 v36, v36, v38
	v_dual_add_f32 v19, v39, v19 :: v_dual_add_f32 v20, v20, v22
	v_add_f32_e32 v22, v58, v48
	s_wait_loadcnt_dscnt 0x0
	s_delay_alu instid0(VALU_DEP_3)
	v_add_f32_e32 v32, v36, v32
	s_barrier_signal -1
	v_add_f32_e32 v38, v20, v16
	v_add_f32_e32 v16, v22, v50
	s_barrier_wait -1
	v_add_f32_e32 v20, v32, v34
	global_inv scope:SCOPE_SE
	v_add_f32_e32 v18, v38, v18
	v_dual_add_f32 v36, 0, v225 :: v_dual_add_f32 v37, 0, v226
	s_delay_alu instid0(VALU_DEP_1) | instskip(NEXT) | instid1(VALU_DEP_2)
	v_add_f32_e32 v22, v36, v227
	v_add_f32_e32 v36, v37, v228
	s_delay_alu instid0(VALU_DEP_1) | instskip(NEXT) | instid1(VALU_DEP_1)
	v_dual_add_f32 v22, v22, v52 :: v_dual_add_f32 v23, v36, v53
	v_dual_add_f32 v22, v22, v54 :: v_dual_add_f32 v23, v23, v55
	ds_store_2addr_b64 v182, v[18:19], v[20:21] offset1:16
	ds_store_2addr_b64 v182, v[16:17], v[22:23] offset0:32 offset1:48
	s_wait_loadcnt_dscnt 0x0
	s_barrier_signal -1
	s_barrier_wait -1
	global_inv scope:SCOPE_SE
	s_wait_alu 0xfffe
	s_and_saveexec_b32 s18, s55
	s_cbranch_execz .LBB117_127
; %bb.126:                              ;   in Loop: Header=BB117_77 Depth=2
	ds_load_b64 v[36:37], v117
	ds_load_2addr_b64 v[16:19], v117 offset0:1 offset1:2
	ds_load_2addr_b64 v[20:23], v117 offset0:3 offset1:4
	;; [unrolled: 1-line block ×3, first 2 shown]
	v_ashrrev_i32_e32 v68, 31, v67
	s_wait_dscnt 0x2
	v_dual_add_f32 v16, v16, v36 :: v_dual_add_f32 v17, v17, v37
	s_delay_alu instid0(VALU_DEP_1) | instskip(SKIP_3) | instid1(VALU_DEP_1)
	v_dual_add_f32 v36, v18, v16 :: v_dual_add_f32 v37, v19, v17
	ds_load_2addr_b64 v[16:19], v117 offset0:7 offset1:8
	s_wait_dscnt 0x2
	v_dual_add_f32 v20, v36, v20 :: v_dual_add_f32 v21, v37, v21
	v_dual_add_f32 v36, v20, v22 :: v_dual_add_f32 v37, v21, v23
	ds_load_2addr_b64 v[20:23], v117 offset0:9 offset1:10
	s_wait_dscnt 0x2
	v_dual_add_f32 v32, v36, v32 :: v_dual_add_f32 v33, v37, v33
	s_delay_alu instid0(VALU_DEP_1) | instskip(SKIP_3) | instid1(VALU_DEP_1)
	v_dual_add_f32 v36, v32, v34 :: v_dual_add_f32 v37, v33, v35
	ds_load_2addr_b64 v[32:35], v117 offset0:11 offset1:12
	s_wait_dscnt 0x2
	v_dual_add_f32 v16, v36, v16 :: v_dual_add_f32 v17, v37, v17
	v_dual_add_f32 v36, v16, v18 :: v_dual_add_f32 v37, v17, v19
	ds_load_2addr_b64 v[16:19], v117 offset0:13 offset1:14
	s_wait_dscnt 0x2
	v_dual_add_f32 v20, v36, v20 :: v_dual_add_f32 v21, v37, v21
	s_delay_alu instid0(VALU_DEP_1) | instskip(SKIP_3) | instid1(VALU_DEP_1)
	v_dual_add_f32 v22, v20, v22 :: v_dual_add_f32 v23, v21, v23
	ds_load_b64 v[20:21], v118
	s_wait_dscnt 0x2
	v_dual_add_f32 v22, v22, v32 :: v_dual_add_f32 v23, v23, v33
	v_dual_add_f32 v22, v22, v34 :: v_dual_add_f32 v23, v23, v35
	s_wait_dscnt 0x1
	s_delay_alu instid0(VALU_DEP_1) | instskip(NEXT) | instid1(VALU_DEP_1)
	v_dual_add_f32 v16, v22, v16 :: v_dual_add_f32 v17, v23, v17
	v_dual_add_f32 v18, v16, v18 :: v_dual_add_f32 v19, v17, v19
	v_lshlrev_b64_e32 v[16:17], 3, v[67:68]
	s_wait_dscnt 0x0
	s_delay_alu instid0(VALU_DEP_2) | instskip(NEXT) | instid1(VALU_DEP_2)
	v_dual_add_f32 v18, v18, v20 :: v_dual_add_f32 v19, v19, v21
	v_add_co_u32 v16, vcc_lo, s52, v16
	s_wait_alu 0xfffd
	s_delay_alu instid0(VALU_DEP_3)
	v_add_co_ci_u32_e64 v17, null, s53, v17, vcc_lo
	global_store_b64 v[16:17], v[18:19], off
.LBB117_127:                            ;   in Loop: Header=BB117_77 Depth=2
	s_wait_alu 0xfffe
	s_or_b32 exec_lo, exec_lo, s18
	v_dual_mul_f32 v16, v1, v72 :: v_dual_mul_f32 v17, v3, v70
	v_dual_mul_f32 v3, v3, v69 :: v_dual_mul_f32 v18, v5, v74
	v_add_co_u32 v185, vcc_lo, v185, s48
	s_delay_alu instid0(VALU_DEP_3) | instskip(NEXT) | instid1(VALU_DEP_4)
	v_fma_f32 v16, v0, v71, -v16
	v_fma_f32 v17, v2, v69, -v17
	s_delay_alu instid0(VALU_DEP_4)
	v_fmac_f32_e32 v3, v2, v70
	s_wait_alu 0xfffd
	v_add_co_ci_u32_e64 v186, null, s49, v186, vcc_lo
	v_add_f32_e32 v16, v65, v16
	v_mul_f32_e32 v1, v1, v71
	v_add_co_u32 v187, vcc_lo, v187, s48
	s_wait_alu 0xfffd
	v_add_co_ci_u32_e64 v188, null, s49, v188, vcc_lo
	v_add_f32_e32 v16, v16, v17
	v_fmac_f32_e32 v1, v0, v72
	v_fma_f32 v0, v4, v73, -v18
	v_mul_f32_e32 v5, v5, v73
	v_dual_mul_f32 v20, v9, v80 :: v_dual_mul_f32 v17, v11, v78
	v_add_co_u32 v189, vcc_lo, v189, s48
	s_delay_alu instid0(VALU_DEP_4)
	v_add_f32_e32 v0, v16, v0
	v_mul_f32_e32 v19, v7, v76
	v_mul_f32_e32 v7, v7, v75
	v_fmac_f32_e32 v5, v4, v74
	v_fma_f32 v4, v10, v77, -v17
	s_wait_alu 0xfffd
	v_add_co_ci_u32_e64 v190, null, s49, v190, vcc_lo
	v_fma_f32 v2, v6, v75, -v19
	v_add_co_u32 v191, vcc_lo, v191, s48
	s_wait_alu 0xfffd
	v_add_co_ci_u32_e64 v192, null, s49, v192, vcc_lo
	s_delay_alu instid0(VALU_DEP_3) | instskip(SKIP_4) | instid1(VALU_DEP_3)
	v_add_f32_e32 v0, v0, v2
	v_dual_mul_f32 v2, v13, v82 :: v_dual_add_f32 v1, v66, v1
	v_add_co_u32 v193, vcc_lo, v193, s48
	s_wait_alu 0xfffd
	v_add_co_ci_u32_e64 v194, null, s49, v194, vcc_lo
	v_add_f32_e32 v1, v1, v3
	v_fma_f32 v3, v8, v79, -v20
	v_fma_f32 v2, v12, v81, -v2
	v_add_co_u32 v195, vcc_lo, v195, s48
	s_wait_alu 0xfffd
	v_add_co_ci_u32_e64 v196, null, s49, v196, vcc_lo
	v_add_f32_e32 v0, v0, v3
	v_mul_f32_e32 v9, v9, v79
	v_mul_f32_e32 v3, v15, v84
	v_add_co_u32 v197, vcc_lo, v197, s48
	s_delay_alu instid0(VALU_DEP_4) | instskip(SKIP_1) | instid1(VALU_DEP_4)
	v_dual_add_f32 v0, v0, v4 :: v_dual_mul_f32 v11, v11, v77
	v_mul_f32_e32 v4, v13, v81
	v_fma_f32 v3, v14, v83, -v3
	v_fmac_f32_e32 v9, v8, v80
	s_delay_alu instid0(VALU_DEP_4) | instskip(SKIP_2) | instid1(VALU_DEP_3)
	v_add_f32_e32 v0, v0, v2
	v_mul_f32_e32 v2, v25, v88
	v_dual_fmac_f32 v7, v6, v76 :: v_dual_fmac_f32 v4, v12, v82
	v_dual_fmac_f32 v11, v10, v78 :: v_dual_add_f32 v0, v0, v3
	s_delay_alu instid0(VALU_DEP_3) | instskip(SKIP_3) | instid1(VALU_DEP_4)
	v_fma_f32 v2, v24, v87, -v2
	v_add_f32_e32 v1, v1, v5
	v_mul_f32_e32 v3, v27, v86
	v_mul_f32_e32 v6, v47, v99
	v_dual_mul_f32 v5, v15, v83 :: v_dual_add_f32 v0, v0, v2
	s_delay_alu instid0(VALU_DEP_4) | instskip(NEXT) | instid1(VALU_DEP_4)
	v_add_f32_e32 v1, v1, v7
	v_fma_f32 v2, v26, v85, -v3
	v_mul_f32_e32 v3, v29, v90
	s_wait_alu 0xfffd
	v_add_co_ci_u32_e64 v198, null, s49, v198, vcc_lo
	s_delay_alu instid0(VALU_DEP_3) | instskip(NEXT) | instid1(VALU_DEP_3)
	v_dual_add_f32 v1, v1, v9 :: v_dual_add_f32 v0, v0, v2
	v_fma_f32 v2, v28, v89, -v3
	v_mul_f32_e32 v3, v31, v92
	v_add_co_u32 v199, vcc_lo, v199, s48
	s_delay_alu instid0(VALU_DEP_3) | instskip(NEXT) | instid1(VALU_DEP_3)
	v_dual_add_f32 v1, v1, v11 :: v_dual_add_f32 v0, v0, v2
	v_fma_f32 v2, v30, v91, -v3
	v_mul_f32_e32 v3, v41, v96
	s_wait_alu 0xfffd
	v_add_co_ci_u32_e64 v200, null, s49, v200, vcc_lo
	s_delay_alu instid0(VALU_DEP_3) | instskip(NEXT) | instid1(VALU_DEP_3)
	v_dual_add_f32 v1, v1, v4 :: v_dual_add_f32 v0, v0, v2
	v_fma_f32 v2, v40, v95, -v3
	v_mul_f32_e32 v3, v43, v94
	v_dual_fmac_f32 v5, v14, v84 :: v_dual_mul_f32 v4, v25, v87
	v_fmac_f32_e32 v6, v46, v100
	s_delay_alu instid0(VALU_DEP_4) | instskip(NEXT) | instid1(VALU_DEP_4)
	v_add_f32_e32 v0, v0, v2
	v_fma_f32 v2, v42, v93, -v3
	s_delay_alu instid0(VALU_DEP_4) | instskip(SKIP_1) | instid1(VALU_DEP_3)
	v_dual_add_f32 v1, v1, v5 :: v_dual_fmac_f32 v4, v24, v88
	v_add_co_u32 v201, vcc_lo, v201, s48
	v_add_f32_e32 v0, v0, v2
	v_mul_f32_e32 v2, v45, v97
	v_mul_f32_e32 v5, v27, v85
	v_add_f32_e32 v1, v1, v4
	v_mul_f32_e32 v4, v29, v89
	s_wait_alu 0xfffd
	v_add_co_ci_u32_e64 v202, null, s49, v202, vcc_lo
	v_fmac_f32_e32 v2, v44, v98
	v_fmac_f32_e32 v5, v26, v86
	;; [unrolled: 1-line block ×3, first 2 shown]
	v_add_co_u32 v203, vcc_lo, v203, s48
	v_mul_f32_e32 v3, v43, v93
	s_delay_alu instid0(VALU_DEP_4)
	v_add_f32_e32 v1, v1, v5
	v_mul_f32_e32 v5, v31, v91
	s_wait_alu 0xfffd
	v_add_co_ci_u32_e64 v204, null, s49, v204, vcc_lo
	v_add_co_u32 v205, vcc_lo, v205, s48
	v_add_f32_e32 v1, v1, v4
	v_dual_fmac_f32 v5, v30, v92 :: v_dual_mul_f32 v4, v41, v95
	s_wait_alu 0xfffd
	v_add_co_ci_u32_e64 v206, null, s49, v206, vcc_lo
	v_add_co_u32 v207, vcc_lo, v207, s48
	s_delay_alu instid0(VALU_DEP_3)
	v_dual_add_f32 v1, v1, v5 :: v_dual_fmac_f32 v4, v40, v96
	s_wait_alu 0xfffd
	v_add_co_ci_u32_e64 v208, null, s49, v208, vcc_lo
	v_add_co_u32 v209, vcc_lo, v209, s48
	v_mul_f32_e32 v5, v45, v98
	v_fmac_f32_e32 v3, v42, v94
	v_add_f32_e32 v1, v1, v4
	s_wait_alu 0xfffd
	v_add_co_ci_u32_e64 v210, null, s49, v210, vcc_lo
	v_add_co_u32 v211, vcc_lo, v211, s48
	s_wait_alu 0xfffd
	v_add_co_ci_u32_e64 v212, null, s49, v212, vcc_lo
	v_add_co_u32 v213, vcc_lo, v213, s48
	v_fma_f32 v4, v44, v97, -v5
	v_mul_f32_e32 v5, v47, v100
	v_add_f32_e32 v1, v1, v3
	s_wait_alu 0xfffd
	v_add_co_ci_u32_e64 v214, null, s49, v214, vcc_lo
	v_add_co_u32 v215, vcc_lo, v215, s48
	s_wait_alu 0xfffd
	v_add_co_ci_u32_e64 v216, null, s49, v216, vcc_lo
	v_add_co_u32 v217, vcc_lo, v217, s48
	;; [unrolled: 3-line block ×3, first 2 shown]
	v_add_f32_e32 v0, v0, v4
	v_fma_f32 v3, v46, v99, -v5
	v_add_f32_e32 v1, v1, v2
	s_wait_alu 0xfffd
	v_add_co_ci_u32_e64 v220, null, s49, v220, vcc_lo
	v_add_co_u32 v221, vcc_lo, v221, s48
	s_wait_alu 0xfffd
	v_add_co_ci_u32_e64 v222, null, s49, v222, vcc_lo
	v_add_co_u32 v223, vcc_lo, v223, s48
	v_dual_add_f32 v65, v0, v3 :: v_dual_add_f32 v66, v1, v6
	v_add_nc_u32_e32 v67, 64, v67
	s_wait_alu 0xfffd
	v_add_co_ci_u32_e64 v224, null, s49, v224, vcc_lo
	s_add_co_i32 s55, s63, 2
	s_add_co_i32 s18, s63, 1
	;; [unrolled: 1-line block ×3, first 2 shown]
	s_wait_alu 0xfffe
	s_cmp_ge_u32 s55, s30
	s_wait_loadcnt 0x0
	s_wait_storecnt 0x0
	s_barrier_signal -1
	s_barrier_wait -1
	global_inv scope:SCOPE_SE
	s_cbranch_scc1 .LBB117_129
; %bb.128:                              ;   in Loop: Header=BB117_77 Depth=2
	s_mov_b32 s63, s18
	s_wait_alu 0xfffe
	s_cmp_eq_u32 s58, s63
	s_cselect_b32 s64, s33, 0
	s_and_saveexec_b32 s18, s0
	s_cbranch_execnz .LBB117_73
	s_branch .LBB117_77
.LBB117_129:                            ;   in Loop: Header=BB117_4 Depth=1
	ds_store_b64 v134, v[65:66]
	s_wait_loadcnt_dscnt 0x0
	s_barrier_signal -1
	s_barrier_wait -1
	global_inv scope:SCOPE_SE
	s_and_saveexec_b32 s18, s60
	s_cbranch_execz .LBB117_2
; %bb.130:                              ;   in Loop: Header=BB117_4 Depth=1
	ds_load_2addr_b64 v[0:3], v101 offset1:67
	ds_load_2addr_b64 v[4:7], v101 offset0:134 offset1:201
	s_wait_dscnt 0x1
	v_dual_add_f32 v0, v2, v0 :: v_dual_add_f32 v1, v3, v1
	s_wait_alu 0xfffe
	v_add_co_u32 v2, vcc_lo, s52, v63
	s_wait_alu 0xfffd
	v_add_co_ci_u32_e64 v3, null, s53, v64, vcc_lo
	s_wait_dscnt 0x0
	v_dual_add_f32 v0, v4, v0 :: v_dual_add_f32 v1, v5, v1
	s_delay_alu instid0(VALU_DEP_1)
	v_dual_add_f32 v0, v0, v6 :: v_dual_add_f32 v1, v1, v7
	global_store_b64 v[2:3], v[0:1], off
	s_branch .LBB117_2
.LBB117_131:                            ;   in Loop: Header=BB117_4 Depth=1
	ds_load_b64 v[2:3], v176
	s_wait_dscnt 0x0
	ds_store_b64 v107, v[2:3]
	s_wait_alu 0xfffe
	s_or_b32 exec_lo, exec_lo, s18
	s_and_saveexec_b32 s18, s7
	s_cbranch_execz .LBB117_27
.LBB117_132:                            ;   in Loop: Header=BB117_4 Depth=1
	ds_load_b64 v[2:3], v177
	s_wait_dscnt 0x0
	ds_store_b64 v107, v[2:3] offset:8
	s_wait_alu 0xfffe
	s_or_b32 exec_lo, exec_lo, s18
	s_and_saveexec_b32 s18, s8
	s_cbranch_execz .LBB117_28
.LBB117_133:                            ;   in Loop: Header=BB117_4 Depth=1
	ds_load_b64 v[2:3], v177 offset:264
	s_wait_dscnt 0x0
	ds_store_b64 v107, v[2:3] offset:16
	s_wait_alu 0xfffe
	s_or_b32 exec_lo, exec_lo, s18
	s_and_saveexec_b32 s18, s9
	s_cbranch_execnz .LBB117_29
	s_branch .LBB117_30
.LBB117_134:                            ;   in Loop: Header=BB117_4 Depth=1
	ds_load_b64 v[2:3], v176
	s_wait_dscnt 0x0
	ds_store_b64 v107, v[2:3]
	s_wait_alu 0xfffe
	s_or_b32 exec_lo, exec_lo, s18
	s_and_saveexec_b32 s18, s7
	s_cbranch_execz .LBB117_48
.LBB117_135:                            ;   in Loop: Header=BB117_4 Depth=1
	ds_load_b64 v[2:3], v177
	s_wait_dscnt 0x0
	ds_store_b64 v107, v[2:3] offset:8
	s_wait_alu 0xfffe
	s_or_b32 exec_lo, exec_lo, s18
	s_and_saveexec_b32 s18, s8
	s_cbranch_execz .LBB117_49
.LBB117_136:                            ;   in Loop: Header=BB117_4 Depth=1
	ds_load_b64 v[2:3], v177 offset:264
	s_wait_dscnt 0x0
	ds_store_b64 v107, v[2:3] offset:16
	s_wait_alu 0xfffe
	s_or_b32 exec_lo, exec_lo, s18
	s_and_saveexec_b32 s18, s9
	s_cbranch_execnz .LBB117_50
	s_branch .LBB117_51
.LBB117_137:                            ;   in Loop: Header=BB117_4 Depth=1
	global_load_b64 v[4:5], v[0:1], off
	s_wait_loadcnt 0x0
	ds_store_b64 v175, v[4:5]
	s_or_b32 exec_lo, exec_lo, s18
	s_and_saveexec_b32 s18, s3
	s_wait_alu 0xfffe
	s_xor_b32 s18, exec_lo, s18
	s_cbranch_execz .LBB117_16
.LBB117_138:                            ;   in Loop: Header=BB117_4 Depth=1
	v_mov_b32_e32 v58, v57
	ds_store_b64 v175, v[57:58] offset:2112
	s_wait_alu 0xfffe
	s_and_not1_saveexec_b32 s18, s18
	s_cbranch_execz .LBB117_17
.LBB117_139:                            ;   in Loop: Header=BB117_4 Depth=1
	s_lshl_b64 s[52:53], s[36:37], 3
	s_wait_alu 0xfffe
	v_add_co_u32 v4, vcc_lo, v0, s52
	s_wait_alu 0xfffd
	v_add_co_ci_u32_e64 v5, null, s53, v1, vcc_lo
	global_load_b64 v[4:5], v[4:5], off
	s_wait_loadcnt 0x0
	ds_store_b64 v175, v[4:5] offset:2112
	s_or_b32 exec_lo, exec_lo, s18
	s_and_saveexec_b32 s18, s4
	s_wait_alu 0xfffe
	s_xor_b32 s18, exec_lo, s18
	s_cbranch_execz .LBB117_18
.LBB117_140:                            ;   in Loop: Header=BB117_4 Depth=1
	v_mov_b32_e32 v58, v57
	ds_store_b64 v175, v[57:58] offset:4224
	s_wait_alu 0xfffe
	s_and_not1_saveexec_b32 s18, s18
	s_cbranch_execz .LBB117_19
.LBB117_141:                            ;   in Loop: Header=BB117_4 Depth=1
	v_add_co_u32 v4, vcc_lo, v0, s46
	s_wait_alu 0xfffd
	v_add_co_ci_u32_e64 v5, null, s47, v1, vcc_lo
	global_load_b64 v[4:5], v[4:5], off
	s_wait_loadcnt 0x0
	ds_store_b64 v175, v[4:5] offset:4224
	s_wait_alu 0xfffe
	s_or_b32 exec_lo, exec_lo, s18
	s_and_saveexec_b32 s18, s5
	s_wait_alu 0xfffe
	s_xor_b32 s18, exec_lo, s18
	s_cbranch_execz .LBB117_20
.LBB117_142:                            ;   in Loop: Header=BB117_4 Depth=1
	v_mov_b32_e32 v58, v57
	ds_store_b64 v175, v[57:58] offset:6336
	s_wait_alu 0xfffe
	s_and_not1_saveexec_b32 s18, s18
	s_cbranch_execnz .LBB117_21
	s_branch .LBB117_22
.LBB117_143:                            ;   in Loop: Header=BB117_4 Depth=1
	global_load_b64 v[6:7], v[0:1], off
	s_wait_loadcnt 0x0
	ds_store_b64 v175, v[6:7]
	s_or_b32 exec_lo, exec_lo, s18
	s_and_saveexec_b32 s18, s13
	s_wait_alu 0xfffe
	s_xor_b32 s18, exec_lo, s18
	s_cbranch_execz .LBB117_37
.LBB117_144:                            ;   in Loop: Header=BB117_4 Depth=1
	v_mov_b32_e32 v58, v57
	ds_store_b64 v175, v[57:58] offset:2112
	s_wait_alu 0xfffe
	s_and_not1_saveexec_b32 s18, s18
	s_cbranch_execz .LBB117_38
.LBB117_145:                            ;   in Loop: Header=BB117_4 Depth=1
	s_lshl_b64 s[52:53], s[36:37], 3
	s_wait_alu 0xfffe
	v_add_co_u32 v6, vcc_lo, v0, s52
	s_wait_alu 0xfffd
	v_add_co_ci_u32_e64 v7, null, s53, v1, vcc_lo
	global_load_b64 v[6:7], v[6:7], off
	s_wait_loadcnt 0x0
	ds_store_b64 v175, v[6:7] offset:2112
	s_or_b32 exec_lo, exec_lo, s18
	s_and_saveexec_b32 s18, s14
	s_wait_alu 0xfffe
	s_xor_b32 s18, exec_lo, s18
	s_cbranch_execz .LBB117_39
.LBB117_146:                            ;   in Loop: Header=BB117_4 Depth=1
	v_mov_b32_e32 v58, v57
	ds_store_b64 v175, v[57:58] offset:4224
	s_wait_alu 0xfffe
	s_and_not1_saveexec_b32 s18, s18
	s_cbranch_execz .LBB117_40
.LBB117_147:                            ;   in Loop: Header=BB117_4 Depth=1
	v_add_co_u32 v6, vcc_lo, v0, s46
	s_wait_alu 0xfffd
	v_add_co_ci_u32_e64 v7, null, s47, v1, vcc_lo
	global_load_b64 v[6:7], v[6:7], off
	s_wait_loadcnt 0x0
	ds_store_b64 v175, v[6:7] offset:4224
	s_wait_alu 0xfffe
	s_or_b32 exec_lo, exec_lo, s18
	s_and_saveexec_b32 s18, s15
	s_wait_alu 0xfffe
	s_xor_b32 s18, exec_lo, s18
	s_cbranch_execz .LBB117_41
.LBB117_148:                            ;   in Loop: Header=BB117_4 Depth=1
	v_mov_b32_e32 v58, v57
	ds_store_b64 v175, v[57:58] offset:6336
	s_wait_alu 0xfffe
	s_and_not1_saveexec_b32 s18, s18
	s_cbranch_execnz .LBB117_42
	s_branch .LBB117_43
.LBB117_149:                            ;   in Loop: Header=BB117_4 Depth=1
	global_load_b64 v[6:7], v[4:5], off
	s_wait_loadcnt 0x0
	ds_store_b64 v175, v[6:7]
	s_or_b32 exec_lo, exec_lo, s18
	s_and_saveexec_b32 s18, s13
	s_wait_alu 0xfffe
	s_xor_b32 s18, exec_lo, s18
	s_cbranch_execz .LBB117_58
.LBB117_150:                            ;   in Loop: Header=BB117_4 Depth=1
	v_mov_b32_e32 v58, v57
	ds_store_b64 v175, v[57:58] offset:2112
	s_wait_alu 0xfffe
	s_and_not1_saveexec_b32 s18, s18
	s_cbranch_execz .LBB117_59
.LBB117_151:                            ;   in Loop: Header=BB117_4 Depth=1
	s_lshl_b64 s[52:53], s[36:37], 3
	s_wait_alu 0xfffe
	v_add_co_u32 v6, vcc_lo, v4, s52
	s_wait_alu 0xfffd
	v_add_co_ci_u32_e64 v7, null, s53, v5, vcc_lo
	global_load_b64 v[6:7], v[6:7], off
	s_wait_loadcnt 0x0
	ds_store_b64 v175, v[6:7] offset:2112
	s_or_b32 exec_lo, exec_lo, s18
	s_and_saveexec_b32 s18, s14
	s_wait_alu 0xfffe
	s_xor_b32 s18, exec_lo, s18
	s_cbranch_execz .LBB117_60
.LBB117_152:                            ;   in Loop: Header=BB117_4 Depth=1
	v_mov_b32_e32 v58, v57
	ds_store_b64 v175, v[57:58] offset:4224
	s_wait_alu 0xfffe
	s_and_not1_saveexec_b32 s18, s18
	s_cbranch_execz .LBB117_61
.LBB117_153:                            ;   in Loop: Header=BB117_4 Depth=1
	v_add_co_u32 v6, vcc_lo, v4, s46
	s_wait_alu 0xfffd
	v_add_co_ci_u32_e64 v7, null, s47, v5, vcc_lo
	global_load_b64 v[6:7], v[6:7], off
	s_wait_loadcnt 0x0
	ds_store_b64 v175, v[6:7] offset:4224
	s_wait_alu 0xfffe
	s_or_b32 exec_lo, exec_lo, s18
	s_and_saveexec_b32 s18, s15
	s_wait_alu 0xfffe
	s_xor_b32 s18, exec_lo, s18
	s_cbranch_execz .LBB117_62
.LBB117_154:                            ;   in Loop: Header=BB117_4 Depth=1
	v_mov_b32_e32 v58, v57
	ds_store_b64 v175, v[57:58] offset:6336
	s_wait_alu 0xfffe
	s_and_not1_saveexec_b32 s18, s18
	s_cbranch_execnz .LBB117_63
	s_branch .LBB117_64
.LBB117_155:
	s_nop 0
	s_sendmsg sendmsg(MSG_DEALLOC_VGPRS)
	s_endpgm
	.section	.rodata,"a",@progbits
	.p2align	6, 0x0
	.amdhsa_kernel _ZL26rocblas_hemvn_kernel_upperILb0ELi64ELi4ELi33ELi32ELi16Ei19rocblas_complex_numIfEPKS1_PS1_EviT6_lT7_lT5_lS6_lS7_lS5_lT8_i
		.amdhsa_group_segment_fixed_size 9600
		.amdhsa_private_segment_fixed_size 0
		.amdhsa_kernarg_size 376
		.amdhsa_user_sgpr_count 2
		.amdhsa_user_sgpr_dispatch_ptr 0
		.amdhsa_user_sgpr_queue_ptr 0
		.amdhsa_user_sgpr_kernarg_segment_ptr 1
		.amdhsa_user_sgpr_dispatch_id 0
		.amdhsa_user_sgpr_private_segment_size 0
		.amdhsa_wavefront_size32 1
		.amdhsa_uses_dynamic_stack 0
		.amdhsa_enable_private_segment 0
		.amdhsa_system_sgpr_workgroup_id_x 1
		.amdhsa_system_sgpr_workgroup_id_y 0
		.amdhsa_system_sgpr_workgroup_id_z 1
		.amdhsa_system_sgpr_workgroup_info 0
		.amdhsa_system_vgpr_workitem_id 1
		.amdhsa_next_free_vgpr 233
		.amdhsa_next_free_sgpr 78
		.amdhsa_reserve_vcc 1
		.amdhsa_float_round_mode_32 0
		.amdhsa_float_round_mode_16_64 0
		.amdhsa_float_denorm_mode_32 3
		.amdhsa_float_denorm_mode_16_64 3
		.amdhsa_fp16_overflow 0
		.amdhsa_workgroup_processor_mode 1
		.amdhsa_memory_ordered 1
		.amdhsa_forward_progress 1
		.amdhsa_inst_pref_size 88
		.amdhsa_round_robin_scheduling 0
		.amdhsa_exception_fp_ieee_invalid_op 0
		.amdhsa_exception_fp_denorm_src 0
		.amdhsa_exception_fp_ieee_div_zero 0
		.amdhsa_exception_fp_ieee_overflow 0
		.amdhsa_exception_fp_ieee_underflow 0
		.amdhsa_exception_fp_ieee_inexact 0
		.amdhsa_exception_int_div_zero 0
	.end_amdhsa_kernel
	.section	.text._ZL26rocblas_hemvn_kernel_upperILb0ELi64ELi4ELi33ELi32ELi16Ei19rocblas_complex_numIfEPKS1_PS1_EviT6_lT7_lT5_lS6_lS7_lS5_lT8_i,"axG",@progbits,_ZL26rocblas_hemvn_kernel_upperILb0ELi64ELi4ELi33ELi32ELi16Ei19rocblas_complex_numIfEPKS1_PS1_EviT6_lT7_lT5_lS6_lS7_lS5_lT8_i,comdat
.Lfunc_end117:
	.size	_ZL26rocblas_hemvn_kernel_upperILb0ELi64ELi4ELi33ELi32ELi16Ei19rocblas_complex_numIfEPKS1_PS1_EviT6_lT7_lT5_lS6_lS7_lS5_lT8_i, .Lfunc_end117-_ZL26rocblas_hemvn_kernel_upperILb0ELi64ELi4ELi33ELi32ELi16Ei19rocblas_complex_numIfEPKS1_PS1_EviT6_lT7_lT5_lS6_lS7_lS5_lT8_i
                                        ; -- End function
	.set _ZL26rocblas_hemvn_kernel_upperILb0ELi64ELi4ELi33ELi32ELi16Ei19rocblas_complex_numIfEPKS1_PS1_EviT6_lT7_lT5_lS6_lS7_lS5_lT8_i.num_vgpr, 233
	.set _ZL26rocblas_hemvn_kernel_upperILb0ELi64ELi4ELi33ELi32ELi16Ei19rocblas_complex_numIfEPKS1_PS1_EviT6_lT7_lT5_lS6_lS7_lS5_lT8_i.num_agpr, 0
	.set _ZL26rocblas_hemvn_kernel_upperILb0ELi64ELi4ELi33ELi32ELi16Ei19rocblas_complex_numIfEPKS1_PS1_EviT6_lT7_lT5_lS6_lS7_lS5_lT8_i.numbered_sgpr, 78
	.set _ZL26rocblas_hemvn_kernel_upperILb0ELi64ELi4ELi33ELi32ELi16Ei19rocblas_complex_numIfEPKS1_PS1_EviT6_lT7_lT5_lS6_lS7_lS5_lT8_i.num_named_barrier, 0
	.set _ZL26rocblas_hemvn_kernel_upperILb0ELi64ELi4ELi33ELi32ELi16Ei19rocblas_complex_numIfEPKS1_PS1_EviT6_lT7_lT5_lS6_lS7_lS5_lT8_i.private_seg_size, 0
	.set _ZL26rocblas_hemvn_kernel_upperILb0ELi64ELi4ELi33ELi32ELi16Ei19rocblas_complex_numIfEPKS1_PS1_EviT6_lT7_lT5_lS6_lS7_lS5_lT8_i.uses_vcc, 1
	.set _ZL26rocblas_hemvn_kernel_upperILb0ELi64ELi4ELi33ELi32ELi16Ei19rocblas_complex_numIfEPKS1_PS1_EviT6_lT7_lT5_lS6_lS7_lS5_lT8_i.uses_flat_scratch, 0
	.set _ZL26rocblas_hemvn_kernel_upperILb0ELi64ELi4ELi33ELi32ELi16Ei19rocblas_complex_numIfEPKS1_PS1_EviT6_lT7_lT5_lS6_lS7_lS5_lT8_i.has_dyn_sized_stack, 0
	.set _ZL26rocblas_hemvn_kernel_upperILb0ELi64ELi4ELi33ELi32ELi16Ei19rocblas_complex_numIfEPKS1_PS1_EviT6_lT7_lT5_lS6_lS7_lS5_lT8_i.has_recursion, 0
	.set _ZL26rocblas_hemvn_kernel_upperILb0ELi64ELi4ELi33ELi32ELi16Ei19rocblas_complex_numIfEPKS1_PS1_EviT6_lT7_lT5_lS6_lS7_lS5_lT8_i.has_indirect_call, 0
	.section	.AMDGPU.csdata,"",@progbits
; Kernel info:
; codeLenInByte = 11244
; TotalNumSgprs: 80
; NumVgprs: 233
; ScratchSize: 0
; MemoryBound: 1
; FloatMode: 240
; IeeeMode: 1
; LDSByteSize: 9600 bytes/workgroup (compile time only)
; SGPRBlocks: 0
; VGPRBlocks: 29
; NumSGPRsForWavesPerEU: 80
; NumVGPRsForWavesPerEU: 233
; Occupancy: 6
; WaveLimiterHint : 1
; COMPUTE_PGM_RSRC2:SCRATCH_EN: 0
; COMPUTE_PGM_RSRC2:USER_SGPR: 2
; COMPUTE_PGM_RSRC2:TRAP_HANDLER: 0
; COMPUTE_PGM_RSRC2:TGID_X_EN: 1
; COMPUTE_PGM_RSRC2:TGID_Y_EN: 0
; COMPUTE_PGM_RSRC2:TGID_Z_EN: 1
; COMPUTE_PGM_RSRC2:TIDIG_COMP_CNT: 1
	.section	.text._ZL26rocblas_hemvn_kernel_lowerILb0ELi64ELi4ELi33ELi32ELi16ElPK19rocblas_complex_numIfES3_PS1_EviT6_lT7_lT5_lS6_lS7_lS5_lT8_i,"axG",@progbits,_ZL26rocblas_hemvn_kernel_lowerILb0ELi64ELi4ELi33ELi32ELi16ElPK19rocblas_complex_numIfES3_PS1_EviT6_lT7_lT5_lS6_lS7_lS5_lT8_i,comdat
	.globl	_ZL26rocblas_hemvn_kernel_lowerILb0ELi64ELi4ELi33ELi32ELi16ElPK19rocblas_complex_numIfES3_PS1_EviT6_lT7_lT5_lS6_lS7_lS5_lT8_i ; -- Begin function _ZL26rocblas_hemvn_kernel_lowerILb0ELi64ELi4ELi33ELi32ELi16ElPK19rocblas_complex_numIfES3_PS1_EviT6_lT7_lT5_lS6_lS7_lS5_lT8_i
	.p2align	8
	.type	_ZL26rocblas_hemvn_kernel_lowerILb0ELi64ELi4ELi33ELi32ELi16ElPK19rocblas_complex_numIfES3_PS1_EviT6_lT7_lT5_lS6_lS7_lS5_lT8_i,@function
_ZL26rocblas_hemvn_kernel_lowerILb0ELi64ELi4ELi33ELi32ELi16ElPK19rocblas_complex_numIfES3_PS1_EviT6_lT7_lT5_lS6_lS7_lS5_lT8_i: ; @_ZL26rocblas_hemvn_kernel_lowerILb0ELi64ELi4ELi33ELi32ELi16ElPK19rocblas_complex_numIfES3_PS1_EviT6_lT7_lT5_lS6_lS7_lS5_lT8_i
; %bb.0:
	s_clause 0x1
	s_load_b64 s[2:3], s[0:1], 0x84
	s_load_b32 s33, s[0:1], 0x70
	s_lshr_b32 s22, ttmp7, 16
	s_wait_kmcnt 0x0
	s_lshr_b32 s4, s2, 16
	s_and_b32 s2, s2, 0xffff
	s_and_b32 s3, s3, 0xffff
	s_mul_i32 s2, s4, s2
	s_delay_alu instid0(SALU_CYCLE_1) | instskip(NEXT) | instid1(SALU_CYCLE_1)
	s_mul_i32 s2, s2, s3
	s_cmp_lg_u32 s2, 0x100
	s_cselect_b32 s2, -1, 0
	s_cmp_ge_u32 s22, s33
	s_cselect_b32 s3, -1, 0
	s_delay_alu instid0(SALU_CYCLE_1) | instskip(NEXT) | instid1(SALU_CYCLE_1)
	s_or_b32 s2, s2, s3
	s_and_b32 vcc_lo, exec_lo, s2
	s_cbranch_vccnz .LBB118_106
; %bb.1:
	s_clause 0x2
	s_load_b32 s2, s[0:1], 0x0
	s_load_b512 s[36:51], s[0:1], 0x8
	s_load_b256 s[24:31], s[0:1], 0x48
	v_dual_mov_b32 v33, 0 :: v_dual_and_b32 v78, 0x3ff, v0
	s_lshl_b32 s18, ttmp9, 6
	s_add_nc_u64 s[4:5], s[0:1], 0x78
	v_bfe_u32 v11, v0, 10, 10
	s_delay_alu instid0(VALU_DEP_2)
	v_add_nc_u32_e32 v1, s18, v78
	s_load_b32 s20, s[4:5], 0x0
	s_load_b64 s[4:5], s[0:1], 0x68
	v_and_b32_e32 v32, 31, v0
	v_lshl_add_u32 v12, v11, 6, v78
	v_ashrrev_i32_e32 v2, 31, v1
	s_mov_b32 s21, 0
	v_lshl_add_u32 v91, v11, 5, 0x2180
	v_lshlrev_b32_e32 v13, 3, v32
	v_lshrrev_b32_e32 v10, 5, v12
	v_and_b32_e32 v17, 0x7fe0, v12
	v_mul_u32_u24_e32 v19, 33, v32
	s_wait_kmcnt 0x0
	s_ashr_i32 s3, s2, 31
	s_lshl_b64 s[0:1], s[50:51], 3
	v_mul_lo_u32 v7, s24, v2
	v_mul_lo_u32 v8, s25, v1
	v_mad_co_u64_u32 v[3:4], null, s24, v1, 0
	s_lshr_b32 s6, s3, 26
	v_mad_co_u64_u32 v[5:6], null, s44, v10, v[32:33]
	s_add_co_i32 s8, s2, s6
	s_add_co_i32 s9, s20, -1
	s_and_not1_b32 s8, s8, 63
	v_add3_u32 v4, v4, v7, v8
	s_lshl_b64 s[6:7], s[42:43], 3
	s_sub_co_i32 s8, s2, s8
	s_cmp_eq_u32 ttmp9, s9
	s_add_nc_u64 s[0:1], s[48:49], s[0:1]
	v_lshlrev_b64_e32 v[3:4], 3, v[3:4]
	s_cselect_b32 s34, s8, 0
	s_mul_i32 s8, s2, ttmp9
	s_cmp_eq_u32 s34, 0
	v_mad_co_u64_u32 v[7:8], null, s45, v10, v[6:7]
	s_cselect_b32 s94, -1, 0
	s_cmp_lg_u32 s34, 0
	v_add_co_u32 v80, s0, s0, v3
	v_lshlrev_b32_e32 v9, 2, v10
	s_wait_alu 0xf1ff
	v_add_co_ci_u32_e64 v81, null, s1, v4, s0
	s_cselect_b32 s1, -1, 0
	s_ashr_i32 s9, s8, 31
	s_ashr_i32 s19, s18, 31
	s_add_nc_u64 s[6:7], s[40:41], s[6:7]
	s_mul_u64 s[40:41], s[20:21], s[2:3]
	s_lshl_b64 s[2:3], s[8:9], 3
	s_wait_alu 0xfffe
	s_lshl_b64 s[8:9], s[18:19], 3
	s_add_nc_u64 s[42:43], s[4:5], s[2:3]
	s_add_nc_u64 s[2:3], s[6:7], s[8:9]
	v_lshl_or_b32 v16, v32, 8, v13
	v_or_b32_e32 v18, 1, v9
	v_cmp_lt_u32_e64 s7, v9, v32
	v_or_b32_e32 v20, 2, v9
	v_or_b32_e32 v9, 3, v9
	v_mov_b32_e32 v6, v7
	v_add_nc_u32_e32 v8, 16, v10
	v_add_nc_u32_e32 v85, v16, v17
	;; [unrolled: 1-line block ×3, first 2 shown]
	v_cmp_lt_u32_e64 s10, v9, v32
	v_or_b32_e32 v9, 32, v32
	v_lshlrev_b32_e32 v17, 2, v11
	v_lshlrev_b64_e32 v[3:4], 3, v[5:6]
	s_sub_co_i32 s16, s34, 32
	v_cmp_le_i32_e32 vcc_lo, s34, v78
	v_cmp_le_i32_e64 s5, s34, v8
	v_cmp_gt_i32_e64 s12, s34, v9
	v_cmp_le_i32_e64 s15, s16, v8
	v_mad_co_u64_u32 v[8:9], null, s44, v17, 0
	v_add_nc_u32_e32 v6, 8, v10
	v_lshlrev_b32_e32 v21, 3, v10
	v_lshlrev_b32_e32 v86, 3, v19
	s_and_b32 s1, s1, vcc_lo
	v_add_co_u32 v3, vcc_lo, s2, v3
	s_mul_u64 s[56:57], s[44:45], s[18:19]
	v_add_co_ci_u32_e64 v4, null, s3, v4, vcc_lo
	s_lshl_b64 s[2:3], s[56:57], 3
	v_lshlrev_b32_e32 v79, 3, v78
	v_cmp_le_i32_e64 s4, s34, v6
	v_add_nc_u32_e32 v15, 24, v10
	v_add_nc_u32_e32 v88, v86, v21
	v_cmp_le_i32_e64 s14, s16, v6
	v_mov_b32_e32 v6, v9
	s_wait_alu 0xfffe
	v_add_co_u32 v83, vcc_lo, v3, s2
	s_wait_alu 0xfffd
	v_add_co_ci_u32_e64 v84, null, s3, v4, vcc_lo
	v_sub_co_u32 v3, s3, 0, v32
	v_mul_u32_u24_e32 v14, 0x108, v10
	s_wait_alu 0xf1ff
	v_sub_co_ci_u32_e64 v4, null, 0, 0, s3
	v_cmp_le_i32_e64 s3, s34, v10
	v_cmp_le_i32_e64 s6, s34, v15
	v_mul_u32_u24_e32 v16, 0x420, v10
	v_cmp_le_i32_e64 s13, s16, v10
	v_cmp_le_i32_e64 s16, s16, v15
	v_cmp_eq_u32_e64 s17, 1, v10
	v_mul_i32_i24_e32 v15, 0xffffffe8, v10
	v_mad_u32_u24 v89, v10, 24, v88
	v_mad_co_u64_u32 v[9:10], null, s45, v17, v[6:7]
	v_lshrrev_b32_e32 v10, 4, v12
	v_sub_co_u32 v5, vcc_lo, 0, v5
	v_and_b32_e32 v17, 15, v0
	s_wait_alu 0xfffd
	v_sub_co_ci_u32_e64 v6, null, 0, v7, vcc_lo
	v_and_b32_e32 v0, 48, v0
	v_lshlrev_b32_e32 v7, 5, v10
	v_cmp_lt_u32_e64 s8, v18, v32
	v_mul_u32_u24_e32 v18, 0x108, v18
	v_or_b32_e32 v19, 0x78, v79
	v_lshlrev_b32_e32 v0, 3, v0
	v_mad_u32_u24 v93, 0x218, v17, v7
	v_mul_i32_i24_e32 v7, 0xffffffe8, v10
	v_cmp_eq_u32_e64 s0, 0, v11
	s_mul_u64 s[18:19], s[24:25], s[18:19]
	s_lshl_b64 s[54:55], s[44:45], 5
	v_lshlrev_b64_e32 v[34:35], 3, v[3:4]
	v_lshlrev_b64_e32 v[36:37], 3, v[5:6]
	;; [unrolled: 1-line block ×4, first 2 shown]
	v_add_nc_u32_e32 v82, 0x2380, v79
	s_lshl_b64 s[48:49], s[44:45], 6
	s_lshl_b64 s[50:51], s[44:45], 7
	v_cmp_gt_i32_e64 s2, s34, v32
	s_ashr_i32 s35, s34, 31
	v_cmp_lt_u32_e64 s9, v20, v32
	v_cmp_gt_u32_e64 s11, 32, v12
	s_xor_b32 s20, s1, -1
	s_wait_alu 0xfffe
	s_sub_nc_u64 s[88:89], 0, s[18:19]
	v_add_nc_u32_e32 v90, 0x2180, v79
	v_mad_u32_u24 v92, 0x860, v11, v79
	v_cmp_gt_u32_e64 s18, 64, v12
	v_mad_u32_u24 v94, 0x218, v17, v0
	v_mad_u32_u24 v95, 0x218, v17, v19
	;; [unrolled: 1-line block ×3, first 2 shown]
	v_add_nc_u32_e32 v97, 0x2380, v21
	v_add_nc_u32_e32 v98, v13, v14
	;; [unrolled: 1-line block ×6, first 2 shown]
	v_lshlrev_b32_e32 v103, 3, v32
	s_sub_nc_u64 s[86:87], 0, s[54:55]
	s_cmp_gt_i32 ttmp9, 0
	s_sub_nc_u64 s[90:91], 0, s[56:57]
	s_mul_u64 s[52:53], s[44:45], 0xc0
	s_cselect_b32 s95, -1, 0
	s_and_b32 s96, s0, s20
	s_sub_nc_u64 s[56:57], 0, s[34:35]
	s_lshl_b64 s[58:59], s[44:45], 3
	s_lshl_b64 s[60:61], s[44:45], 9
	;; [unrolled: 1-line block ×3, first 2 shown]
	s_mul_u64 s[64:65], s[44:45], 24
	s_mul_u64 s[66:67], s[44:45], 0x90
	;; [unrolled: 1-line block ×10, first 2 shown]
	s_lshl_b64 s[84:85], s[44:45], 8
	s_mul_u64 s[44:45], s[44:45], 0x88
	s_lshl_b64 s[86:87], s[86:87], 3
	s_lshl_b64 s[88:89], s[88:89], 3
	;; [unrolled: 1-line block ×3, first 2 shown]
	s_branch .LBB118_4
.LBB118_2:                              ;   in Loop: Header=BB118_4 Depth=1
	s_wait_alu 0xfffe
	s_or_b32 exec_lo, exec_lo, s19
.LBB118_3:                              ;   in Loop: Header=BB118_4 Depth=1
	s_add_co_i32 s22, s22, 0x10000
	s_delay_alu instid0(SALU_CYCLE_1)
	s_cmp_lt_u32 s22, s33
	s_cbranch_scc0 .LBB118_106
.LBB118_4:                              ; =>This Loop Header: Depth=1
                                        ;     Child Loop BB118_76 Depth 2
	s_mov_b32 s23, s21
	s_mov_b32 s20, -1
	s_mul_u64 s[92:93], s[38:39], s[22:23]
	s_wait_alu 0xfffe
	s_lshl_b64 s[92:93], s[92:93], 3
	s_wait_alu 0xfffe
	s_add_nc_u64 s[92:93], s[36:37], s[92:93]
	global_load_b64 v[0:1], v33, s[92:93]
	s_wait_loadcnt 0x0
	v_or_b32_e32 v0, v0, v1
	s_delay_alu instid0(VALU_DEP_1) | instskip(NEXT) | instid1(VALU_DEP_1)
	v_and_b32_e32 v0, 0x7fffffff, v0
	v_cmp_ne_u32_e64 s19, 0, v0
	s_and_b32 vcc_lo, exec_lo, s19
	s_wait_alu 0xfffe
	s_cbranch_vccnz .LBB118_6
; %bb.5:                                ;   in Loop: Header=BB118_4 Depth=1
	s_mul_u64 s[92:93], s[30:31], s[22:23]
	s_wait_alu 0xfffe
	s_lshl_b64 s[92:93], s[92:93], 3
	s_wait_alu 0xfffe
	s_add_nc_u64 s[92:93], s[28:29], s[92:93]
	global_load_b64 v[0:1], v33, s[92:93]
	s_wait_loadcnt 0x0
	v_cmp_neq_f32_e32 vcc_lo, 1.0, v0
	v_cmp_neq_f32_e64 s20, 0, v1
	s_or_b32 s20, vcc_lo, s20
.LBB118_6:                              ;   in Loop: Header=BB118_4 Depth=1
	s_wait_alu 0xfffe
	s_and_not1_b32 vcc_lo, exec_lo, s20
	s_wait_alu 0xfffe
	s_cbranch_vccnz .LBB118_3
; %bb.7:                                ;   in Loop: Header=BB118_4 Depth=1
	s_and_not1_b32 vcc_lo, exec_lo, s19
	s_wait_alu 0xfffe
	s_cbranch_vccnz .LBB118_3
; %bb.8:                                ;   in Loop: Header=BB118_4 Depth=1
	s_mul_u64 s[92:93], s[26:27], s[22:23]
	s_wait_alu 0xfffe
	s_lshl_b64 s[92:93], s[92:93], 3
	s_wait_alu 0xfffe
	v_add_co_u32 v16, vcc_lo, v80, s92
	s_wait_alu 0xfffd
	v_add_co_ci_u32_e64 v17, null, s93, v81, vcc_lo
	s_and_saveexec_b32 s19, s0
	s_cbranch_execz .LBB118_13
; %bb.9:                                ;   in Loop: Header=BB118_4 Depth=1
	s_and_saveexec_b32 s20, s1
	s_wait_alu 0xfffe
	s_xor_b32 s20, exec_lo, s20
; %bb.10:                               ;   in Loop: Header=BB118_4 Depth=1
	v_mov_b32_e32 v32, v33
	ds_store_b64 v82, v[32:33]
; %bb.11:                               ;   in Loop: Header=BB118_4 Depth=1
	s_wait_alu 0xfffe
	s_and_not1_saveexec_b32 s20, s20
	s_cbranch_execz .LBB118_13
; %bb.12:                               ;   in Loop: Header=BB118_4 Depth=1
	global_load_b64 v[0:1], v[16:17], off
	s_wait_loadcnt 0x0
	ds_store_b64 v82, v[0:1]
.LBB118_13:                             ;   in Loop: Header=BB118_4 Depth=1
	s_wait_alu 0xfffe
	s_or_b32 exec_lo, exec_lo, s19
	s_mul_u64 s[92:93], s[46:47], s[22:23]
	s_mov_b32 s19, -1
	s_wait_alu 0xfffe
	s_lshl_b64 s[92:93], s[92:93], 3
	s_wait_alu 0xfffe
	v_add_co_u32 v0, vcc_lo, v83, s92
	s_wait_alu 0xfffd
	v_add_co_ci_u32_e64 v1, null, s93, v84, vcc_lo
	s_and_not1_b32 vcc_lo, exec_lo, s94
	s_wait_alu 0xfffe
	s_cbranch_vccnz .LBB118_15
; %bb.14:                               ;   in Loop: Header=BB118_4 Depth=1
	v_add_co_u32 v2, vcc_lo, v0, s48
	s_wait_alu 0xfffd
	v_add_co_ci_u32_e64 v3, null, s49, v1, vcc_lo
	s_mov_b32 s19, 0
	v_add_co_u32 v4, vcc_lo, v2, s48
	s_wait_alu 0xfffd
	v_add_co_ci_u32_e64 v5, null, s49, v3, vcc_lo
	s_delay_alu instid0(VALU_DEP_2) | instskip(SKIP_1) | instid1(VALU_DEP_2)
	v_add_co_u32 v6, vcc_lo, v4, s48
	s_wait_alu 0xfffd
	v_add_co_ci_u32_e64 v7, null, s49, v5, vcc_lo
	s_clause 0x3
	global_load_b64 v[8:9], v[0:1], off
	global_load_b64 v[2:3], v[2:3], off
	;; [unrolled: 1-line block ×4, first 2 shown]
	s_wait_loadcnt 0x3
	ds_store_b64 v98, v[8:9]
	s_wait_loadcnt 0x2
	ds_store_b64 v98, v[2:3] offset:2112
	s_wait_loadcnt 0x1
	ds_store_b64 v98, v[4:5] offset:4224
	;; [unrolled: 2-line block ×3, first 2 shown]
.LBB118_15:                             ;   in Loop: Header=BB118_4 Depth=1
	s_wait_alu 0xfffe
	s_and_not1_b32 vcc_lo, exec_lo, s19
	s_wait_alu 0xfffe
	s_cbranch_vccnz .LBB118_27
; %bb.16:                               ;   in Loop: Header=BB118_4 Depth=1
	s_and_saveexec_b32 s19, s3
	s_wait_alu 0xfffe
	s_xor_b32 s19, exec_lo, s19
; %bb.17:                               ;   in Loop: Header=BB118_4 Depth=1
	v_mov_b32_e32 v32, v33
	ds_store_b64 v98, v[32:33]
; %bb.18:                               ;   in Loop: Header=BB118_4 Depth=1
	s_wait_alu 0xfffe
	s_or_saveexec_b32 s19, s19
	v_add_co_u32 v2, vcc_lo, v0, v34
	s_wait_alu 0xfffd
	v_add_co_ci_u32_e64 v3, null, v1, v35, vcc_lo
	s_lshl_b64 s[92:93], s[34:35], 3
	s_wait_alu 0xfffe
	v_add_co_u32 v2, vcc_lo, v2, s92
	s_wait_alu 0xfffd
	v_add_co_ci_u32_e64 v3, null, s93, v3, vcc_lo
	s_delay_alu instid0(VALU_DEP_2) | instskip(SKIP_1) | instid1(VALU_DEP_2)
	v_add_co_u32 v2, vcc_lo, v2, -8
	s_wait_alu 0xfffd
	v_add_co_ci_u32_e64 v3, null, -1, v3, vcc_lo
	s_delay_alu instid0(VALU_DEP_2) | instskip(NEXT) | instid1(VALU_DEP_2)
	v_cndmask_b32_e64 v2, v2, v0, s2
	v_cndmask_b32_e64 v3, v3, v1, s2
	s_xor_b32 exec_lo, exec_lo, s19
	s_cbranch_execnz .LBB118_88
; %bb.19:                               ;   in Loop: Header=BB118_4 Depth=1
	s_or_b32 exec_lo, exec_lo, s19
	s_and_saveexec_b32 s19, s4
	s_wait_alu 0xfffe
	s_xor_b32 s19, exec_lo, s19
	s_cbranch_execnz .LBB118_89
.LBB118_20:                             ;   in Loop: Header=BB118_4 Depth=1
	s_wait_alu 0xfffe
	s_and_not1_saveexec_b32 s19, s19
	s_cbranch_execnz .LBB118_90
.LBB118_21:                             ;   in Loop: Header=BB118_4 Depth=1
	s_wait_alu 0xfffe
	s_or_b32 exec_lo, exec_lo, s19
	s_and_saveexec_b32 s19, s5
	s_wait_alu 0xfffe
	s_xor_b32 s19, exec_lo, s19
	s_cbranch_execnz .LBB118_91
.LBB118_22:                             ;   in Loop: Header=BB118_4 Depth=1
	s_wait_alu 0xfffe
	s_and_not1_saveexec_b32 s19, s19
	s_cbranch_execnz .LBB118_92
.LBB118_23:                             ;   in Loop: Header=BB118_4 Depth=1
	s_wait_alu 0xfffe
	s_or_b32 exec_lo, exec_lo, s19
	s_and_saveexec_b32 s19, s6
	s_wait_alu 0xfffe
	s_xor_b32 s19, exec_lo, s19
	s_cbranch_execnz .LBB118_93
.LBB118_24:                             ;   in Loop: Header=BB118_4 Depth=1
	s_wait_alu 0xfffe
	s_and_not1_saveexec_b32 s19, s19
	s_cbranch_execz .LBB118_26
.LBB118_25:                             ;   in Loop: Header=BB118_4 Depth=1
	v_add_co_u32 v4, vcc_lo, v2, s52
	s_wait_alu 0xfffd
	v_add_co_ci_u32_e64 v5, null, s53, v3, vcc_lo
	global_load_b64 v[4:5], v[4:5], off
	s_wait_loadcnt 0x0
	ds_store_b64 v98, v[4:5] offset:6336
.LBB118_26:                             ;   in Loop: Header=BB118_4 Depth=1
	s_wait_alu 0xfffe
	s_or_b32 exec_lo, exec_lo, s19
	v_add_co_u32 v2, vcc_lo, v2, v103
	s_wait_alu 0xfffd
	v_add_co_ci_u32_e64 v3, null, 0, v3, vcc_lo
	s_lshl_b64 s[92:93], s[56:57], 3
	s_wait_alu 0xfffe
	v_add_co_u32 v2, vcc_lo, v2, s92
	s_wait_alu 0xfffd
	v_add_co_ci_u32_e64 v3, null, s93, v3, vcc_lo
	s_delay_alu instid0(VALU_DEP_2) | instskip(SKIP_1) | instid1(VALU_DEP_2)
	v_add_co_u32 v2, vcc_lo, v2, 8
	s_wait_alu 0xfffd
	v_add_co_ci_u32_e64 v3, null, 0, v3, vcc_lo
	s_delay_alu instid0(VALU_DEP_2) | instskip(NEXT) | instid1(VALU_DEP_2)
	v_cndmask_b32_e64 v0, v2, v0, s2
	v_cndmask_b32_e64 v1, v3, v1, s2
.LBB118_27:                             ;   in Loop: Header=BB118_4 Depth=1
	s_wait_dscnt 0x0
	s_barrier_signal -1
	s_barrier_wait -1
	global_inv scope:SCOPE_SE
	s_and_saveexec_b32 s19, s7
	s_cbranch_execnz .LBB118_82
; %bb.28:                               ;   in Loop: Header=BB118_4 Depth=1
	s_wait_alu 0xfffe
	s_or_b32 exec_lo, exec_lo, s19
	s_and_saveexec_b32 s19, s8
	s_cbranch_execnz .LBB118_83
.LBB118_29:                             ;   in Loop: Header=BB118_4 Depth=1
	s_wait_alu 0xfffe
	s_or_b32 exec_lo, exec_lo, s19
	s_and_saveexec_b32 s19, s9
	s_cbranch_execnz .LBB118_84
.LBB118_30:                             ;   in Loop: Header=BB118_4 Depth=1
	s_wait_alu 0xfffe
	s_or_b32 exec_lo, exec_lo, s19
	s_and_saveexec_b32 s19, s10
	s_cbranch_execz .LBB118_32
.LBB118_31:                             ;   in Loop: Header=BB118_4 Depth=1
	ds_load_b64 v[2:3], v100 offset:528
	s_wait_dscnt 0x0
	ds_store_b64 v85, v[2:3] offset:24
.LBB118_32:                             ;   in Loop: Header=BB118_4 Depth=1
	s_wait_alu 0xfffe
	s_or_b32 exec_lo, exec_lo, s19
	s_wait_loadcnt_dscnt 0x0
	s_barrier_signal -1
	s_barrier_wait -1
	global_inv scope:SCOPE_SE
	ds_load_b64 v[14:15], v99
	ds_load_b128 v[2:5], v87
	ds_load_2addr_b64 v[6:9], v100 offset1:33
	ds_load_b128 v[10:13], v87 offset:16
	ds_load_b64 v[18:19], v100 offset:528
	s_wait_loadcnt_dscnt 0x0
	s_barrier_signal -1
	s_barrier_wait -1
	global_inv scope:SCOPE_SE
	v_dual_mov_b32 v43, 0 :: v_dual_mul_f32 v20, v3, v15
	v_dual_mul_f32 v15, v2, v15 :: v_dual_mul_f32 v22, v11, v9
	v_mul_f32_e32 v9, v10, v9
	s_delay_alu instid0(VALU_DEP_3) | instskip(SKIP_1) | instid1(VALU_DEP_4)
	v_fma_f32 v2, v2, v14, -v20
	v_mul_f32_e32 v21, v5, v7
	v_fmac_f32_e32 v15, v3, v14
	s_delay_alu instid0(VALU_DEP_4) | instskip(SKIP_3) | instid1(VALU_DEP_1)
	v_fmac_f32_e32 v9, v11, v8
	v_fma_f32 v10, v10, v8, -v22
	v_dual_add_f32 v2, 0, v2 :: v_dual_mul_f32 v7, v4, v7
	v_fma_f32 v4, v4, v6, -v21
	v_dual_add_f32 v2, v2, v4 :: v_dual_fmac_f32 v7, v5, v6
	v_mul_f32_e32 v6, v12, v19
	v_add_f32_e32 v5, 0, v15
	s_delay_alu instid0(VALU_DEP_3) | instskip(NEXT) | instid1(VALU_DEP_3)
	v_dual_mul_f32 v3, v13, v19 :: v_dual_add_f32 v2, v2, v10
	v_fmac_f32_e32 v6, v13, v18
	s_delay_alu instid0(VALU_DEP_3) | instskip(NEXT) | instid1(VALU_DEP_3)
	v_add_f32_e32 v4, v5, v7
	v_fma_f32 v3, v12, v18, -v3
	s_delay_alu instid0(VALU_DEP_2) | instskip(SKIP_1) | instid1(VALU_DEP_2)
	v_add_f32_e32 v4, v4, v9
	v_mov_b32_e32 v42, 0
	v_dual_add_f32 v2, v2, v3 :: v_dual_add_f32 v3, v4, v6
	ds_store_b64 v88, v[2:3]
	s_wait_loadcnt_dscnt 0x0
	s_barrier_signal -1
	s_barrier_wait -1
	global_inv scope:SCOPE_SE
	s_and_saveexec_b32 s19, s11
	s_cbranch_execz .LBB118_34
; %bb.33:                               ;   in Loop: Header=BB118_4 Depth=1
	ds_load_2addr_b64 v[2:5], v86 offset1:7
	ds_load_2addr_b64 v[6:9], v86 offset0:1 offset1:2
	ds_load_2addr_b64 v[10:13], v86 offset0:3 offset1:4
	;; [unrolled: 1-line block ×3, first 2 shown]
	s_wait_dscnt 0x2
	v_dual_add_f32 v2, v6, v2 :: v_dual_add_f32 v3, v7, v3
	s_delay_alu instid0(VALU_DEP_1) | instskip(SKIP_1) | instid1(VALU_DEP_1)
	v_dual_add_f32 v2, v8, v2 :: v_dual_add_f32 v3, v9, v3
	s_wait_dscnt 0x1
	v_dual_add_f32 v2, v2, v10 :: v_dual_add_f32 v3, v3, v11
	s_delay_alu instid0(VALU_DEP_1) | instskip(SKIP_1) | instid1(VALU_DEP_1)
	v_dual_add_f32 v2, v2, v12 :: v_dual_add_f32 v3, v3, v13
	s_wait_dscnt 0x0
	v_dual_add_f32 v2, v2, v18 :: v_dual_add_f32 v3, v3, v19
	s_delay_alu instid0(VALU_DEP_1) | instskip(NEXT) | instid1(VALU_DEP_1)
	v_dual_add_f32 v2, v2, v20 :: v_dual_add_f32 v3, v3, v21
	v_dual_add_f32 v42, v2, v4 :: v_dual_add_f32 v43, v3, v5
.LBB118_34:                             ;   in Loop: Header=BB118_4 Depth=1
	s_wait_alu 0xfffe
	s_or_b32 exec_lo, exec_lo, s19
	s_lshl_b64 s[92:93], s[54:55], 3
	s_mov_b32 s19, -1
	s_wait_alu 0xfffe
	v_add_co_u32 v0, vcc_lo, v0, s92
	s_wait_alu 0xfffd
	v_add_co_ci_u32_e64 v1, null, s93, v1, vcc_lo
	s_and_not1_b32 vcc_lo, exec_lo, s94
	s_wait_loadcnt 0x0
	s_barrier_signal -1
	s_barrier_wait -1
	global_inv scope:SCOPE_SE
	s_wait_alu 0xfffe
	s_cbranch_vccnz .LBB118_36
; %bb.35:                               ;   in Loop: Header=BB118_4 Depth=1
	v_add_co_u32 v2, vcc_lo, v0, s48
	s_wait_alu 0xfffd
	v_add_co_ci_u32_e64 v3, null, s49, v1, vcc_lo
	s_mov_b32 s19, 0
	v_add_co_u32 v4, vcc_lo, v2, s48
	s_wait_alu 0xfffd
	v_add_co_ci_u32_e64 v5, null, s49, v3, vcc_lo
	s_delay_alu instid0(VALU_DEP_2) | instskip(SKIP_1) | instid1(VALU_DEP_2)
	v_add_co_u32 v6, vcc_lo, v4, s48
	s_wait_alu 0xfffd
	v_add_co_ci_u32_e64 v7, null, s49, v5, vcc_lo
	s_clause 0x3
	global_load_b64 v[8:9], v[0:1], off offset:256
	global_load_b64 v[2:3], v[2:3], off offset:256
	global_load_b64 v[4:5], v[4:5], off offset:256
	global_load_b64 v[6:7], v[6:7], off offset:256
	s_wait_loadcnt 0x3
	ds_store_b64 v98, v[8:9]
	s_wait_loadcnt 0x2
	ds_store_b64 v98, v[2:3] offset:2112
	s_wait_loadcnt 0x1
	ds_store_b64 v98, v[4:5] offset:4224
	;; [unrolled: 2-line block ×3, first 2 shown]
.LBB118_36:                             ;   in Loop: Header=BB118_4 Depth=1
	v_add_co_u32 v2, vcc_lo, 0x100, v0
	s_wait_alu 0xfffd
	v_add_co_ci_u32_e64 v3, null, 0, v1, vcc_lo
	s_wait_alu 0xfffe
	s_and_not1_b32 vcc_lo, exec_lo, s19
	s_wait_alu 0xfffe
	s_cbranch_vccnz .LBB118_48
; %bb.37:                               ;   in Loop: Header=BB118_4 Depth=1
	s_and_saveexec_b32 s19, s13
	s_wait_alu 0xfffe
	s_xor_b32 s19, exec_lo, s19
; %bb.38:                               ;   in Loop: Header=BB118_4 Depth=1
	v_mov_b32_e32 v32, v33
	ds_store_b64 v98, v[32:33]
; %bb.39:                               ;   in Loop: Header=BB118_4 Depth=1
	s_wait_alu 0xfffe
	s_or_saveexec_b32 s19, s19
	v_add_co_u32 v0, vcc_lo, v0, v34
	s_wait_alu 0xfffd
	v_add_co_ci_u32_e64 v1, null, v1, v35, vcc_lo
	s_lshl_b64 s[92:93], s[34:35], 3
	s_wait_alu 0xfffe
	v_add_co_u32 v0, vcc_lo, v0, s92
	s_wait_alu 0xfffd
	v_add_co_ci_u32_e64 v1, null, s93, v1, vcc_lo
	s_delay_alu instid0(VALU_DEP_2) | instskip(SKIP_1) | instid1(VALU_DEP_2)
	v_add_co_u32 v0, vcc_lo, v0, -8
	s_wait_alu 0xfffd
	v_add_co_ci_u32_e64 v1, null, -1, v1, vcc_lo
	s_delay_alu instid0(VALU_DEP_2) | instskip(NEXT) | instid1(VALU_DEP_2)
	v_cndmask_b32_e64 v0, v0, v2, s12
	v_cndmask_b32_e64 v1, v1, v3, s12
	s_xor_b32 exec_lo, exec_lo, s19
	s_cbranch_execnz .LBB118_94
; %bb.40:                               ;   in Loop: Header=BB118_4 Depth=1
	s_or_b32 exec_lo, exec_lo, s19
	s_and_saveexec_b32 s19, s14
	s_wait_alu 0xfffe
	s_xor_b32 s19, exec_lo, s19
	s_cbranch_execnz .LBB118_95
.LBB118_41:                             ;   in Loop: Header=BB118_4 Depth=1
	s_wait_alu 0xfffe
	s_and_not1_saveexec_b32 s19, s19
	s_cbranch_execnz .LBB118_96
.LBB118_42:                             ;   in Loop: Header=BB118_4 Depth=1
	s_wait_alu 0xfffe
	s_or_b32 exec_lo, exec_lo, s19
	s_and_saveexec_b32 s19, s15
	s_wait_alu 0xfffe
	s_xor_b32 s19, exec_lo, s19
	s_cbranch_execnz .LBB118_97
.LBB118_43:                             ;   in Loop: Header=BB118_4 Depth=1
	s_wait_alu 0xfffe
	s_and_not1_saveexec_b32 s19, s19
	s_cbranch_execnz .LBB118_98
.LBB118_44:                             ;   in Loop: Header=BB118_4 Depth=1
	s_wait_alu 0xfffe
	s_or_b32 exec_lo, exec_lo, s19
	s_and_saveexec_b32 s19, s16
	s_wait_alu 0xfffe
	s_xor_b32 s19, exec_lo, s19
	s_cbranch_execnz .LBB118_99
.LBB118_45:                             ;   in Loop: Header=BB118_4 Depth=1
	s_wait_alu 0xfffe
	s_and_not1_saveexec_b32 s19, s19
	s_cbranch_execz .LBB118_47
.LBB118_46:                             ;   in Loop: Header=BB118_4 Depth=1
	v_add_co_u32 v4, vcc_lo, v0, s52
	s_wait_alu 0xfffd
	v_add_co_ci_u32_e64 v5, null, s53, v1, vcc_lo
	global_load_b64 v[4:5], v[4:5], off
	s_wait_loadcnt 0x0
	ds_store_b64 v98, v[4:5] offset:6336
.LBB118_47:                             ;   in Loop: Header=BB118_4 Depth=1
	s_wait_alu 0xfffe
	s_or_b32 exec_lo, exec_lo, s19
	v_add_co_u32 v0, vcc_lo, v0, v103
	s_wait_alu 0xfffd
	v_add_co_ci_u32_e64 v1, null, 0, v1, vcc_lo
	s_lshl_b64 s[92:93], s[56:57], 3
	s_wait_alu 0xfffe
	v_add_co_u32 v0, vcc_lo, v0, s92
	s_wait_alu 0xfffd
	v_add_co_ci_u32_e64 v1, null, s93, v1, vcc_lo
	s_delay_alu instid0(VALU_DEP_2) | instskip(SKIP_1) | instid1(VALU_DEP_2)
	v_add_co_u32 v0, vcc_lo, 0x108, v0
	s_wait_alu 0xfffd
	v_add_co_ci_u32_e64 v1, null, 0, v1, vcc_lo
	s_delay_alu instid0(VALU_DEP_2) | instskip(NEXT) | instid1(VALU_DEP_2)
	v_cndmask_b32_e64 v2, v0, v2, s12
	v_cndmask_b32_e64 v3, v1, v3, s12
.LBB118_48:                             ;   in Loop: Header=BB118_4 Depth=1
	s_wait_loadcnt_dscnt 0x0
	s_barrier_signal -1
	s_barrier_wait -1
	global_inv scope:SCOPE_SE
	s_and_saveexec_b32 s19, s7
	s_cbranch_execnz .LBB118_85
; %bb.49:                               ;   in Loop: Header=BB118_4 Depth=1
	s_wait_alu 0xfffe
	s_or_b32 exec_lo, exec_lo, s19
	s_and_saveexec_b32 s19, s8
	s_cbranch_execnz .LBB118_86
.LBB118_50:                             ;   in Loop: Header=BB118_4 Depth=1
	s_wait_alu 0xfffe
	s_or_b32 exec_lo, exec_lo, s19
	s_and_saveexec_b32 s19, s9
	s_cbranch_execnz .LBB118_87
.LBB118_51:                             ;   in Loop: Header=BB118_4 Depth=1
	s_wait_alu 0xfffe
	s_or_b32 exec_lo, exec_lo, s19
	s_and_saveexec_b32 s19, s10
	s_cbranch_execz .LBB118_53
.LBB118_52:                             ;   in Loop: Header=BB118_4 Depth=1
	ds_load_b64 v[0:1], v100 offset:528
	s_wait_dscnt 0x0
	ds_store_b64 v85, v[0:1] offset:24
.LBB118_53:                             ;   in Loop: Header=BB118_4 Depth=1
	s_wait_alu 0xfffe
	s_or_b32 exec_lo, exec_lo, s19
	s_wait_loadcnt_dscnt 0x0
	s_barrier_signal -1
	s_barrier_wait -1
	global_inv scope:SCOPE_SE
	ds_load_b64 v[0:1], v99
	ds_load_b128 v[4:7], v87 offset:256
	ds_load_2addr_b64 v[8:11], v100 offset1:33
	ds_load_b128 v[12:15], v87 offset:272
	ds_load_b64 v[18:19], v100 offset:528
	s_wait_loadcnt_dscnt 0x0
	s_barrier_signal -1
	s_barrier_wait -1
	global_inv scope:SCOPE_SE
	v_mul_f32_e32 v20, v5, v1
	v_dual_mul_f32 v1, v4, v1 :: v_dual_mul_f32 v22, v13, v11
	v_mul_f32_e32 v11, v12, v11
	s_delay_alu instid0(VALU_DEP_3) | instskip(SKIP_3) | instid1(VALU_DEP_4)
	v_fma_f32 v4, v4, v0, -v20
	v_mul_f32_e32 v21, v7, v9
	v_mul_f32_e32 v9, v6, v9
	v_dual_fmac_f32 v1, v5, v0 :: v_dual_mul_f32 v0, v15, v19
	v_add_f32_e32 v4, 0, v4
	s_delay_alu instid0(VALU_DEP_4) | instskip(NEXT) | instid1(VALU_DEP_4)
	v_fma_f32 v5, v6, v8, -v21
	v_dual_fmac_f32 v9, v7, v8 :: v_dual_mul_f32 v6, v14, v19
	s_delay_alu instid0(VALU_DEP_4) | instskip(SKIP_1) | instid1(VALU_DEP_4)
	v_add_f32_e32 v1, 0, v1
	v_fma_f32 v7, v12, v10, -v22
	v_dual_add_f32 v4, v4, v5 :: v_dual_fmac_f32 v11, v13, v10
	v_fma_f32 v0, v14, v18, -v0
	v_fmac_f32_e32 v6, v15, v18
	s_delay_alu instid0(VALU_DEP_3) | instskip(NEXT) | instid1(VALU_DEP_1)
	v_dual_add_f32 v4, v4, v7 :: v_dual_add_f32 v1, v1, v9
	v_dual_add_f32 v0, v4, v0 :: v_dual_add_f32 v1, v1, v11
	s_delay_alu instid0(VALU_DEP_1)
	v_add_f32_e32 v1, v1, v6
	ds_store_b64 v88, v[0:1]
	s_wait_loadcnt_dscnt 0x0
	s_barrier_signal -1
	s_barrier_wait -1
	global_inv scope:SCOPE_SE
	s_and_saveexec_b32 s19, s17
	s_cbranch_execz .LBB118_55
; %bb.54:                               ;   in Loop: Header=BB118_4 Depth=1
	ds_load_2addr_b64 v[4:7], v86 offset1:7
	ds_load_2addr_b64 v[8:11], v86 offset0:1 offset1:2
	ds_load_2addr_b64 v[12:15], v86 offset0:3 offset1:4
	;; [unrolled: 1-line block ×3, first 2 shown]
	s_wait_dscnt 0x2
	v_dual_add_f32 v0, v8, v4 :: v_dual_add_f32 v1, v9, v5
	s_delay_alu instid0(VALU_DEP_1) | instskip(SKIP_1) | instid1(VALU_DEP_1)
	v_dual_add_f32 v0, v10, v0 :: v_dual_add_f32 v1, v11, v1
	s_wait_dscnt 0x1
	v_dual_add_f32 v0, v0, v12 :: v_dual_add_f32 v1, v1, v13
	s_delay_alu instid0(VALU_DEP_1) | instskip(SKIP_1) | instid1(VALU_DEP_1)
	v_dual_add_f32 v0, v0, v14 :: v_dual_add_f32 v1, v1, v15
	s_wait_dscnt 0x0
	v_dual_add_f32 v0, v0, v18 :: v_dual_add_f32 v1, v1, v19
	s_delay_alu instid0(VALU_DEP_1) | instskip(NEXT) | instid1(VALU_DEP_1)
	v_dual_add_f32 v0, v0, v20 :: v_dual_add_f32 v1, v1, v21
	v_dual_add_f32 v42, v0, v6 :: v_dual_add_f32 v43, v1, v7
.LBB118_55:                             ;   in Loop: Header=BB118_4 Depth=1
	s_wait_alu 0xfffe
	s_or_b32 exec_lo, exec_lo, s19
	v_add_co_u32 v18, vcc_lo, v2, s86
	s_wait_alu 0xfffd
	v_add_co_ci_u32_e64 v19, null, s87, v3, vcc_lo
	s_and_not1_b32 vcc_lo, exec_lo, s94
	s_mov_b32 s19, -1
	s_wait_loadcnt 0x0
	s_barrier_signal -1
	s_barrier_wait -1
	global_inv scope:SCOPE_SE
	s_wait_alu 0xfffe
	s_cbranch_vccnz .LBB118_57
; %bb.56:                               ;   in Loop: Header=BB118_4 Depth=1
	v_add_co_u32 v0, vcc_lo, v18, s48
	s_wait_alu 0xfffd
	v_add_co_ci_u32_e64 v1, null, s49, v19, vcc_lo
	s_mov_b32 s19, 0
	v_add_co_u32 v2, vcc_lo, v0, s48
	s_wait_alu 0xfffd
	v_add_co_ci_u32_e64 v3, null, s49, v1, vcc_lo
	s_delay_alu instid0(VALU_DEP_2) | instskip(SKIP_1) | instid1(VALU_DEP_2)
	v_add_co_u32 v4, vcc_lo, v2, s48
	s_wait_alu 0xfffd
	v_add_co_ci_u32_e64 v5, null, s49, v3, vcc_lo
	s_clause 0x3
	global_load_b64 v[6:7], v[18:19], off
	global_load_b64 v[0:1], v[0:1], off
	;; [unrolled: 1-line block ×4, first 2 shown]
	s_wait_loadcnt 0x3
	ds_store_b64 v98, v[6:7]
	s_wait_loadcnt 0x2
	ds_store_b64 v98, v[0:1] offset:2112
	s_wait_loadcnt 0x1
	ds_store_b64 v98, v[2:3] offset:4224
	;; [unrolled: 2-line block ×3, first 2 shown]
.LBB118_57:                             ;   in Loop: Header=BB118_4 Depth=1
	s_wait_alu 0xfffe
	s_and_not1_b32 vcc_lo, exec_lo, s19
	s_wait_alu 0xfffe
	s_cbranch_vccnz .LBB118_69
; %bb.58:                               ;   in Loop: Header=BB118_4 Depth=1
	s_and_saveexec_b32 s19, s3
	s_wait_alu 0xfffe
	s_xor_b32 s19, exec_lo, s19
; %bb.59:                               ;   in Loop: Header=BB118_4 Depth=1
	v_mov_b32_e32 v32, v33
	ds_store_b64 v98, v[32:33]
; %bb.60:                               ;   in Loop: Header=BB118_4 Depth=1
	s_wait_alu 0xfffe
	s_or_saveexec_b32 s19, s19
	v_add_co_u32 v0, vcc_lo, v18, v34
	s_wait_alu 0xfffd
	v_add_co_ci_u32_e64 v1, null, v19, v35, vcc_lo
	s_lshl_b64 s[92:93], s[34:35], 3
	s_wait_alu 0xfffe
	v_add_co_u32 v0, vcc_lo, v0, s92
	s_wait_alu 0xfffd
	v_add_co_ci_u32_e64 v1, null, s93, v1, vcc_lo
	s_delay_alu instid0(VALU_DEP_2) | instskip(SKIP_1) | instid1(VALU_DEP_2)
	v_add_co_u32 v0, vcc_lo, 0xfffffef8, v0
	s_wait_alu 0xfffd
	v_add_co_ci_u32_e64 v1, null, -1, v1, vcc_lo
	s_delay_alu instid0(VALU_DEP_2) | instskip(NEXT) | instid1(VALU_DEP_2)
	v_cndmask_b32_e64 v0, v0, v18, s12
	v_cndmask_b32_e64 v1, v1, v19, s12
	s_xor_b32 exec_lo, exec_lo, s19
	s_cbranch_execnz .LBB118_100
; %bb.61:                               ;   in Loop: Header=BB118_4 Depth=1
	s_or_b32 exec_lo, exec_lo, s19
	s_and_saveexec_b32 s19, s4
	s_wait_alu 0xfffe
	s_xor_b32 s19, exec_lo, s19
	s_cbranch_execnz .LBB118_101
.LBB118_62:                             ;   in Loop: Header=BB118_4 Depth=1
	s_wait_alu 0xfffe
	s_and_not1_saveexec_b32 s19, s19
	s_cbranch_execnz .LBB118_102
.LBB118_63:                             ;   in Loop: Header=BB118_4 Depth=1
	s_wait_alu 0xfffe
	s_or_b32 exec_lo, exec_lo, s19
	s_and_saveexec_b32 s19, s5
	s_wait_alu 0xfffe
	s_xor_b32 s19, exec_lo, s19
	s_cbranch_execnz .LBB118_103
.LBB118_64:                             ;   in Loop: Header=BB118_4 Depth=1
	s_wait_alu 0xfffe
	s_and_not1_saveexec_b32 s19, s19
	s_cbranch_execnz .LBB118_104
.LBB118_65:                             ;   in Loop: Header=BB118_4 Depth=1
	s_wait_alu 0xfffe
	s_or_b32 exec_lo, exec_lo, s19
	s_and_saveexec_b32 s19, s6
	s_wait_alu 0xfffe
	s_xor_b32 s19, exec_lo, s19
	s_cbranch_execnz .LBB118_105
.LBB118_66:                             ;   in Loop: Header=BB118_4 Depth=1
	s_wait_alu 0xfffe
	s_and_not1_saveexec_b32 s19, s19
	s_cbranch_execz .LBB118_68
.LBB118_67:                             ;   in Loop: Header=BB118_4 Depth=1
	v_add_co_u32 v2, vcc_lo, v0, s52
	s_wait_alu 0xfffd
	v_add_co_ci_u32_e64 v3, null, s53, v1, vcc_lo
	global_load_b64 v[2:3], v[2:3], off
	s_wait_loadcnt 0x0
	ds_store_b64 v98, v[2:3] offset:6336
.LBB118_68:                             ;   in Loop: Header=BB118_4 Depth=1
	s_wait_alu 0xfffe
	s_or_b32 exec_lo, exec_lo, s19
	v_add_co_u32 v0, vcc_lo, v0, v103
	s_wait_alu 0xfffd
	v_add_co_ci_u32_e64 v1, null, 0, v1, vcc_lo
	s_lshl_b64 s[92:93], s[56:57], 3
	s_wait_alu 0xfffe
	v_add_co_u32 v0, vcc_lo, v0, s92
	s_wait_alu 0xfffd
	v_add_co_ci_u32_e64 v1, null, s93, v1, vcc_lo
	s_delay_alu instid0(VALU_DEP_2) | instskip(SKIP_1) | instid1(VALU_DEP_2)
	v_add_co_u32 v0, vcc_lo, 0x108, v0
	s_wait_alu 0xfffd
	v_add_co_ci_u32_e64 v1, null, 0, v1, vcc_lo
	s_delay_alu instid0(VALU_DEP_2) | instskip(NEXT) | instid1(VALU_DEP_2)
	v_cndmask_b32_e64 v18, v0, v18, s12
	v_cndmask_b32_e64 v19, v1, v19, s12
.LBB118_69:                             ;   in Loop: Header=BB118_4 Depth=1
	s_wait_loadcnt_dscnt 0x0
	s_barrier_signal -1
	s_barrier_wait -1
	global_inv scope:SCOPE_SE
	ds_load_b64 v[24:25], v101
	ds_load_b64 v[26:27], v98
	ds_load_b64 v[28:29], v98 offset:2112
	ds_load_2addr_b64 v[20:23], v97 offset0:8 offset1:16
	ds_load_b64 v[30:31], v98 offset:6336
	ds_load_b64 v[44:45], v98 offset:4224
	;; [unrolled: 1-line block ×3, first 2 shown]
	ds_load_b128 v[8:11], v87 offset:256
	ds_load_b128 v[0:3], v87 offset:272
	ds_load_2addr_b64 v[12:15], v89 offset1:1
	ds_load_2addr_b64 v[4:7], v89 offset0:2 offset1:3
	s_wait_loadcnt_dscnt 0x0
	s_barrier_signal -1
	s_barrier_wait -1
	global_inv scope:SCOPE_SE
	v_mul_f32_e32 v32, v25, v27
	v_dual_mul_f32 v27, v24, v27 :: v_dual_mul_f32 v48, v21, v29
	v_mul_f32_e32 v29, v20, v29
	v_mul_f32_e32 v49, v23, v45
	;; [unrolled: 1-line block ×3, first 2 shown]
	v_fma_f32 v24, v24, v26, -v32
	v_dual_fmac_f32 v27, v25, v26 :: v_dual_mul_f32 v26, v46, v31
	v_mul_f32_e32 v25, v22, v45
	v_fma_f32 v20, v20, v28, -v48
	v_fmac_f32_e32 v29, v21, v28
	v_fma_f32 v22, v22, v44, -v49
	v_dual_add_f32 v21, 0, v24 :: v_dual_add_f32 v24, 0, v27
	v_fmac_f32_e32 v26, v47, v30
	s_delay_alu instid0(VALU_DEP_2) | instskip(NEXT) | instid1(VALU_DEP_1)
	v_dual_add_f32 v20, v21, v20 :: v_dual_add_f32 v21, v24, v29
	v_dual_add_f32 v20, v20, v22 :: v_dual_fmac_f32 v25, v23, v44
	v_fma_f32 v23, v46, v30, -v50
	s_delay_alu instid0(VALU_DEP_1) | instskip(NEXT) | instid1(VALU_DEP_1)
	v_dual_add_f32 v20, v20, v23 :: v_dual_add_f32 v21, v21, v25
	v_add_f32_e32 v21, v21, v26
	ds_store_b64 v88, v[20:21]
	s_wait_loadcnt_dscnt 0x0
	s_barrier_signal -1
	s_barrier_wait -1
	global_inv scope:SCOPE_SE
	s_and_saveexec_b32 s19, s17
	s_cbranch_execz .LBB118_71
; %bb.70:                               ;   in Loop: Header=BB118_4 Depth=1
	ds_load_2addr_b64 v[20:23], v86 offset1:1
	ds_load_2addr_b64 v[24:27], v86 offset0:2 offset1:3
	ds_load_2addr_b64 v[28:31], v86 offset0:4 offset1:5
	s_wait_dscnt 0x2
	v_dual_add_f32 v20, v42, v20 :: v_dual_add_f32 v21, v43, v21
	s_delay_alu instid0(VALU_DEP_1) | instskip(NEXT) | instid1(VALU_DEP_2)
	v_add_f32_e32 v42, v21, v23
	v_add_f32_e32 v32, v20, v22
	ds_load_2addr_b64 v[20:23], v86 offset0:6 offset1:7
	s_wait_dscnt 0x2
	v_dual_add_f32 v25, v42, v25 :: v_dual_add_f32 v24, v32, v24
	s_delay_alu instid0(VALU_DEP_1) | instskip(SKIP_1) | instid1(VALU_DEP_1)
	v_dual_add_f32 v25, v25, v27 :: v_dual_add_f32 v24, v24, v26
	s_wait_dscnt 0x1
	v_dual_add_f32 v25, v25, v29 :: v_dual_add_f32 v24, v24, v28
	s_delay_alu instid0(VALU_DEP_1) | instskip(SKIP_1) | instid1(VALU_DEP_1)
	v_dual_add_f32 v25, v25, v31 :: v_dual_add_f32 v24, v24, v30
	s_wait_dscnt 0x0
	v_dual_add_f32 v21, v25, v21 :: v_dual_add_f32 v20, v24, v20
	s_delay_alu instid0(VALU_DEP_1)
	v_dual_add_f32 v43, v21, v23 :: v_dual_add_f32 v42, v20, v22
.LBB118_71:                             ;   in Loop: Header=BB118_4 Depth=1
	s_wait_alu 0xfffe
	s_or_b32 exec_lo, exec_lo, s19
	v_dual_mul_f32 v20, v9, v13 :: v_dual_mul_f32 v21, v11, v15
	v_mul_f32_e32 v13, v8, v13
	v_dual_mul_f32 v15, v10, v15 :: v_dual_mul_f32 v22, v1, v5
	s_delay_alu instid0(VALU_DEP_3) | instskip(NEXT) | instid1(VALU_DEP_4)
	v_fma_f32 v8, v8, v12, -v20
	v_fma_f32 v10, v10, v14, -v21
	v_mul_f32_e32 v5, v0, v5
	s_delay_alu instid0(VALU_DEP_4)
	v_fmac_f32_e32 v15, v11, v14
	v_fma_f32 v0, v0, v4, -v22
	v_add_f32_e32 v8, 0, v8
	v_fmac_f32_e32 v13, v9, v12
	v_fmac_f32_e32 v5, v1, v4
	s_wait_loadcnt 0x0
	s_barrier_signal -1
	v_dual_add_f32 v8, v8, v10 :: v_dual_mul_f32 v9, v3, v7
	v_mul_f32_e32 v7, v2, v7
	s_barrier_wait -1
	global_inv scope:SCOPE_SE
	v_add_f32_e32 v0, v8, v0
	v_fma_f32 v2, v2, v6, -v9
	v_add_f32_e32 v11, 0, v13
	v_fmac_f32_e32 v7, v3, v6
	s_delay_alu instid0(VALU_DEP_2) | instskip(NEXT) | instid1(VALU_DEP_1)
	v_dual_add_f32 v0, v0, v2 :: v_dual_add_f32 v1, v11, v15
	v_add_f32_e32 v1, v1, v5
	s_delay_alu instid0(VALU_DEP_1)
	v_add_f32_e32 v1, v1, v7
	ds_store_b64 v88, v[0:1]
	s_wait_loadcnt_dscnt 0x0
	s_barrier_signal -1
	s_barrier_wait -1
	global_inv scope:SCOPE_SE
	s_and_saveexec_b32 s19, s11
	s_cbranch_execz .LBB118_73
; %bb.72:                               ;   in Loop: Header=BB118_4 Depth=1
	ds_load_2addr_b64 v[0:3], v86 offset1:1
	ds_load_2addr_b64 v[4:7], v86 offset0:2 offset1:3
	ds_load_2addr_b64 v[8:11], v86 offset0:4 offset1:5
	s_wait_dscnt 0x2
	v_dual_add_f32 v0, v42, v0 :: v_dual_add_f32 v1, v43, v1
	s_delay_alu instid0(VALU_DEP_1) | instskip(SKIP_3) | instid1(VALU_DEP_1)
	v_dual_add_f32 v12, v0, v2 :: v_dual_add_f32 v13, v1, v3
	ds_load_2addr_b64 v[0:3], v86 offset0:6 offset1:7
	s_wait_dscnt 0x2
	v_dual_add_f32 v4, v12, v4 :: v_dual_add_f32 v5, v13, v5
	v_dual_add_f32 v4, v4, v6 :: v_dual_add_f32 v5, v5, v7
	s_wait_dscnt 0x1
	s_delay_alu instid0(VALU_DEP_1) | instskip(NEXT) | instid1(VALU_DEP_1)
	v_dual_add_f32 v4, v4, v8 :: v_dual_add_f32 v5, v5, v9
	v_dual_add_f32 v4, v4, v10 :: v_dual_add_f32 v5, v5, v11
	s_wait_dscnt 0x0
	s_delay_alu instid0(VALU_DEP_1) | instskip(NEXT) | instid1(VALU_DEP_1)
	v_dual_add_f32 v0, v4, v0 :: v_dual_add_f32 v1, v5, v1
	v_dual_add_f32 v42, v0, v2 :: v_dual_add_f32 v43, v1, v3
.LBB118_73:                             ;   in Loop: Header=BB118_4 Depth=1
	s_wait_alu 0xfffe
	s_or_b32 exec_lo, exec_lo, s19
	s_mul_u64 s[92:93], s[40:41], s[22:23]
	s_and_not1_b32 vcc_lo, exec_lo, s95
	s_wait_alu 0xfffe
	s_lshl_b64 s[92:93], s[92:93], 3
	s_wait_loadcnt 0x0
	s_wait_alu 0xfffe
	s_add_nc_u64 s[92:93], s[42:43], s[92:93]
	s_barrier_signal -1
	s_barrier_wait -1
	global_inv scope:SCOPE_SE
	s_cbranch_vccnz .LBB118_80
; %bb.74:                               ;   in Loop: Header=BB118_4 Depth=1
	v_add_co_u32 v0, vcc_lo, v18, s90
	s_wait_alu 0xfffd
	v_add_co_ci_u32_e64 v1, null, s91, v19, vcc_lo
	v_lshlrev_b32_e32 v2, 3, v78
	s_delay_alu instid0(VALU_DEP_3) | instskip(SKIP_1) | instid1(VALU_DEP_3)
	v_add_co_u32 v0, vcc_lo, v0, v36
	s_wait_alu 0xfffd
	v_add_co_ci_u32_e64 v1, null, v1, v37, vcc_lo
	s_lshl_b64 s[98:99], s[34:35], 3
	v_add_co_u32 v0, vcc_lo, v0, v38
	s_wait_alu 0xfffd
	v_add_co_ci_u32_e64 v1, null, v1, v39, vcc_lo
	s_mov_b32 s19, ttmp9
	s_wait_alu 0xfffe
	v_add_co_u32 v3, vcc_lo, v0, s98
	s_wait_alu 0xfffd
	v_add_co_ci_u32_e64 v4, null, s99, v1, vcc_lo
	v_add_co_u32 v0, vcc_lo, v0, v2
	s_wait_alu 0xfffd
	v_add_co_ci_u32_e64 v1, null, 0, v1, vcc_lo
	v_add_co_u32 v2, vcc_lo, 0xfffffef8, v3
	s_wait_alu 0xfffd
	v_add_co_ci_u32_e64 v3, null, -1, v4, vcc_lo
	v_add_co_u32 v0, vcc_lo, 0xffffff00, v0
	s_wait_alu 0xfffd
	v_add_co_ci_u32_e64 v1, null, -1, v1, vcc_lo
	v_add_co_u32 v104, vcc_lo, v16, s88
	s_wait_alu 0xfffd
	v_add_co_ci_u32_e64 v105, null, s89, v17, vcc_lo
	s_delay_alu instid0(VALU_DEP_3)
	v_cndmask_b32_e64 v45, v1, v3, s1
	v_cndmask_b32_e64 v44, v0, v2, s1
	s_mov_b32 s20, 0
	s_branch .LBB118_76
.LBB118_75:                             ;   in Loop: Header=BB118_76 Depth=2
	s_or_b32 exec_lo, exec_lo, s23
	v_mul_f32_e32 v32, v5, v47
	v_dual_mul_f32 v5, v5, v46 :: v_dual_mul_f32 v106, v7, v53
	v_mul_f32_e32 v7, v7, v52
	v_mul_f32_e32 v107, v1, v51
	s_delay_alu instid0(VALU_DEP_4) | instskip(SKIP_3) | instid1(VALU_DEP_4)
	v_fma_f32 v32, v4, v46, -v32
	v_mul_f32_e32 v1, v1, v50
	v_fma_f32 v52, v6, v52, -v106
	v_dual_mul_f32 v46, v3, v49 :: v_dual_fmac_f32 v5, v4, v47
	v_add_f32_e32 v32, v42, v32
	v_fma_f32 v4, v0, v50, -v107
	v_dual_mul_f32 v3, v3, v48 :: v_dual_mul_f32 v42, v13, v61
	v_fmac_f32_e32 v1, v0, v51
	s_delay_alu instid0(VALU_DEP_4) | instskip(SKIP_2) | instid1(VALU_DEP_3)
	v_dual_add_f32 v32, v32, v52 :: v_dual_mul_f32 v47, v15, v59
	v_fmac_f32_e32 v7, v6, v53
	v_fma_f32 v6, v2, v48, -v46
	v_dual_fmac_f32 v3, v2, v49 :: v_dual_add_f32 v4, v32, v4
	v_mul_f32_e32 v13, v13, v60
	v_add_co_u32 v44, vcc_lo, v44, s60
	s_wait_alu 0xfffd
	v_add_co_ci_u32_e64 v45, null, s61, v45, vcc_lo
	v_add_f32_e32 v4, v4, v6
	v_mul_f32_e32 v6, v9, v57
	v_add_f32_e32 v5, v43, v5
	v_mul_f32_e32 v15, v15, v58
	v_fmac_f32_e32 v13, v12, v61
	s_wait_alu 0xfffe
	s_add_co_i32 s19, s19, -1
	s_add_co_i32 s20, s20, 64
	v_add_f32_e32 v0, v5, v7
	v_fma_f32 v5, v12, v60, -v42
	v_fmac_f32_e32 v15, v14, v59
	s_wait_alu 0xfffe
	s_cmp_eq_u32 s19, 0
	s_wait_loadcnt 0x0
	s_wait_storecnt 0x0
	v_add_f32_e32 v0, v0, v1
	v_fma_f32 v1, v14, v58, -v47
	v_add_f32_e32 v2, v4, v5
	v_mul_f32_e32 v4, v11, v55
	s_barrier_signal -1
	v_add_f32_e32 v0, v0, v3
	v_fma_f32 v3, v8, v56, -v6
	v_dual_add_f32 v1, v2, v1 :: v_dual_mul_f32 v2, v9, v56
	v_fma_f32 v4, v10, v54, -v4
	s_barrier_wait -1
	global_inv scope:SCOPE_SE
	v_dual_add_f32 v1, v1, v3 :: v_dual_fmac_f32 v2, v8, v57
	v_mul_f32_e32 v5, v11, v54
	s_delay_alu instid0(VALU_DEP_2) | instskip(NEXT) | instid1(VALU_DEP_2)
	v_dual_add_f32 v1, v1, v4 :: v_dual_mul_f32 v4, v19, v67
	v_dual_add_f32 v0, v0, v13 :: v_dual_fmac_f32 v5, v10, v55
	s_delay_alu instid0(VALU_DEP_1) | instskip(NEXT) | instid1(VALU_DEP_1)
	v_dual_add_f32 v0, v0, v15 :: v_dual_mul_f32 v3, v17, v69
	v_add_f32_e32 v0, v0, v2
	s_delay_alu instid0(VALU_DEP_2) | instskip(SKIP_1) | instid1(VALU_DEP_2)
	v_fma_f32 v3, v16, v68, -v3
	v_mul_f32_e32 v2, v17, v68
	v_dual_add_f32 v0, v0, v5 :: v_dual_add_f32 v1, v1, v3
	v_fma_f32 v3, v18, v66, -v4
	v_dual_mul_f32 v4, v21, v65 :: v_dual_mul_f32 v5, v19, v66
	s_delay_alu instid0(VALU_DEP_2) | instskip(NEXT) | instid1(VALU_DEP_2)
	v_dual_fmac_f32 v2, v16, v69 :: v_dual_add_f32 v1, v1, v3
	v_fma_f32 v3, v20, v64, -v4
	v_mul_f32_e32 v4, v23, v63
	s_delay_alu instid0(VALU_DEP_3) | instskip(SKIP_1) | instid1(VALU_DEP_4)
	v_dual_add_f32 v0, v0, v2 :: v_dual_fmac_f32 v5, v18, v67
	v_mul_f32_e32 v2, v21, v64
	v_add_f32_e32 v1, v1, v3
	s_delay_alu instid0(VALU_DEP_4) | instskip(SKIP_2) | instid1(VALU_DEP_3)
	v_fma_f32 v3, v22, v62, -v4
	v_mul_f32_e32 v4, v25, v77
	v_dual_add_f32 v0, v0, v5 :: v_dual_mul_f32 v5, v23, v62
	v_dual_fmac_f32 v2, v20, v65 :: v_dual_add_f32 v1, v1, v3
	v_mul_f32_e32 v3, v27, v75
	s_delay_alu instid0(VALU_DEP_2) | instskip(SKIP_2) | instid1(VALU_DEP_2)
	v_dual_fmac_f32 v5, v22, v63 :: v_dual_add_f32 v0, v0, v2
	v_fma_f32 v2, v24, v76, -v4
	v_mul_f32_e32 v4, v25, v76
	v_add_f32_e32 v1, v1, v2
	v_fma_f32 v2, v26, v74, -v3
	v_dual_add_f32 v0, v0, v5 :: v_dual_mul_f32 v3, v27, v74
	s_delay_alu instid0(VALU_DEP_2) | instskip(NEXT) | instid1(VALU_DEP_2)
	v_dual_fmac_f32 v4, v24, v77 :: v_dual_add_f32 v1, v1, v2
	v_dual_mul_f32 v2, v29, v72 :: v_dual_fmac_f32 v3, v26, v75
	s_delay_alu instid0(VALU_DEP_2) | instskip(NEXT) | instid1(VALU_DEP_1)
	v_dual_mul_f32 v5, v29, v73 :: v_dual_add_f32 v0, v0, v4
	v_fma_f32 v4, v28, v72, -v5
	v_mul_f32_e32 v5, v31, v71
	v_mul_f32_e32 v6, v31, v70
	v_fmac_f32_e32 v2, v28, v73
	s_delay_alu instid0(VALU_DEP_4) | instskip(NEXT) | instid1(VALU_DEP_4)
	v_dual_add_f32 v0, v0, v3 :: v_dual_add_f32 v1, v1, v4
	v_fma_f32 v3, v30, v70, -v5
	s_delay_alu instid0(VALU_DEP_4) | instskip(NEXT) | instid1(VALU_DEP_3)
	v_fmac_f32_e32 v6, v30, v71
	v_add_f32_e32 v0, v0, v2
	s_delay_alu instid0(VALU_DEP_1)
	v_dual_add_f32 v42, v1, v3 :: v_dual_add_f32 v43, v0, v6
	s_cbranch_scc1 .LBB118_80
.LBB118_76:                             ;   Parent Loop BB118_4 Depth=1
                                        ; =>  This Inner Loop Header: Depth=2
	s_and_saveexec_b32 s23, s0
	s_cbranch_execz .LBB118_78
; %bb.77:                               ;   in Loop: Header=BB118_76 Depth=2
	s_wait_alu 0xfffe
	s_mul_u64 s[98:99], s[24:25], s[20:21]
	s_wait_alu 0xfffe
	s_lshl_b64 s[98:99], s[98:99], 3
	s_wait_alu 0xfffe
	v_add_co_u32 v0, vcc_lo, v104, s98
	s_wait_alu 0xfffd
	v_add_co_ci_u32_e64 v1, null, s99, v105, vcc_lo
	global_load_b64 v[0:1], v[0:1], off
	s_wait_loadcnt 0x0
	ds_store_b64 v90, v[0:1]
.LBB118_78:                             ;   in Loop: Header=BB118_76 Depth=2
	s_or_b32 exec_lo, exec_lo, s23
	v_add_co_u32 v0, vcc_lo, v44, s58
	s_wait_alu 0xfffd
	v_add_co_ci_u32_e64 v1, null, s59, v45, vcc_lo
	v_add_co_u32 v2, vcc_lo, v44, s62
	s_wait_loadcnt_dscnt 0x0
	s_barrier_signal -1
	s_barrier_wait -1
	global_inv scope:SCOPE_SE
	global_load_b64 v[46:47], v[44:45], off
	s_wait_alu 0xfffd
	v_add_co_ci_u32_e64 v3, null, s63, v45, vcc_lo
	v_add_co_u32 v4, vcc_lo, v44, s64
	s_wait_alu 0xfffd
	v_add_co_ci_u32_e64 v5, null, s65, v45, vcc_lo
	s_clause 0x2
	global_load_b64 v[52:53], v[0:1], off
	global_load_b64 v[50:51], v[2:3], off
	;; [unrolled: 1-line block ×3, first 2 shown]
	ds_load_b64 v[8:9], v82
	ds_load_b128 v[4:7], v91
	ds_load_b128 v[0:3], v91 offset:16
	v_add_co_u32 v10, vcc_lo, v44, s50
	s_wait_alu 0xfffd
	v_add_co_ci_u32_e64 v11, null, s51, v45, vcc_lo
	v_add_co_u32 v14, vcc_lo, v44, s44
	s_wait_alu 0xfffd
	v_add_co_ci_u32_e64 v15, null, s45, v45, vcc_lo
	s_wait_loadcnt_dscnt 0x302
	v_mul_f32_e32 v13, v9, v46
	v_mul_f32_e32 v12, v9, v47
	s_wait_loadcnt 0x2
	s_delay_alu instid0(VALU_DEP_2)
	v_dual_fmac_f32 v13, v8, v47 :: v_dual_mul_f32 v16, v9, v53
	v_mul_f32_e32 v17, v9, v52
	s_wait_loadcnt 0x1
	v_mul_f32_e32 v18, v9, v51
	v_mul_f32_e32 v19, v9, v50
	s_wait_loadcnt 0x0
	v_mul_f32_e32 v20, v9, v49
	v_mul_f32_e32 v21, v8, v49
	v_fma_f32 v12, v8, v46, -v12
	v_fma_f32 v16, v8, v52, -v16
	v_fmac_f32_e32 v17, v8, v53
	v_fma_f32 v18, v8, v50, -v18
	v_fmac_f32_e32 v19, v8, v51
	;; [unrolled: 2-line block ×3, first 2 shown]
	v_add_co_u32 v8, vcc_lo, v44, s66
	s_wait_alu 0xfffd
	v_add_co_ci_u32_e64 v9, null, s67, v45, vcc_lo
	ds_store_2addr_b64 v92, v[12:13], v[16:17] offset1:67
	ds_store_2addr_b64 v92, v[18:19], v[20:21] offset0:134 offset1:201
	s_wait_dscnt 0x0
	s_barrier_signal -1
	s_barrier_wait -1
	global_inv scope:SCOPE_SE
	ds_load_2addr_b64 v[106:109], v93 offset1:1
	ds_load_2addr_b64 v[110:113], v93 offset0:2 offset1:3
	s_wait_loadcnt_dscnt 0x0
	s_barrier_signal -1
	s_barrier_wait -1
	global_inv scope:SCOPE_SE
	global_load_b64 v[60:61], v[10:11], off
	v_add_co_u32 v10, vcc_lo, v44, s68
	s_wait_alu 0xfffd
	v_add_co_ci_u32_e64 v11, null, s69, v45, vcc_lo
	s_clause 0x2
	global_load_b64 v[58:59], v[14:15], off
	global_load_b64 v[56:57], v[8:9], off
	global_load_b64 v[54:55], v[10:11], off
	ds_load_b64 v[8:9], v82
	ds_load_b128 v[12:15], v91 offset:128
	v_add_co_u32 v16, vcc_lo, v44, s84
	s_wait_alu 0xfffd
	v_add_co_ci_u32_e64 v17, null, s85, v45, vcc_lo
	v_add_co_u32 v18, vcc_lo, v44, s82
	s_wait_alu 0xfffd
	v_add_co_ci_u32_e64 v19, null, s83, v45, vcc_lo
	;; [unrolled: 3-line block ×3, first 2 shown]
	s_wait_loadcnt_dscnt 0x301
	v_mul_f32_e32 v10, v9, v61
	v_mul_f32_e32 v21, v9, v60
	s_wait_loadcnt 0x2
	v_mul_f32_e32 v11, v9, v59
	v_mul_f32_e32 v23, v9, v58
	s_wait_loadcnt 0x1
	;; [unrolled: 3-line block ×3, first 2 shown]
	v_dual_mul_f32 v26, v9, v55 :: v_dual_fmac_f32 v21, v8, v61
	v_mul_f32_e32 v27, v8, v55
	v_fma_f32 v20, v8, v60, -v10
	v_fma_f32 v22, v8, v58, -v11
	v_fmac_f32_e32 v23, v8, v59
	v_fma_f32 v24, v8, v56, -v24
	v_fmac_f32_e32 v25, v8, v57
	;; [unrolled: 2-line block ×3, first 2 shown]
	ds_load_b128 v[8:11], v91 offset:144
	ds_store_2addr_b64 v92, v[20:21], v[22:23] offset1:67
	ds_store_2addr_b64 v92, v[24:25], v[26:27] offset0:134 offset1:201
	s_wait_dscnt 0x0
	s_barrier_signal -1
	s_barrier_wait -1
	global_inv scope:SCOPE_SE
	ds_load_2addr_b64 v[114:117], v93 offset1:1
	ds_load_2addr_b64 v[118:121], v93 offset0:2 offset1:3
	s_wait_loadcnt_dscnt 0x0
	s_barrier_signal -1
	s_barrier_wait -1
	global_inv scope:SCOPE_SE
	global_load_b64 v[68:69], v[16:17], off
	v_add_co_u32 v16, vcc_lo, v44, s72
	s_wait_alu 0xfffd
	v_add_co_ci_u32_e64 v17, null, s73, v45, vcc_lo
	s_clause 0x2
	global_load_b64 v[66:67], v[18:19], off
	global_load_b64 v[64:65], v[28:29], off
	;; [unrolled: 1-line block ×3, first 2 shown]
	ds_load_b64 v[20:21], v82
	ds_load_b128 v[16:19], v91 offset:256
	v_add_co_u32 v24, vcc_lo, v44, s80
	s_wait_alu 0xfffd
	v_add_co_ci_u32_e64 v25, null, s81, v45, vcc_lo
	v_add_co_u32 v26, vcc_lo, v44, s78
	v_add_f32_e32 v114, 0, v114
	s_wait_alu 0xfffd
	v_add_co_ci_u32_e64 v27, null, s79, v45, vcc_lo
	v_add_co_u32 v130, vcc_lo, v44, s74
	s_delay_alu instid0(VALU_DEP_3)
	v_add_f32_e32 v114, v114, v116
	s_wait_alu 0xfffd
	v_add_co_ci_u32_e64 v131, null, s75, v45, vcc_lo
	s_wait_loadcnt_dscnt 0x301
	v_dual_add_f32 v115, 0, v115 :: v_dual_mul_f32 v22, v21, v69
	v_mul_f32_e32 v29, v21, v68
	s_wait_loadcnt 0x2
	v_mul_f32_e32 v23, v21, v67
	v_mul_f32_e32 v31, v21, v66
	s_wait_loadcnt 0x1
	v_mul_f32_e32 v32, v21, v65
	;; [unrolled: 3-line block ×3, first 2 shown]
	v_mul_f32_e32 v73, v20, v63
	v_fma_f32 v28, v20, v68, -v22
	v_fmac_f32_e32 v29, v20, v69
	v_fma_f32 v30, v20, v66, -v23
	v_fmac_f32_e32 v31, v20, v67
	;; [unrolled: 2-line block ×4, first 2 shown]
	ds_load_b128 v[20:23], v91 offset:272
	ds_store_2addr_b64 v92, v[28:29], v[30:31] offset1:67
	ds_store_2addr_b64 v92, v[70:71], v[72:73] offset0:134 offset1:201
	s_wait_dscnt 0x0
	s_barrier_signal -1
	s_barrier_wait -1
	global_inv scope:SCOPE_SE
	ds_load_2addr_b64 v[122:125], v93 offset1:1
	ds_load_2addr_b64 v[126:129], v93 offset0:2 offset1:3
	s_wait_loadcnt_dscnt 0x0
	s_barrier_signal -1
	s_barrier_wait -1
	global_inv scope:SCOPE_SE
	global_load_b64 v[76:77], v[24:25], off
	v_add_co_u32 v24, vcc_lo, v44, s76
	s_wait_alu 0xfffd
	v_add_co_ci_u32_e64 v25, null, s77, v45, vcc_lo
	s_clause 0x2
	global_load_b64 v[74:75], v[26:27], off
	global_load_b64 v[72:73], v[130:131], off
	;; [unrolled: 1-line block ×3, first 2 shown]
	ds_load_b64 v[28:29], v82
	ds_load_b128 v[24:27], v91 offset:384
	s_wait_loadcnt_dscnt 0x301
	v_mul_f32_e32 v30, v29, v77
	v_mul_f32_e32 v131, v29, v76
	s_wait_loadcnt 0x2
	v_mul_f32_e32 v133, v29, v74
	s_wait_loadcnt 0x1
	v_mul_f32_e32 v32, v29, v73
	v_mul_f32_e32 v31, v29, v75
	v_mul_f32_e32 v135, v29, v72
	s_wait_loadcnt 0x0
	v_dual_mul_f32 v136, v29, v71 :: v_dual_fmac_f32 v131, v28, v77
	v_fmac_f32_e32 v133, v28, v75
	v_fma_f32 v134, v28, v72, -v32
	v_add_f32_e32 v32, 0, v106
	v_add_f32_e32 v106, 0, v107
	v_mul_f32_e32 v137, v28, v71
	v_fma_f32 v130, v28, v76, -v30
	v_fma_f32 v132, v28, v74, -v31
	v_add_f32_e32 v32, v32, v108
	v_add_f32_e32 v106, v106, v109
	v_fma_f32 v136, v28, v70, -v136
	v_fmac_f32_e32 v137, v29, v70
	s_delay_alu instid0(VALU_DEP_3) | instskip(NEXT) | instid1(VALU_DEP_1)
	v_dual_add_f32 v32, v32, v110 :: v_dual_add_f32 v111, v106, v111
	v_dual_add_f32 v110, v32, v112 :: v_dual_add_f32 v111, v111, v113
	;; [unrolled: 1-line block ×3, first 2 shown]
	v_add_f32_e32 v112, v114, v118
	s_delay_alu instid0(VALU_DEP_2) | instskip(NEXT) | instid1(VALU_DEP_3)
	v_dual_add_f32 v114, 0, v123 :: v_dual_add_f32 v113, v113, v124
	v_add_f32_e32 v32, v32, v119
	s_delay_alu instid0(VALU_DEP_3) | instskip(NEXT) | instid1(VALU_DEP_3)
	v_add_f32_e32 v112, v112, v120
	v_dual_add_f32 v114, v114, v125 :: v_dual_add_f32 v117, v113, v126
	v_fmac_f32_e32 v135, v28, v73
	ds_load_b128 v[28:31], v91 offset:400
	ds_store_2addr_b64 v92, v[130:131], v[132:133] offset1:67
	ds_store_2addr_b64 v92, v[134:135], v[136:137] offset0:134 offset1:201
	s_wait_dscnt 0x0
	s_barrier_signal -1
	s_barrier_wait -1
	global_inv scope:SCOPE_SE
	ds_load_2addr_b64 v[130:133], v93 offset1:1
	ds_load_2addr_b64 v[106:109], v93 offset0:2 offset1:3
	v_dual_add_f32 v114, v114, v127 :: v_dual_add_f32 v113, v32, v121
	s_wait_loadcnt_dscnt 0x0
	s_barrier_signal -1
	s_barrier_wait -1
	global_inv scope:SCOPE_SE
	v_dual_add_f32 v115, 0, v130 :: v_dual_add_f32 v116, 0, v131
	s_delay_alu instid0(VALU_DEP_1) | instskip(NEXT) | instid1(VALU_DEP_1)
	v_dual_add_f32 v115, v115, v132 :: v_dual_add_f32 v116, v116, v133
	v_dual_add_f32 v32, v115, v106 :: v_dual_add_f32 v115, v116, v107
	;; [unrolled: 1-line block ×3, first 2 shown]
	s_delay_alu instid0(VALU_DEP_2)
	v_dual_add_f32 v108, v32, v108 :: v_dual_add_f32 v109, v115, v109
	ds_store_2addr_b64 v102, v[110:111], v[112:113] offset1:16
	ds_store_2addr_b64 v102, v[106:107], v[108:109] offset0:32 offset1:48
	s_wait_loadcnt_dscnt 0x0
	s_barrier_signal -1
	s_barrier_wait -1
	global_inv scope:SCOPE_SE
	s_and_saveexec_b32 s23, s18
	s_cbranch_execz .LBB118_75
; %bb.79:                               ;   in Loop: Header=BB118_76 Depth=2
	ds_load_b64 v[118:119], v94
	ds_load_2addr_b64 v[106:109], v94 offset0:1 offset1:2
	ds_load_2addr_b64 v[110:113], v94 offset0:3 offset1:4
	;; [unrolled: 1-line block ×3, first 2 shown]
	s_wait_dscnt 0x2
	v_add_f32_e32 v32, v106, v118
	v_add_f32_e32 v106, v107, v119
	s_delay_alu instid0(VALU_DEP_2) | instskip(NEXT) | instid1(VALU_DEP_2)
	v_add_f32_e32 v32, v108, v32
	v_add_f32_e32 v118, v109, v106
	ds_load_2addr_b64 v[106:109], v94 offset0:7 offset1:8
	s_wait_dscnt 0x2
	v_add_f32_e32 v32, v32, v110
	v_add_f32_e32 v110, v118, v111
	s_delay_alu instid0(VALU_DEP_2) | instskip(NEXT) | instid1(VALU_DEP_2)
	v_add_f32_e32 v32, v32, v112
	v_add_f32_e32 v118, v110, v113
	ds_load_2addr_b64 v[110:113], v94 offset0:9 offset1:10
	;; [unrolled: 7-line block ×4, first 2 shown]
	s_wait_dscnt 0x2
	v_add_f32_e32 v32, v32, v110
	v_add_f32_e32 v110, v118, v111
	s_delay_alu instid0(VALU_DEP_2) | instskip(NEXT) | instid1(VALU_DEP_2)
	v_add_f32_e32 v32, v32, v112
	v_add_f32_e32 v112, v110, v113
	ds_load_b64 v[110:111], v95
	s_wait_dscnt 0x2
	v_add_f32_e32 v32, v32, v114
	v_add_f32_e32 v112, v112, v115
	s_delay_alu instid0(VALU_DEP_2) | instskip(NEXT) | instid1(VALU_DEP_2)
	v_add_f32_e32 v32, v32, v116
	v_add_f32_e32 v112, v112, v117
	s_wait_dscnt 0x1
	s_delay_alu instid0(VALU_DEP_2) | instskip(SKIP_1) | instid1(VALU_DEP_2)
	v_add_f32_e32 v106, v32, v106
	s_wait_alu 0xfffe
	v_dual_add_f32 v107, v112, v107 :: v_dual_add_nc_u32 v32, s20, v78
	s_delay_alu instid0(VALU_DEP_1) | instskip(NEXT) | instid1(VALU_DEP_2)
	v_dual_add_f32 v108, v106, v108 :: v_dual_add_f32 v109, v107, v109
	v_lshlrev_b64_e32 v[106:107], 3, v[32:33]
	s_wait_dscnt 0x0
	s_delay_alu instid0(VALU_DEP_2) | instskip(NEXT) | instid1(VALU_DEP_2)
	v_dual_add_f32 v108, v108, v110 :: v_dual_add_f32 v109, v109, v111
	v_add_co_u32 v106, vcc_lo, s92, v106
	s_wait_alu 0xfffd
	s_delay_alu instid0(VALU_DEP_3)
	v_add_co_ci_u32_e64 v107, null, s93, v107, vcc_lo
	global_store_b64 v[106:107], v[108:109], off
	s_branch .LBB118_75
.LBB118_80:                             ;   in Loop: Header=BB118_4 Depth=1
	ds_store_b64 v96, v[42:43]
	s_wait_loadcnt_dscnt 0x0
	s_barrier_signal -1
	s_barrier_wait -1
	global_inv scope:SCOPE_SE
	s_and_saveexec_b32 s19, s96
	s_cbranch_execz .LBB118_2
; %bb.81:                               ;   in Loop: Header=BB118_4 Depth=1
	ds_load_2addr_b64 v[0:3], v79 offset1:67
	ds_load_2addr_b64 v[4:7], v79 offset0:134 offset1:201
	s_wait_dscnt 0x1
	v_dual_add_f32 v0, v2, v0 :: v_dual_add_f32 v1, v3, v1
	s_wait_alu 0xfffe
	v_add_co_u32 v2, vcc_lo, s92, v40
	s_wait_alu 0xfffd
	v_add_co_ci_u32_e64 v3, null, s93, v41, vcc_lo
	s_wait_dscnt 0x0
	v_dual_add_f32 v0, v4, v0 :: v_dual_add_f32 v1, v5, v1
	s_delay_alu instid0(VALU_DEP_1)
	v_dual_add_f32 v0, v0, v6 :: v_dual_add_f32 v1, v1, v7
	global_store_b64 v[2:3], v[0:1], off
	s_branch .LBB118_2
.LBB118_82:                             ;   in Loop: Header=BB118_4 Depth=1
	ds_load_b64 v[2:3], v99
	s_wait_dscnt 0x0
	ds_store_b64 v85, v[2:3]
	s_wait_alu 0xfffe
	s_or_b32 exec_lo, exec_lo, s19
	s_and_saveexec_b32 s19, s8
	s_cbranch_execz .LBB118_29
.LBB118_83:                             ;   in Loop: Header=BB118_4 Depth=1
	ds_load_b64 v[2:3], v100
	s_wait_dscnt 0x0
	ds_store_b64 v85, v[2:3] offset:8
	s_wait_alu 0xfffe
	s_or_b32 exec_lo, exec_lo, s19
	s_and_saveexec_b32 s19, s9
	s_cbranch_execz .LBB118_30
.LBB118_84:                             ;   in Loop: Header=BB118_4 Depth=1
	ds_load_b64 v[2:3], v100 offset:264
	s_wait_dscnt 0x0
	ds_store_b64 v85, v[2:3] offset:16
	s_wait_alu 0xfffe
	s_or_b32 exec_lo, exec_lo, s19
	s_and_saveexec_b32 s19, s10
	s_cbranch_execnz .LBB118_31
	s_branch .LBB118_32
.LBB118_85:                             ;   in Loop: Header=BB118_4 Depth=1
	ds_load_b64 v[0:1], v99
	s_wait_dscnt 0x0
	ds_store_b64 v85, v[0:1]
	s_wait_alu 0xfffe
	s_or_b32 exec_lo, exec_lo, s19
	s_and_saveexec_b32 s19, s8
	s_cbranch_execz .LBB118_50
.LBB118_86:                             ;   in Loop: Header=BB118_4 Depth=1
	ds_load_b64 v[0:1], v100
	s_wait_dscnt 0x0
	ds_store_b64 v85, v[0:1] offset:8
	s_wait_alu 0xfffe
	s_or_b32 exec_lo, exec_lo, s19
	s_and_saveexec_b32 s19, s9
	s_cbranch_execz .LBB118_51
.LBB118_87:                             ;   in Loop: Header=BB118_4 Depth=1
	ds_load_b64 v[0:1], v100 offset:264
	s_wait_dscnt 0x0
	ds_store_b64 v85, v[0:1] offset:16
	s_wait_alu 0xfffe
	s_or_b32 exec_lo, exec_lo, s19
	s_and_saveexec_b32 s19, s10
	s_cbranch_execnz .LBB118_52
	s_branch .LBB118_53
.LBB118_88:                             ;   in Loop: Header=BB118_4 Depth=1
	global_load_b64 v[4:5], v[2:3], off
	s_wait_loadcnt 0x0
	ds_store_b64 v98, v[4:5]
	s_or_b32 exec_lo, exec_lo, s19
	s_and_saveexec_b32 s19, s4
	s_wait_alu 0xfffe
	s_xor_b32 s19, exec_lo, s19
	s_cbranch_execz .LBB118_20
.LBB118_89:                             ;   in Loop: Header=BB118_4 Depth=1
	v_mov_b32_e32 v32, v33
	ds_store_b64 v98, v[32:33] offset:2112
	s_wait_alu 0xfffe
	s_and_not1_saveexec_b32 s19, s19
	s_cbranch_execz .LBB118_21
.LBB118_90:                             ;   in Loop: Header=BB118_4 Depth=1
	v_add_co_u32 v4, vcc_lo, v2, s48
	s_wait_alu 0xfffd
	v_add_co_ci_u32_e64 v5, null, s49, v3, vcc_lo
	global_load_b64 v[4:5], v[4:5], off
	s_wait_loadcnt 0x0
	ds_store_b64 v98, v[4:5] offset:2112
	s_wait_alu 0xfffe
	s_or_b32 exec_lo, exec_lo, s19
	s_and_saveexec_b32 s19, s5
	s_wait_alu 0xfffe
	s_xor_b32 s19, exec_lo, s19
	s_cbranch_execz .LBB118_22
.LBB118_91:                             ;   in Loop: Header=BB118_4 Depth=1
	v_mov_b32_e32 v32, v33
	ds_store_b64 v98, v[32:33] offset:4224
	s_wait_alu 0xfffe
	s_and_not1_saveexec_b32 s19, s19
	s_cbranch_execz .LBB118_23
.LBB118_92:                             ;   in Loop: Header=BB118_4 Depth=1
	v_add_co_u32 v4, vcc_lo, v2, s50
	s_wait_alu 0xfffd
	v_add_co_ci_u32_e64 v5, null, s51, v3, vcc_lo
	global_load_b64 v[4:5], v[4:5], off
	s_wait_loadcnt 0x0
	ds_store_b64 v98, v[4:5] offset:4224
	s_wait_alu 0xfffe
	s_or_b32 exec_lo, exec_lo, s19
	s_and_saveexec_b32 s19, s6
	s_wait_alu 0xfffe
	s_xor_b32 s19, exec_lo, s19
	s_cbranch_execz .LBB118_24
.LBB118_93:                             ;   in Loop: Header=BB118_4 Depth=1
	v_mov_b32_e32 v32, v33
	ds_store_b64 v98, v[32:33] offset:6336
	s_wait_alu 0xfffe
	s_and_not1_saveexec_b32 s19, s19
	s_cbranch_execnz .LBB118_25
	s_branch .LBB118_26
.LBB118_94:                             ;   in Loop: Header=BB118_4 Depth=1
	global_load_b64 v[4:5], v[0:1], off
	s_wait_loadcnt 0x0
	ds_store_b64 v98, v[4:5]
	s_or_b32 exec_lo, exec_lo, s19
	s_and_saveexec_b32 s19, s14
	s_wait_alu 0xfffe
	s_xor_b32 s19, exec_lo, s19
	s_cbranch_execz .LBB118_41
.LBB118_95:                             ;   in Loop: Header=BB118_4 Depth=1
	v_mov_b32_e32 v32, v33
	ds_store_b64 v98, v[32:33] offset:2112
	s_wait_alu 0xfffe
	s_and_not1_saveexec_b32 s19, s19
	s_cbranch_execz .LBB118_42
.LBB118_96:                             ;   in Loop: Header=BB118_4 Depth=1
	v_add_co_u32 v4, vcc_lo, v0, s48
	s_wait_alu 0xfffd
	v_add_co_ci_u32_e64 v5, null, s49, v1, vcc_lo
	global_load_b64 v[4:5], v[4:5], off
	s_wait_loadcnt 0x0
	ds_store_b64 v98, v[4:5] offset:2112
	s_wait_alu 0xfffe
	s_or_b32 exec_lo, exec_lo, s19
	s_and_saveexec_b32 s19, s15
	s_wait_alu 0xfffe
	s_xor_b32 s19, exec_lo, s19
	s_cbranch_execz .LBB118_43
.LBB118_97:                             ;   in Loop: Header=BB118_4 Depth=1
	v_mov_b32_e32 v32, v33
	ds_store_b64 v98, v[32:33] offset:4224
	s_wait_alu 0xfffe
	s_and_not1_saveexec_b32 s19, s19
	s_cbranch_execz .LBB118_44
.LBB118_98:                             ;   in Loop: Header=BB118_4 Depth=1
	v_add_co_u32 v4, vcc_lo, v0, s50
	s_wait_alu 0xfffd
	v_add_co_ci_u32_e64 v5, null, s51, v1, vcc_lo
	global_load_b64 v[4:5], v[4:5], off
	s_wait_loadcnt 0x0
	ds_store_b64 v98, v[4:5] offset:4224
	s_wait_alu 0xfffe
	s_or_b32 exec_lo, exec_lo, s19
	s_and_saveexec_b32 s19, s16
	s_wait_alu 0xfffe
	s_xor_b32 s19, exec_lo, s19
	s_cbranch_execz .LBB118_45
.LBB118_99:                             ;   in Loop: Header=BB118_4 Depth=1
	v_mov_b32_e32 v32, v33
	ds_store_b64 v98, v[32:33] offset:6336
	s_wait_alu 0xfffe
	s_and_not1_saveexec_b32 s19, s19
	s_cbranch_execnz .LBB118_46
	s_branch .LBB118_47
.LBB118_100:                            ;   in Loop: Header=BB118_4 Depth=1
	global_load_b64 v[2:3], v[0:1], off
	s_wait_loadcnt 0x0
	ds_store_b64 v98, v[2:3]
	s_or_b32 exec_lo, exec_lo, s19
	s_and_saveexec_b32 s19, s4
	s_wait_alu 0xfffe
	s_xor_b32 s19, exec_lo, s19
	s_cbranch_execz .LBB118_62
.LBB118_101:                            ;   in Loop: Header=BB118_4 Depth=1
	v_mov_b32_e32 v32, v33
	ds_store_b64 v98, v[32:33] offset:2112
	s_wait_alu 0xfffe
	s_and_not1_saveexec_b32 s19, s19
	s_cbranch_execz .LBB118_63
.LBB118_102:                            ;   in Loop: Header=BB118_4 Depth=1
	v_add_co_u32 v2, vcc_lo, v0, s48
	s_wait_alu 0xfffd
	v_add_co_ci_u32_e64 v3, null, s49, v1, vcc_lo
	global_load_b64 v[2:3], v[2:3], off
	s_wait_loadcnt 0x0
	ds_store_b64 v98, v[2:3] offset:2112
	s_wait_alu 0xfffe
	s_or_b32 exec_lo, exec_lo, s19
	s_and_saveexec_b32 s19, s5
	s_wait_alu 0xfffe
	s_xor_b32 s19, exec_lo, s19
	s_cbranch_execz .LBB118_64
.LBB118_103:                            ;   in Loop: Header=BB118_4 Depth=1
	v_mov_b32_e32 v32, v33
	ds_store_b64 v98, v[32:33] offset:4224
	s_wait_alu 0xfffe
	s_and_not1_saveexec_b32 s19, s19
	s_cbranch_execz .LBB118_65
.LBB118_104:                            ;   in Loop: Header=BB118_4 Depth=1
	v_add_co_u32 v2, vcc_lo, v0, s50
	s_wait_alu 0xfffd
	v_add_co_ci_u32_e64 v3, null, s51, v1, vcc_lo
	global_load_b64 v[2:3], v[2:3], off
	s_wait_loadcnt 0x0
	ds_store_b64 v98, v[2:3] offset:4224
	s_wait_alu 0xfffe
	s_or_b32 exec_lo, exec_lo, s19
	s_and_saveexec_b32 s19, s6
	s_wait_alu 0xfffe
	s_xor_b32 s19, exec_lo, s19
	s_cbranch_execz .LBB118_66
.LBB118_105:                            ;   in Loop: Header=BB118_4 Depth=1
	v_mov_b32_e32 v32, v33
	ds_store_b64 v98, v[32:33] offset:6336
	s_wait_alu 0xfffe
	s_and_not1_saveexec_b32 s19, s19
	s_cbranch_execnz .LBB118_67
	s_branch .LBB118_68
.LBB118_106:
	s_nop 0
	s_sendmsg sendmsg(MSG_DEALLOC_VGPRS)
	s_endpgm
	.section	.rodata,"a",@progbits
	.p2align	6, 0x0
	.amdhsa_kernel _ZL26rocblas_hemvn_kernel_lowerILb0ELi64ELi4ELi33ELi32ELi16ElPK19rocblas_complex_numIfES3_PS1_EviT6_lT7_lT5_lS6_lS7_lS5_lT8_i
		.amdhsa_group_segment_fixed_size 9600
		.amdhsa_private_segment_fixed_size 0
		.amdhsa_kernarg_size 376
		.amdhsa_user_sgpr_count 2
		.amdhsa_user_sgpr_dispatch_ptr 0
		.amdhsa_user_sgpr_queue_ptr 0
		.amdhsa_user_sgpr_kernarg_segment_ptr 1
		.amdhsa_user_sgpr_dispatch_id 0
		.amdhsa_user_sgpr_private_segment_size 0
		.amdhsa_wavefront_size32 1
		.amdhsa_uses_dynamic_stack 0
		.amdhsa_enable_private_segment 0
		.amdhsa_system_sgpr_workgroup_id_x 1
		.amdhsa_system_sgpr_workgroup_id_y 0
		.amdhsa_system_sgpr_workgroup_id_z 1
		.amdhsa_system_sgpr_workgroup_info 0
		.amdhsa_system_vgpr_workitem_id 1
		.amdhsa_next_free_vgpr 138
		.amdhsa_next_free_sgpr 100
		.amdhsa_reserve_vcc 1
		.amdhsa_float_round_mode_32 0
		.amdhsa_float_round_mode_16_64 0
		.amdhsa_float_denorm_mode_32 3
		.amdhsa_float_denorm_mode_16_64 3
		.amdhsa_fp16_overflow 0
		.amdhsa_workgroup_processor_mode 1
		.amdhsa_memory_ordered 1
		.amdhsa_forward_progress 1
		.amdhsa_inst_pref_size 71
		.amdhsa_round_robin_scheduling 0
		.amdhsa_exception_fp_ieee_invalid_op 0
		.amdhsa_exception_fp_denorm_src 0
		.amdhsa_exception_fp_ieee_div_zero 0
		.amdhsa_exception_fp_ieee_overflow 0
		.amdhsa_exception_fp_ieee_underflow 0
		.amdhsa_exception_fp_ieee_inexact 0
		.amdhsa_exception_int_div_zero 0
	.end_amdhsa_kernel
	.section	.text._ZL26rocblas_hemvn_kernel_lowerILb0ELi64ELi4ELi33ELi32ELi16ElPK19rocblas_complex_numIfES3_PS1_EviT6_lT7_lT5_lS6_lS7_lS5_lT8_i,"axG",@progbits,_ZL26rocblas_hemvn_kernel_lowerILb0ELi64ELi4ELi33ELi32ELi16ElPK19rocblas_complex_numIfES3_PS1_EviT6_lT7_lT5_lS6_lS7_lS5_lT8_i,comdat
.Lfunc_end118:
	.size	_ZL26rocblas_hemvn_kernel_lowerILb0ELi64ELi4ELi33ELi32ELi16ElPK19rocblas_complex_numIfES3_PS1_EviT6_lT7_lT5_lS6_lS7_lS5_lT8_i, .Lfunc_end118-_ZL26rocblas_hemvn_kernel_lowerILb0ELi64ELi4ELi33ELi32ELi16ElPK19rocblas_complex_numIfES3_PS1_EviT6_lT7_lT5_lS6_lS7_lS5_lT8_i
                                        ; -- End function
	.set _ZL26rocblas_hemvn_kernel_lowerILb0ELi64ELi4ELi33ELi32ELi16ElPK19rocblas_complex_numIfES3_PS1_EviT6_lT7_lT5_lS6_lS7_lS5_lT8_i.num_vgpr, 138
	.set _ZL26rocblas_hemvn_kernel_lowerILb0ELi64ELi4ELi33ELi32ELi16ElPK19rocblas_complex_numIfES3_PS1_EviT6_lT7_lT5_lS6_lS7_lS5_lT8_i.num_agpr, 0
	.set _ZL26rocblas_hemvn_kernel_lowerILb0ELi64ELi4ELi33ELi32ELi16ElPK19rocblas_complex_numIfES3_PS1_EviT6_lT7_lT5_lS6_lS7_lS5_lT8_i.numbered_sgpr, 100
	.set _ZL26rocblas_hemvn_kernel_lowerILb0ELi64ELi4ELi33ELi32ELi16ElPK19rocblas_complex_numIfES3_PS1_EviT6_lT7_lT5_lS6_lS7_lS5_lT8_i.num_named_barrier, 0
	.set _ZL26rocblas_hemvn_kernel_lowerILb0ELi64ELi4ELi33ELi32ELi16ElPK19rocblas_complex_numIfES3_PS1_EviT6_lT7_lT5_lS6_lS7_lS5_lT8_i.private_seg_size, 0
	.set _ZL26rocblas_hemvn_kernel_lowerILb0ELi64ELi4ELi33ELi32ELi16ElPK19rocblas_complex_numIfES3_PS1_EviT6_lT7_lT5_lS6_lS7_lS5_lT8_i.uses_vcc, 1
	.set _ZL26rocblas_hemvn_kernel_lowerILb0ELi64ELi4ELi33ELi32ELi16ElPK19rocblas_complex_numIfES3_PS1_EviT6_lT7_lT5_lS6_lS7_lS5_lT8_i.uses_flat_scratch, 0
	.set _ZL26rocblas_hemvn_kernel_lowerILb0ELi64ELi4ELi33ELi32ELi16ElPK19rocblas_complex_numIfES3_PS1_EviT6_lT7_lT5_lS6_lS7_lS5_lT8_i.has_dyn_sized_stack, 0
	.set _ZL26rocblas_hemvn_kernel_lowerILb0ELi64ELi4ELi33ELi32ELi16ElPK19rocblas_complex_numIfES3_PS1_EviT6_lT7_lT5_lS6_lS7_lS5_lT8_i.has_recursion, 0
	.set _ZL26rocblas_hemvn_kernel_lowerILb0ELi64ELi4ELi33ELi32ELi16ElPK19rocblas_complex_numIfES3_PS1_EviT6_lT7_lT5_lS6_lS7_lS5_lT8_i.has_indirect_call, 0
	.section	.AMDGPU.csdata,"",@progbits
; Kernel info:
; codeLenInByte = 8988
; TotalNumSgprs: 102
; NumVgprs: 138
; ScratchSize: 0
; MemoryBound: 1
; FloatMode: 240
; IeeeMode: 1
; LDSByteSize: 9600 bytes/workgroup (compile time only)
; SGPRBlocks: 0
; VGPRBlocks: 17
; NumSGPRsForWavesPerEU: 102
; NumVGPRsForWavesPerEU: 138
; Occupancy: 10
; WaveLimiterHint : 0
; COMPUTE_PGM_RSRC2:SCRATCH_EN: 0
; COMPUTE_PGM_RSRC2:USER_SGPR: 2
; COMPUTE_PGM_RSRC2:TRAP_HANDLER: 0
; COMPUTE_PGM_RSRC2:TGID_X_EN: 1
; COMPUTE_PGM_RSRC2:TGID_Y_EN: 0
; COMPUTE_PGM_RSRC2:TGID_Z_EN: 1
; COMPUTE_PGM_RSRC2:TIDIG_COMP_CNT: 1
	.section	.text._ZL26rocblas_hemvn_kernel_lowerILb0ELi64ELi4ELi33ELi32ELi16EiPK19rocblas_complex_numIfES3_PS1_EviT6_lT7_lT5_lS6_lS7_lS5_lT8_i,"axG",@progbits,_ZL26rocblas_hemvn_kernel_lowerILb0ELi64ELi4ELi33ELi32ELi16EiPK19rocblas_complex_numIfES3_PS1_EviT6_lT7_lT5_lS6_lS7_lS5_lT8_i,comdat
	.globl	_ZL26rocblas_hemvn_kernel_lowerILb0ELi64ELi4ELi33ELi32ELi16EiPK19rocblas_complex_numIfES3_PS1_EviT6_lT7_lT5_lS6_lS7_lS5_lT8_i ; -- Begin function _ZL26rocblas_hemvn_kernel_lowerILb0ELi64ELi4ELi33ELi32ELi16EiPK19rocblas_complex_numIfES3_PS1_EviT6_lT7_lT5_lS6_lS7_lS5_lT8_i
	.p2align	8
	.type	_ZL26rocblas_hemvn_kernel_lowerILb0ELi64ELi4ELi33ELi32ELi16EiPK19rocblas_complex_numIfES3_PS1_EviT6_lT7_lT5_lS6_lS7_lS5_lT8_i,@function
_ZL26rocblas_hemvn_kernel_lowerILb0ELi64ELi4ELi33ELi32ELi16EiPK19rocblas_complex_numIfES3_PS1_EviT6_lT7_lT5_lS6_lS7_lS5_lT8_i: ; @_ZL26rocblas_hemvn_kernel_lowerILb0ELi64ELi4ELi33ELi32ELi16EiPK19rocblas_complex_numIfES3_PS1_EviT6_lT7_lT5_lS6_lS7_lS5_lT8_i
; %bb.0:
	s_clause 0x1
	s_load_b64 s[2:3], s[0:1], 0x84
	s_load_b32 s33, s[0:1], 0x70
	s_lshr_b32 s22, ttmp7, 16
	s_wait_kmcnt 0x0
	s_lshr_b32 s4, s2, 16
	s_and_b32 s2, s2, 0xffff
	s_and_b32 s3, s3, 0xffff
	s_mul_i32 s2, s4, s2
	s_delay_alu instid0(SALU_CYCLE_1) | instskip(NEXT) | instid1(SALU_CYCLE_1)
	s_mul_i32 s2, s2, s3
	s_cmp_lg_u32 s2, 0x100
	s_cselect_b32 s2, -1, 0
	s_cmp_ge_u32 s22, s33
	s_cselect_b32 s3, -1, 0
	s_delay_alu instid0(SALU_CYCLE_1) | instskip(NEXT) | instid1(SALU_CYCLE_1)
	s_or_b32 s2, s2, s3
	s_and_b32 vcc_lo, exec_lo, s2
	s_cbranch_vccnz .LBB119_106
; %bb.1:
	s_clause 0x2
	s_load_b32 s2, s[0:1], 0x0
	s_load_b96 s[16:18], s[0:1], 0x40
	s_load_b32 s20, s[0:1], 0x28
	v_dual_mov_b32 v33, 0 :: v_dual_and_b32 v80, 0x3ff, v0
	s_lshl_b32 s50, ttmp9, 6
	s_add_nc_u64 s[4:5], s[0:1], 0x78
	s_load_b256 s[24:31], s[0:1], 0x8
	s_load_b32 s4, s[4:5], 0x0
	v_add_nc_u32_e32 v1, s50, v80
	s_clause 0x1
	s_load_b128 s[44:47], s[0:1], 0x30
	s_load_b256 s[36:43], s[0:1], 0x50
	v_bfe_u32 v2, v0, 10, 10
	v_and_b32_e32 v3, 31, v0
	s_mov_b32 s23, 0
	v_lshlrev_b32_e32 v83, 3, v80
	s_mov_b32 s5, s23
	v_lshl_add_u32 v12, v2, 6, v80
	v_mul_u32_u24_e32 v19, 33, v3
	v_lshlrev_b32_e32 v13, 3, v3
	v_lshl_add_u32 v93, v2, 5, 0x2180
	v_mad_u32_u24 v94, 0x860, v2, v83
	v_lshrrev_b32_e32 v8, 5, v12
	s_wait_kmcnt 0x0
	v_mul_lo_u32 v4, s18, v1
	s_lshl_b64 s[0:1], s[16:17], 3
	s_ashr_i32 s3, s2, 31
	s_ashr_i32 s21, s20, 31
	s_lshr_b32 s8, s3, 26
	s_lshl_b64 s[6:7], s[30:31], 3
	s_add_co_i32 s8, s2, s8
	s_add_nc_u64 s[0:1], s[46:47], s[0:1]
	v_ashrrev_i32_e32 v5, 31, v4
	s_and_not1_b32 s8, s8, 63
	s_add_co_i32 s9, s4, -1
	s_sub_co_i32 s8, s2, s8
	s_cmp_eq_u32 ttmp9, s9
	v_lshlrev_b64_e32 v[4:5], 3, v[4:5]
	s_cselect_b32 s30, s8, 0
	v_lshlrev_b32_e32 v15, 2, v8
	s_cmp_eq_u32 s30, 0
	s_add_nc_u64 s[6:7], s[28:29], s[6:7]
	s_cselect_b32 s96, -1, 0
	v_add_co_u32 v81, vcc_lo, s0, v4
	s_delay_alu instid0(VALU_DEP_1)
	v_add_co_ci_u32_e64 v82, null, s1, v5, vcc_lo
	v_mad_co_u64_u32 v[4:5], null, s20, v8, v[3:4]
	s_cmp_lg_u32 s30, 0
	v_cmp_le_i32_e32 vcc_lo, s30, v80
	s_cselect_b32 s1, -1, 0
	s_ashr_i32 s51, s50, 31
	s_mul_i32 s8, s2, ttmp9
	s_mul_u64 s[28:29], s[4:5], s[2:3]
	v_ashrrev_i32_e32 v5, 31, v4
	s_wait_alu 0xfffe
	s_lshl_b64 s[2:3], s[50:51], 3
	s_mul_i32 s52, s20, s50
	s_add_nc_u64 s[2:3], s[6:7], s[2:3]
	v_or_b32_e32 v18, 1, v15
	v_lshlrev_b64_e32 v[6:7], 3, v[4:5]
	v_cmp_lt_u32_e64 s7, v15, v3
	v_or_b32_e32 v20, 2, v15
	v_or_b32_e32 v15, 3, v15
	v_lshlrev_b32_e32 v21, 3, v8
	v_lshlrev_b32_e32 v88, 3, v19
	s_and_b32 s1, s1, vcc_lo
	v_add_co_u32 v6, vcc_lo, s2, v6
	s_ashr_i32 s53, s52, 31
	s_wait_alu 0xfffd
	v_add_co_ci_u32_e64 v7, null, s3, v7, vcc_lo
	s_lshl_b64 s[2:3], s[52:53], 3
	v_lshl_or_b32 v16, v3, 8, v13
	v_and_b32_e32 v17, 0x7fe0, v12
	v_cmp_lt_u32_e64 s10, v15, v3
	v_add_nc_u32_e32 v90, v88, v21
	v_or_b32_e32 v15, 32, v3
	s_wait_alu 0xfffe
	v_add_co_u32 v85, vcc_lo, v6, s2
	s_wait_alu 0xfffd
	v_add_co_ci_u32_e64 v86, null, s3, v7, vcc_lo
	v_sub_co_u32 v6, s3, 0, v3
	s_sub_co_i32 s16, s30, 32
	v_mul_u32_u24_e32 v14, 0x108, v8
	v_add_nc_u32_e32 v9, 8, v8
	v_sub_co_ci_u32_e64 v7, null, 0, 0, s3
	v_cmp_le_i32_e64 s3, s30, v8
	v_add_nc_u32_e32 v10, 16, v8
	v_add_nc_u32_e32 v11, 24, v8
	;; [unrolled: 1-line block ×3, first 2 shown]
	v_mul_u32_u24_e32 v16, 0x420, v8
	v_cmp_gt_i32_e64 s12, s30, v15
	v_cmp_le_i32_e64 s13, s16, v8
	v_cmp_eq_u32_e64 s17, 1, v8
	v_mul_i32_i24_e32 v15, 0xffffffe8, v8
	v_mad_u32_u24 v91, v8, 24, v90
	v_mul_lo_u32 v8, v2, s20
	v_add_nc_u32_e32 v89, 0x2380, v17
	v_lshrrev_b32_e32 v17, 4, v12
	s_ashr_i32 s9, s8, 31
	s_mul_i32 s50, s18, s50
	s_lshl_b64 s[8:9], s[8:9], 3
	s_wait_alu 0xfffe
	s_ashr_i32 s51, s50, 31
	s_add_nc_u64 s[34:35], s[42:43], s[8:9]
	v_lshl_add_u32 v8, v8, 2, v80
	v_cmp_lt_u32_e64 s9, v20, v3
	v_and_b32_e32 v19, 15, v0
	v_and_b32_e32 v0, 48, v0
	v_lshlrev_b32_e32 v20, 5, v17
	v_cmp_le_i32_e64 s5, s30, v10
	v_cmp_le_i32_e64 s15, s16, v10
	s_wait_alu 0xfffe
	s_sub_nc_u64 s[90:91], 0, s[50:51]
	v_sub_co_u32 v4, vcc_lo, 0, v4
	v_sub_co_u32 v10, s50, 0, v80
	v_cmp_eq_u32_e64 s0, 0, v2
	v_cmp_le_i32_e64 s4, s30, v9
	v_cmp_le_i32_e64 s6, s30, v11
	;; [unrolled: 1-line block ×4, first 2 shown]
	s_wait_alu 0xfffd
	v_sub_co_ci_u32_e64 v5, null, 0, v5, vcc_lo
	v_ashrrev_i32_e32 v9, 31, v8
	s_wait_alu 0xf1ff
	v_sub_co_ci_u32_e64 v11, null, 0, 0, s50
	v_mad_u32_u24 v98, 0x218, v2, v83
	v_ashrrev_i32_e32 v2, 31, v1
	s_lshl_b32 s42, s20, 3
	s_lshl_b32 s46, s20, 4
	s_mul_i32 s48, s20, 24
	v_cmp_lt_u32_e64 s8, v18, v3
	v_mul_u32_u24_e32 v18, 0x108, v18
	s_lshl_b32 s86, s20, 5
	v_lshlrev_b32_e32 v0, 3, v0
	v_or_b32_e32 v22, 0x78, v83
	v_mad_u32_u24 v95, 0x218, v19, v20
	v_mul_i32_i24_e32 v17, 0xffffffe8, v17
	s_ashr_i32 s43, s42, 31
	s_ashr_i32 s47, s46, 31
	;; [unrolled: 1-line block ×5, first 2 shown]
	s_xor_b32 s19, s1, -1
	s_cmp_gt_i32 ttmp9, 0
	v_lshlrev_b64_e32 v[34:35], 3, v[6:7]
	v_lshlrev_b64_e32 v[36:37], 3, v[4:5]
	;; [unrolled: 1-line block ×5, first 2 shown]
	v_add_nc_u32_e32 v84, 0x2380, v83
	v_cmp_gt_i32_e64 s2, s30, v3
	v_cmp_gt_u32_e64 s11, 32, v12
	s_cselect_b32 s97, -1, 0
	s_lshl_b32 s98, s18, 6
	v_add_nc_u32_e32 v92, 0x2180, v83
	v_cmp_gt_u32_e64 s18, 64, v12
	v_mad_u32_u24 v96, 0x218, v19, v0
	v_mad_u32_u24 v97, 0x218, v19, v22
	v_add_nc_u32_e32 v99, 0x2380, v21
	v_add_nc_u32_e32 v100, v13, v14
	;; [unrolled: 1-line block ×6, first 2 shown]
	v_lshlrev_b32_e32 v105, 3, v3
	s_sub_nc_u64 s[88:89], 0, s[86:87]
	s_sub_nc_u64 s[92:93], 0, s[52:53]
	s_wait_alu 0xfffe
	s_and_b32 s99, s0, s19
	s_lshl_b64 s[50:51], s[20:21], 6
	s_sub_nc_u64 s[52:53], 0, s[30:31]
	s_lshl_b64 s[54:55], s[20:21], 3
	s_lshl_b64 s[56:57], s[20:21], 9
	s_lshl_b64 s[58:59], s[20:21], 4
	s_mul_u64 s[60:61], s[20:21], 24
	s_mul_u64 s[62:63], s[20:21], 0x90
	;; [unrolled: 1-line block ×10, first 2 shown]
	s_lshl_b64 s[80:81], s[20:21], 8
	s_mul_u64 s[82:83], s[20:21], 0x88
	s_lshl_b64 s[84:85], s[20:21], 7
	s_lshl_b64 s[86:87], s[86:87], 3
	;; [unrolled: 1-line block ×5, first 2 shown]
	s_branch .LBB119_4
.LBB119_2:                              ;   in Loop: Header=BB119_4 Depth=1
	s_wait_alu 0xfffe
	s_or_b32 exec_lo, exec_lo, s19
.LBB119_3:                              ;   in Loop: Header=BB119_4 Depth=1
	s_add_co_i32 s22, s22, 0x10000
	s_delay_alu instid0(SALU_CYCLE_1)
	s_cmp_lt_u32 s22, s33
	s_cbranch_scc0 .LBB119_106
.LBB119_4:                              ; =>This Loop Header: Depth=1
                                        ;     Child Loop BB119_76 Depth 2
	s_mul_u64 s[20:21], s[26:27], s[22:23]
	s_wait_alu 0xfffe
	s_lshl_b64 s[20:21], s[20:21], 3
	s_wait_alu 0xfffe
	s_add_nc_u64 s[20:21], s[24:25], s[20:21]
	global_load_b64 v[0:1], v33, s[20:21]
	s_mov_b32 s20, -1
	s_wait_loadcnt 0x0
	v_or_b32_e32 v0, v0, v1
	s_delay_alu instid0(VALU_DEP_1) | instskip(NEXT) | instid1(VALU_DEP_1)
	v_and_b32_e32 v0, 0x7fffffff, v0
	v_cmp_ne_u32_e64 s19, 0, v0
	s_and_b32 vcc_lo, exec_lo, s19
	s_wait_alu 0xfffe
	s_cbranch_vccnz .LBB119_6
; %bb.5:                                ;   in Loop: Header=BB119_4 Depth=1
	s_mul_u64 s[20:21], s[40:41], s[22:23]
	s_wait_alu 0xfffe
	s_lshl_b64 s[20:21], s[20:21], 3
	s_wait_alu 0xfffe
	s_add_nc_u64 s[20:21], s[38:39], s[20:21]
	global_load_b64 v[0:1], v33, s[20:21]
	s_wait_loadcnt 0x0
	v_cmp_neq_f32_e32 vcc_lo, 1.0, v0
	v_cmp_neq_f32_e64 s20, 0, v1
	s_wait_alu 0xfffe
	s_or_b32 s20, vcc_lo, s20
.LBB119_6:                              ;   in Loop: Header=BB119_4 Depth=1
	s_wait_alu 0xfffe
	s_and_not1_b32 vcc_lo, exec_lo, s20
	s_wait_alu 0xfffe
	s_cbranch_vccnz .LBB119_3
; %bb.7:                                ;   in Loop: Header=BB119_4 Depth=1
	s_and_not1_b32 vcc_lo, exec_lo, s19
	s_wait_alu 0xfffe
	s_cbranch_vccnz .LBB119_3
; %bb.8:                                ;   in Loop: Header=BB119_4 Depth=1
	s_mul_u64 s[20:21], s[36:37], s[22:23]
	s_wait_alu 0xfffe
	s_lshl_b64 s[20:21], s[20:21], 3
	s_wait_alu 0xfffe
	v_add_co_u32 v16, vcc_lo, v81, s20
	s_wait_alu 0xfffd
	v_add_co_ci_u32_e64 v17, null, s21, v82, vcc_lo
	s_and_saveexec_b32 s19, s0
	s_cbranch_execz .LBB119_13
; %bb.9:                                ;   in Loop: Header=BB119_4 Depth=1
	s_and_saveexec_b32 s20, s1
	s_wait_alu 0xfffe
	s_xor_b32 s20, exec_lo, s20
; %bb.10:                               ;   in Loop: Header=BB119_4 Depth=1
	v_mov_b32_e32 v32, v33
	ds_store_b64 v84, v[32:33]
; %bb.11:                               ;   in Loop: Header=BB119_4 Depth=1
	s_wait_alu 0xfffe
	s_and_not1_saveexec_b32 s20, s20
	s_cbranch_execz .LBB119_13
; %bb.12:                               ;   in Loop: Header=BB119_4 Depth=1
	global_load_b64 v[0:1], v[16:17], off
	s_wait_loadcnt 0x0
	ds_store_b64 v84, v[0:1]
.LBB119_13:                             ;   in Loop: Header=BB119_4 Depth=1
	s_wait_alu 0xfffe
	s_or_b32 exec_lo, exec_lo, s19
	s_mul_u64 s[20:21], s[44:45], s[22:23]
	s_mov_b32 s19, -1
	s_wait_alu 0xfffe
	s_lshl_b64 s[20:21], s[20:21], 3
	s_wait_alu 0xfffe
	v_add_co_u32 v0, vcc_lo, v85, s20
	s_wait_alu 0xfffd
	v_add_co_ci_u32_e64 v1, null, s21, v86, vcc_lo
	s_and_not1_b32 vcc_lo, exec_lo, s96
	s_wait_alu 0xfffe
	s_cbranch_vccnz .LBB119_15
; %bb.14:                               ;   in Loop: Header=BB119_4 Depth=1
	s_lshl_b64 s[20:21], s[42:43], 3
	s_mov_b32 s19, 0
	s_wait_alu 0xfffe
	v_add_co_u32 v2, vcc_lo, v0, s20
	s_wait_alu 0xfffd
	v_add_co_ci_u32_e64 v3, null, s21, v1, vcc_lo
	s_delay_alu instid0(VALU_DEP_2) | instskip(SKIP_1) | instid1(VALU_DEP_2)
	v_add_co_u32 v4, vcc_lo, v2, s50
	s_wait_alu 0xfffd
	v_add_co_ci_u32_e64 v5, null, s51, v3, vcc_lo
	s_delay_alu instid0(VALU_DEP_2) | instskip(SKIP_1) | instid1(VALU_DEP_2)
	v_add_co_u32 v6, vcc_lo, v4, s50
	s_wait_alu 0xfffd
	v_add_co_ci_u32_e64 v7, null, s51, v5, vcc_lo
	s_clause 0x3
	global_load_b64 v[8:9], v[0:1], off
	global_load_b64 v[2:3], v[2:3], off
	;; [unrolled: 1-line block ×4, first 2 shown]
	s_wait_loadcnt 0x3
	ds_store_b64 v100, v[8:9]
	s_wait_loadcnt 0x2
	ds_store_b64 v100, v[2:3] offset:2112
	s_wait_loadcnt 0x1
	ds_store_b64 v100, v[4:5] offset:4224
	;; [unrolled: 2-line block ×3, first 2 shown]
.LBB119_15:                             ;   in Loop: Header=BB119_4 Depth=1
	s_and_not1_b32 vcc_lo, exec_lo, s19
	s_wait_alu 0xfffe
	s_cbranch_vccnz .LBB119_27
; %bb.16:                               ;   in Loop: Header=BB119_4 Depth=1
	s_and_saveexec_b32 s19, s3
	s_wait_alu 0xfffe
	s_xor_b32 s19, exec_lo, s19
; %bb.17:                               ;   in Loop: Header=BB119_4 Depth=1
	v_mov_b32_e32 v32, v33
	ds_store_b64 v100, v[32:33]
; %bb.18:                               ;   in Loop: Header=BB119_4 Depth=1
	s_wait_alu 0xfffe
	s_or_saveexec_b32 s19, s19
	v_add_co_u32 v2, vcc_lo, v0, v34
	s_wait_alu 0xfffd
	v_add_co_ci_u32_e64 v3, null, v1, v35, vcc_lo
	s_lshl_b64 s[20:21], s[30:31], 3
	s_wait_alu 0xfffe
	v_add_co_u32 v2, vcc_lo, v2, s20
	s_wait_alu 0xfffd
	v_add_co_ci_u32_e64 v3, null, s21, v3, vcc_lo
	s_delay_alu instid0(VALU_DEP_2) | instskip(SKIP_1) | instid1(VALU_DEP_2)
	v_add_co_u32 v2, vcc_lo, v2, -8
	s_wait_alu 0xfffd
	v_add_co_ci_u32_e64 v3, null, -1, v3, vcc_lo
	s_delay_alu instid0(VALU_DEP_2) | instskip(NEXT) | instid1(VALU_DEP_2)
	v_cndmask_b32_e64 v2, v2, v0, s2
	v_cndmask_b32_e64 v3, v3, v1, s2
	s_xor_b32 exec_lo, exec_lo, s19
	s_cbranch_execnz .LBB119_88
; %bb.19:                               ;   in Loop: Header=BB119_4 Depth=1
	s_or_b32 exec_lo, exec_lo, s19
	s_and_saveexec_b32 s19, s4
	s_wait_alu 0xfffe
	s_xor_b32 s19, exec_lo, s19
	s_cbranch_execnz .LBB119_89
.LBB119_20:                             ;   in Loop: Header=BB119_4 Depth=1
	s_wait_alu 0xfffe
	s_and_not1_saveexec_b32 s19, s19
	s_cbranch_execnz .LBB119_90
.LBB119_21:                             ;   in Loop: Header=BB119_4 Depth=1
	s_wait_alu 0xfffe
	s_or_b32 exec_lo, exec_lo, s19
	s_and_saveexec_b32 s19, s5
	s_wait_alu 0xfffe
	s_xor_b32 s19, exec_lo, s19
	s_cbranch_execnz .LBB119_91
.LBB119_22:                             ;   in Loop: Header=BB119_4 Depth=1
	s_wait_alu 0xfffe
	s_and_not1_saveexec_b32 s19, s19
	s_cbranch_execnz .LBB119_92
.LBB119_23:                             ;   in Loop: Header=BB119_4 Depth=1
	s_wait_alu 0xfffe
	s_or_b32 exec_lo, exec_lo, s19
	s_and_saveexec_b32 s19, s6
	s_wait_alu 0xfffe
	s_xor_b32 s19, exec_lo, s19
	s_cbranch_execnz .LBB119_93
.LBB119_24:                             ;   in Loop: Header=BB119_4 Depth=1
	s_wait_alu 0xfffe
	s_and_not1_saveexec_b32 s19, s19
	s_cbranch_execz .LBB119_26
.LBB119_25:                             ;   in Loop: Header=BB119_4 Depth=1
	s_lshl_b64 s[20:21], s[48:49], 3
	s_wait_alu 0xfffe
	v_add_co_u32 v4, vcc_lo, v2, s20
	s_wait_alu 0xfffd
	v_add_co_ci_u32_e64 v5, null, s21, v3, vcc_lo
	global_load_b64 v[4:5], v[4:5], off
	s_wait_loadcnt 0x0
	ds_store_b64 v100, v[4:5] offset:6336
.LBB119_26:                             ;   in Loop: Header=BB119_4 Depth=1
	s_wait_alu 0xfffe
	s_or_b32 exec_lo, exec_lo, s19
	v_add_co_u32 v2, vcc_lo, v2, v105
	s_wait_alu 0xfffd
	v_add_co_ci_u32_e64 v3, null, 0, v3, vcc_lo
	s_lshl_b64 s[20:21], s[52:53], 3
	s_wait_alu 0xfffe
	v_add_co_u32 v2, vcc_lo, v2, s20
	s_wait_alu 0xfffd
	v_add_co_ci_u32_e64 v3, null, s21, v3, vcc_lo
	s_delay_alu instid0(VALU_DEP_2) | instskip(SKIP_1) | instid1(VALU_DEP_2)
	v_add_co_u32 v2, vcc_lo, v2, 8
	s_wait_alu 0xfffd
	v_add_co_ci_u32_e64 v3, null, 0, v3, vcc_lo
	s_delay_alu instid0(VALU_DEP_2) | instskip(NEXT) | instid1(VALU_DEP_2)
	v_cndmask_b32_e64 v0, v2, v0, s2
	v_cndmask_b32_e64 v1, v3, v1, s2
.LBB119_27:                             ;   in Loop: Header=BB119_4 Depth=1
	s_wait_dscnt 0x0
	s_barrier_signal -1
	s_barrier_wait -1
	global_inv scope:SCOPE_SE
	s_and_saveexec_b32 s19, s7
	s_cbranch_execnz .LBB119_82
; %bb.28:                               ;   in Loop: Header=BB119_4 Depth=1
	s_wait_alu 0xfffe
	s_or_b32 exec_lo, exec_lo, s19
	s_and_saveexec_b32 s19, s8
	s_cbranch_execnz .LBB119_83
.LBB119_29:                             ;   in Loop: Header=BB119_4 Depth=1
	s_wait_alu 0xfffe
	s_or_b32 exec_lo, exec_lo, s19
	s_and_saveexec_b32 s19, s9
	s_cbranch_execnz .LBB119_84
.LBB119_30:                             ;   in Loop: Header=BB119_4 Depth=1
	s_wait_alu 0xfffe
	s_or_b32 exec_lo, exec_lo, s19
	s_and_saveexec_b32 s19, s10
	s_cbranch_execz .LBB119_32
.LBB119_31:                             ;   in Loop: Header=BB119_4 Depth=1
	ds_load_b64 v[2:3], v102 offset:528
	s_wait_dscnt 0x0
	ds_store_b64 v87, v[2:3] offset:24
.LBB119_32:                             ;   in Loop: Header=BB119_4 Depth=1
	s_wait_alu 0xfffe
	s_or_b32 exec_lo, exec_lo, s19
	s_wait_loadcnt_dscnt 0x0
	s_barrier_signal -1
	s_barrier_wait -1
	global_inv scope:SCOPE_SE
	ds_load_b64 v[14:15], v101
	ds_load_b128 v[2:5], v89
	ds_load_2addr_b64 v[6:9], v102 offset1:33
	ds_load_b128 v[10:13], v89 offset:16
	ds_load_b64 v[18:19], v102 offset:528
	s_wait_loadcnt_dscnt 0x0
	s_barrier_signal -1
	s_barrier_wait -1
	global_inv scope:SCOPE_SE
	v_dual_mov_b32 v45, 0 :: v_dual_mul_f32 v20, v3, v15
	v_dual_mul_f32 v15, v2, v15 :: v_dual_mul_f32 v22, v11, v9
	v_mul_f32_e32 v9, v10, v9
	s_delay_alu instid0(VALU_DEP_3) | instskip(SKIP_1) | instid1(VALU_DEP_4)
	v_fma_f32 v2, v2, v14, -v20
	v_mul_f32_e32 v21, v5, v7
	v_fmac_f32_e32 v15, v3, v14
	s_delay_alu instid0(VALU_DEP_4) | instskip(SKIP_3) | instid1(VALU_DEP_1)
	v_fmac_f32_e32 v9, v11, v8
	v_fma_f32 v10, v10, v8, -v22
	v_dual_add_f32 v2, 0, v2 :: v_dual_mul_f32 v7, v4, v7
	v_fma_f32 v4, v4, v6, -v21
	v_dual_add_f32 v2, v2, v4 :: v_dual_fmac_f32 v7, v5, v6
	v_mul_f32_e32 v6, v12, v19
	v_add_f32_e32 v5, 0, v15
	s_delay_alu instid0(VALU_DEP_3) | instskip(NEXT) | instid1(VALU_DEP_3)
	v_dual_mul_f32 v3, v13, v19 :: v_dual_add_f32 v2, v2, v10
	v_fmac_f32_e32 v6, v13, v18
	s_delay_alu instid0(VALU_DEP_3) | instskip(NEXT) | instid1(VALU_DEP_3)
	v_add_f32_e32 v4, v5, v7
	v_fma_f32 v3, v12, v18, -v3
	s_delay_alu instid0(VALU_DEP_2) | instskip(SKIP_1) | instid1(VALU_DEP_2)
	v_add_f32_e32 v4, v4, v9
	v_mov_b32_e32 v44, 0
	v_dual_add_f32 v2, v2, v3 :: v_dual_add_f32 v3, v4, v6
	ds_store_b64 v90, v[2:3]
	s_wait_loadcnt_dscnt 0x0
	s_barrier_signal -1
	s_barrier_wait -1
	global_inv scope:SCOPE_SE
	s_and_saveexec_b32 s19, s11
	s_cbranch_execz .LBB119_34
; %bb.33:                               ;   in Loop: Header=BB119_4 Depth=1
	ds_load_2addr_b64 v[2:5], v88 offset1:7
	ds_load_2addr_b64 v[6:9], v88 offset0:1 offset1:2
	ds_load_2addr_b64 v[10:13], v88 offset0:3 offset1:4
	;; [unrolled: 1-line block ×3, first 2 shown]
	s_wait_dscnt 0x2
	v_dual_add_f32 v2, v6, v2 :: v_dual_add_f32 v3, v7, v3
	s_delay_alu instid0(VALU_DEP_1) | instskip(SKIP_1) | instid1(VALU_DEP_1)
	v_dual_add_f32 v2, v8, v2 :: v_dual_add_f32 v3, v9, v3
	s_wait_dscnt 0x1
	v_dual_add_f32 v2, v2, v10 :: v_dual_add_f32 v3, v3, v11
	s_delay_alu instid0(VALU_DEP_1) | instskip(SKIP_1) | instid1(VALU_DEP_1)
	v_dual_add_f32 v2, v2, v12 :: v_dual_add_f32 v3, v3, v13
	s_wait_dscnt 0x0
	v_dual_add_f32 v2, v2, v18 :: v_dual_add_f32 v3, v3, v19
	s_delay_alu instid0(VALU_DEP_1) | instskip(NEXT) | instid1(VALU_DEP_1)
	v_dual_add_f32 v2, v2, v20 :: v_dual_add_f32 v3, v3, v21
	v_dual_add_f32 v44, v2, v4 :: v_dual_add_f32 v45, v3, v5
.LBB119_34:                             ;   in Loop: Header=BB119_4 Depth=1
	s_wait_alu 0xfffe
	s_or_b32 exec_lo, exec_lo, s19
	v_add_co_u32 v0, vcc_lo, v0, s86
	s_wait_alu 0xfffd
	v_add_co_ci_u32_e64 v1, null, s87, v1, vcc_lo
	s_and_not1_b32 vcc_lo, exec_lo, s96
	s_mov_b32 s19, -1
	s_wait_loadcnt 0x0
	s_barrier_signal -1
	s_barrier_wait -1
	global_inv scope:SCOPE_SE
	s_wait_alu 0xfffe
	s_cbranch_vccnz .LBB119_36
; %bb.35:                               ;   in Loop: Header=BB119_4 Depth=1
	s_lshl_b64 s[20:21], s[42:43], 3
	s_mov_b32 s19, 0
	s_wait_alu 0xfffe
	v_add_co_u32 v2, vcc_lo, v0, s20
	s_wait_alu 0xfffd
	v_add_co_ci_u32_e64 v3, null, s21, v1, vcc_lo
	s_delay_alu instid0(VALU_DEP_2) | instskip(SKIP_1) | instid1(VALU_DEP_2)
	v_add_co_u32 v4, vcc_lo, v2, s50
	s_wait_alu 0xfffd
	v_add_co_ci_u32_e64 v5, null, s51, v3, vcc_lo
	s_delay_alu instid0(VALU_DEP_2) | instskip(SKIP_1) | instid1(VALU_DEP_2)
	v_add_co_u32 v6, vcc_lo, v4, s50
	s_wait_alu 0xfffd
	v_add_co_ci_u32_e64 v7, null, s51, v5, vcc_lo
	s_clause 0x3
	global_load_b64 v[8:9], v[0:1], off offset:256
	global_load_b64 v[2:3], v[2:3], off offset:256
	;; [unrolled: 1-line block ×4, first 2 shown]
	s_wait_loadcnt 0x3
	ds_store_b64 v100, v[8:9]
	s_wait_loadcnt 0x2
	ds_store_b64 v100, v[2:3] offset:2112
	s_wait_loadcnt 0x1
	ds_store_b64 v100, v[4:5] offset:4224
	;; [unrolled: 2-line block ×3, first 2 shown]
.LBB119_36:                             ;   in Loop: Header=BB119_4 Depth=1
	v_add_co_u32 v2, vcc_lo, 0x100, v0
	s_wait_alu 0xfffd
	v_add_co_ci_u32_e64 v3, null, 0, v1, vcc_lo
	s_and_not1_b32 vcc_lo, exec_lo, s19
	s_wait_alu 0xfffe
	s_cbranch_vccnz .LBB119_48
; %bb.37:                               ;   in Loop: Header=BB119_4 Depth=1
	s_and_saveexec_b32 s19, s13
	s_wait_alu 0xfffe
	s_xor_b32 s19, exec_lo, s19
; %bb.38:                               ;   in Loop: Header=BB119_4 Depth=1
	v_mov_b32_e32 v32, v33
	ds_store_b64 v100, v[32:33]
; %bb.39:                               ;   in Loop: Header=BB119_4 Depth=1
	s_wait_alu 0xfffe
	s_or_saveexec_b32 s19, s19
	v_add_co_u32 v0, vcc_lo, v0, v34
	s_wait_alu 0xfffd
	v_add_co_ci_u32_e64 v1, null, v1, v35, vcc_lo
	s_lshl_b64 s[20:21], s[30:31], 3
	s_wait_alu 0xfffe
	v_add_co_u32 v0, vcc_lo, v0, s20
	s_wait_alu 0xfffd
	v_add_co_ci_u32_e64 v1, null, s21, v1, vcc_lo
	s_delay_alu instid0(VALU_DEP_2) | instskip(SKIP_1) | instid1(VALU_DEP_2)
	v_add_co_u32 v0, vcc_lo, v0, -8
	s_wait_alu 0xfffd
	v_add_co_ci_u32_e64 v1, null, -1, v1, vcc_lo
	s_delay_alu instid0(VALU_DEP_2) | instskip(NEXT) | instid1(VALU_DEP_2)
	v_cndmask_b32_e64 v0, v0, v2, s12
	v_cndmask_b32_e64 v1, v1, v3, s12
	s_xor_b32 exec_lo, exec_lo, s19
	s_cbranch_execnz .LBB119_94
; %bb.40:                               ;   in Loop: Header=BB119_4 Depth=1
	s_or_b32 exec_lo, exec_lo, s19
	s_and_saveexec_b32 s19, s14
	s_wait_alu 0xfffe
	s_xor_b32 s19, exec_lo, s19
	s_cbranch_execnz .LBB119_95
.LBB119_41:                             ;   in Loop: Header=BB119_4 Depth=1
	s_wait_alu 0xfffe
	s_and_not1_saveexec_b32 s19, s19
	s_cbranch_execnz .LBB119_96
.LBB119_42:                             ;   in Loop: Header=BB119_4 Depth=1
	s_wait_alu 0xfffe
	s_or_b32 exec_lo, exec_lo, s19
	s_and_saveexec_b32 s19, s15
	s_wait_alu 0xfffe
	s_xor_b32 s19, exec_lo, s19
	s_cbranch_execnz .LBB119_97
.LBB119_43:                             ;   in Loop: Header=BB119_4 Depth=1
	s_wait_alu 0xfffe
	s_and_not1_saveexec_b32 s19, s19
	s_cbranch_execnz .LBB119_98
.LBB119_44:                             ;   in Loop: Header=BB119_4 Depth=1
	s_wait_alu 0xfffe
	s_or_b32 exec_lo, exec_lo, s19
	s_and_saveexec_b32 s19, s16
	s_wait_alu 0xfffe
	s_xor_b32 s19, exec_lo, s19
	s_cbranch_execnz .LBB119_99
.LBB119_45:                             ;   in Loop: Header=BB119_4 Depth=1
	s_wait_alu 0xfffe
	s_and_not1_saveexec_b32 s19, s19
	s_cbranch_execz .LBB119_47
.LBB119_46:                             ;   in Loop: Header=BB119_4 Depth=1
	s_lshl_b64 s[20:21], s[48:49], 3
	s_wait_alu 0xfffe
	v_add_co_u32 v4, vcc_lo, v0, s20
	s_wait_alu 0xfffd
	v_add_co_ci_u32_e64 v5, null, s21, v1, vcc_lo
	global_load_b64 v[4:5], v[4:5], off
	s_wait_loadcnt 0x0
	ds_store_b64 v100, v[4:5] offset:6336
.LBB119_47:                             ;   in Loop: Header=BB119_4 Depth=1
	s_wait_alu 0xfffe
	s_or_b32 exec_lo, exec_lo, s19
	v_add_co_u32 v0, vcc_lo, v0, v105
	s_wait_alu 0xfffd
	v_add_co_ci_u32_e64 v1, null, 0, v1, vcc_lo
	s_lshl_b64 s[20:21], s[52:53], 3
	s_wait_alu 0xfffe
	v_add_co_u32 v0, vcc_lo, v0, s20
	s_wait_alu 0xfffd
	v_add_co_ci_u32_e64 v1, null, s21, v1, vcc_lo
	s_delay_alu instid0(VALU_DEP_2) | instskip(SKIP_1) | instid1(VALU_DEP_2)
	v_add_co_u32 v0, vcc_lo, 0x108, v0
	s_wait_alu 0xfffd
	v_add_co_ci_u32_e64 v1, null, 0, v1, vcc_lo
	s_delay_alu instid0(VALU_DEP_2) | instskip(NEXT) | instid1(VALU_DEP_2)
	v_cndmask_b32_e64 v2, v0, v2, s12
	v_cndmask_b32_e64 v3, v1, v3, s12
.LBB119_48:                             ;   in Loop: Header=BB119_4 Depth=1
	s_wait_loadcnt_dscnt 0x0
	s_barrier_signal -1
	s_barrier_wait -1
	global_inv scope:SCOPE_SE
	s_and_saveexec_b32 s19, s7
	s_cbranch_execnz .LBB119_85
; %bb.49:                               ;   in Loop: Header=BB119_4 Depth=1
	s_wait_alu 0xfffe
	s_or_b32 exec_lo, exec_lo, s19
	s_and_saveexec_b32 s19, s8
	s_cbranch_execnz .LBB119_86
.LBB119_50:                             ;   in Loop: Header=BB119_4 Depth=1
	s_wait_alu 0xfffe
	s_or_b32 exec_lo, exec_lo, s19
	s_and_saveexec_b32 s19, s9
	s_cbranch_execnz .LBB119_87
.LBB119_51:                             ;   in Loop: Header=BB119_4 Depth=1
	s_wait_alu 0xfffe
	s_or_b32 exec_lo, exec_lo, s19
	s_and_saveexec_b32 s19, s10
	s_cbranch_execz .LBB119_53
.LBB119_52:                             ;   in Loop: Header=BB119_4 Depth=1
	ds_load_b64 v[0:1], v102 offset:528
	s_wait_dscnt 0x0
	ds_store_b64 v87, v[0:1] offset:24
.LBB119_53:                             ;   in Loop: Header=BB119_4 Depth=1
	s_wait_alu 0xfffe
	s_or_b32 exec_lo, exec_lo, s19
	s_wait_loadcnt_dscnt 0x0
	s_barrier_signal -1
	s_barrier_wait -1
	global_inv scope:SCOPE_SE
	ds_load_b64 v[0:1], v101
	ds_load_b128 v[4:7], v89 offset:256
	ds_load_2addr_b64 v[8:11], v102 offset1:33
	ds_load_b128 v[12:15], v89 offset:272
	ds_load_b64 v[18:19], v102 offset:528
	s_wait_loadcnt_dscnt 0x0
	s_barrier_signal -1
	s_barrier_wait -1
	global_inv scope:SCOPE_SE
	v_mul_f32_e32 v20, v5, v1
	v_dual_mul_f32 v1, v4, v1 :: v_dual_mul_f32 v22, v13, v11
	v_mul_f32_e32 v11, v12, v11
	s_delay_alu instid0(VALU_DEP_3) | instskip(SKIP_3) | instid1(VALU_DEP_4)
	v_fma_f32 v4, v4, v0, -v20
	v_mul_f32_e32 v21, v7, v9
	v_mul_f32_e32 v9, v6, v9
	v_dual_fmac_f32 v1, v5, v0 :: v_dual_mul_f32 v0, v15, v19
	v_add_f32_e32 v4, 0, v4
	s_delay_alu instid0(VALU_DEP_4) | instskip(NEXT) | instid1(VALU_DEP_4)
	v_fma_f32 v5, v6, v8, -v21
	v_dual_fmac_f32 v9, v7, v8 :: v_dual_mul_f32 v6, v14, v19
	s_delay_alu instid0(VALU_DEP_4) | instskip(SKIP_1) | instid1(VALU_DEP_4)
	v_add_f32_e32 v1, 0, v1
	v_fma_f32 v7, v12, v10, -v22
	v_dual_add_f32 v4, v4, v5 :: v_dual_fmac_f32 v11, v13, v10
	v_fma_f32 v0, v14, v18, -v0
	v_fmac_f32_e32 v6, v15, v18
	s_delay_alu instid0(VALU_DEP_3) | instskip(NEXT) | instid1(VALU_DEP_1)
	v_dual_add_f32 v4, v4, v7 :: v_dual_add_f32 v1, v1, v9
	v_dual_add_f32 v0, v4, v0 :: v_dual_add_f32 v1, v1, v11
	s_delay_alu instid0(VALU_DEP_1)
	v_add_f32_e32 v1, v1, v6
	ds_store_b64 v90, v[0:1]
	s_wait_loadcnt_dscnt 0x0
	s_barrier_signal -1
	s_barrier_wait -1
	global_inv scope:SCOPE_SE
	s_and_saveexec_b32 s19, s17
	s_cbranch_execz .LBB119_55
; %bb.54:                               ;   in Loop: Header=BB119_4 Depth=1
	ds_load_2addr_b64 v[4:7], v88 offset1:7
	ds_load_2addr_b64 v[8:11], v88 offset0:1 offset1:2
	ds_load_2addr_b64 v[12:15], v88 offset0:3 offset1:4
	;; [unrolled: 1-line block ×3, first 2 shown]
	s_wait_dscnt 0x2
	v_dual_add_f32 v0, v8, v4 :: v_dual_add_f32 v1, v9, v5
	s_delay_alu instid0(VALU_DEP_1) | instskip(SKIP_1) | instid1(VALU_DEP_1)
	v_dual_add_f32 v0, v10, v0 :: v_dual_add_f32 v1, v11, v1
	s_wait_dscnt 0x1
	v_dual_add_f32 v0, v0, v12 :: v_dual_add_f32 v1, v1, v13
	s_delay_alu instid0(VALU_DEP_1) | instskip(SKIP_1) | instid1(VALU_DEP_1)
	v_dual_add_f32 v0, v0, v14 :: v_dual_add_f32 v1, v1, v15
	s_wait_dscnt 0x0
	v_dual_add_f32 v0, v0, v18 :: v_dual_add_f32 v1, v1, v19
	s_delay_alu instid0(VALU_DEP_1) | instskip(NEXT) | instid1(VALU_DEP_1)
	v_dual_add_f32 v0, v0, v20 :: v_dual_add_f32 v1, v1, v21
	v_dual_add_f32 v44, v0, v6 :: v_dual_add_f32 v45, v1, v7
.LBB119_55:                             ;   in Loop: Header=BB119_4 Depth=1
	s_wait_alu 0xfffe
	s_or_b32 exec_lo, exec_lo, s19
	v_add_co_u32 v18, vcc_lo, v2, s88
	s_wait_alu 0xfffd
	v_add_co_ci_u32_e64 v19, null, s89, v3, vcc_lo
	s_and_not1_b32 vcc_lo, exec_lo, s96
	s_mov_b32 s19, -1
	s_wait_loadcnt 0x0
	s_barrier_signal -1
	s_barrier_wait -1
	global_inv scope:SCOPE_SE
	s_wait_alu 0xfffe
	s_cbranch_vccnz .LBB119_57
; %bb.56:                               ;   in Loop: Header=BB119_4 Depth=1
	s_lshl_b64 s[20:21], s[42:43], 3
	s_mov_b32 s19, 0
	s_wait_alu 0xfffe
	v_add_co_u32 v0, vcc_lo, v18, s20
	s_wait_alu 0xfffd
	v_add_co_ci_u32_e64 v1, null, s21, v19, vcc_lo
	s_delay_alu instid0(VALU_DEP_2) | instskip(SKIP_1) | instid1(VALU_DEP_2)
	v_add_co_u32 v2, vcc_lo, v0, s50
	s_wait_alu 0xfffd
	v_add_co_ci_u32_e64 v3, null, s51, v1, vcc_lo
	s_delay_alu instid0(VALU_DEP_2) | instskip(SKIP_1) | instid1(VALU_DEP_2)
	v_add_co_u32 v4, vcc_lo, v2, s50
	s_wait_alu 0xfffd
	v_add_co_ci_u32_e64 v5, null, s51, v3, vcc_lo
	s_clause 0x3
	global_load_b64 v[6:7], v[18:19], off
	global_load_b64 v[0:1], v[0:1], off
	global_load_b64 v[2:3], v[2:3], off
	global_load_b64 v[4:5], v[4:5], off
	s_wait_loadcnt 0x3
	ds_store_b64 v100, v[6:7]
	s_wait_loadcnt 0x2
	ds_store_b64 v100, v[0:1] offset:2112
	s_wait_loadcnt 0x1
	ds_store_b64 v100, v[2:3] offset:4224
	;; [unrolled: 2-line block ×3, first 2 shown]
.LBB119_57:                             ;   in Loop: Header=BB119_4 Depth=1
	s_and_not1_b32 vcc_lo, exec_lo, s19
	s_wait_alu 0xfffe
	s_cbranch_vccnz .LBB119_69
; %bb.58:                               ;   in Loop: Header=BB119_4 Depth=1
	s_and_saveexec_b32 s19, s3
	s_wait_alu 0xfffe
	s_xor_b32 s19, exec_lo, s19
; %bb.59:                               ;   in Loop: Header=BB119_4 Depth=1
	v_mov_b32_e32 v32, v33
	ds_store_b64 v100, v[32:33]
; %bb.60:                               ;   in Loop: Header=BB119_4 Depth=1
	s_wait_alu 0xfffe
	s_or_saveexec_b32 s19, s19
	v_add_co_u32 v0, vcc_lo, v18, v34
	s_wait_alu 0xfffd
	v_add_co_ci_u32_e64 v1, null, v19, v35, vcc_lo
	s_lshl_b64 s[20:21], s[30:31], 3
	s_wait_alu 0xfffe
	v_add_co_u32 v0, vcc_lo, v0, s20
	s_wait_alu 0xfffd
	v_add_co_ci_u32_e64 v1, null, s21, v1, vcc_lo
	s_delay_alu instid0(VALU_DEP_2) | instskip(SKIP_1) | instid1(VALU_DEP_2)
	v_add_co_u32 v0, vcc_lo, 0xfffffef8, v0
	s_wait_alu 0xfffd
	v_add_co_ci_u32_e64 v1, null, -1, v1, vcc_lo
	s_delay_alu instid0(VALU_DEP_2) | instskip(NEXT) | instid1(VALU_DEP_2)
	v_cndmask_b32_e64 v0, v0, v18, s12
	v_cndmask_b32_e64 v1, v1, v19, s12
	s_xor_b32 exec_lo, exec_lo, s19
	s_cbranch_execnz .LBB119_100
; %bb.61:                               ;   in Loop: Header=BB119_4 Depth=1
	s_or_b32 exec_lo, exec_lo, s19
	s_and_saveexec_b32 s19, s4
	s_wait_alu 0xfffe
	s_xor_b32 s19, exec_lo, s19
	s_cbranch_execnz .LBB119_101
.LBB119_62:                             ;   in Loop: Header=BB119_4 Depth=1
	s_wait_alu 0xfffe
	s_and_not1_saveexec_b32 s19, s19
	s_cbranch_execnz .LBB119_102
.LBB119_63:                             ;   in Loop: Header=BB119_4 Depth=1
	s_wait_alu 0xfffe
	s_or_b32 exec_lo, exec_lo, s19
	s_and_saveexec_b32 s19, s5
	s_wait_alu 0xfffe
	s_xor_b32 s19, exec_lo, s19
	s_cbranch_execnz .LBB119_103
.LBB119_64:                             ;   in Loop: Header=BB119_4 Depth=1
	s_wait_alu 0xfffe
	s_and_not1_saveexec_b32 s19, s19
	s_cbranch_execnz .LBB119_104
.LBB119_65:                             ;   in Loop: Header=BB119_4 Depth=1
	s_wait_alu 0xfffe
	s_or_b32 exec_lo, exec_lo, s19
	s_and_saveexec_b32 s19, s6
	s_wait_alu 0xfffe
	s_xor_b32 s19, exec_lo, s19
	s_cbranch_execnz .LBB119_105
.LBB119_66:                             ;   in Loop: Header=BB119_4 Depth=1
	s_wait_alu 0xfffe
	s_and_not1_saveexec_b32 s19, s19
	s_cbranch_execz .LBB119_68
.LBB119_67:                             ;   in Loop: Header=BB119_4 Depth=1
	s_lshl_b64 s[20:21], s[48:49], 3
	s_wait_alu 0xfffe
	v_add_co_u32 v2, vcc_lo, v0, s20
	s_wait_alu 0xfffd
	v_add_co_ci_u32_e64 v3, null, s21, v1, vcc_lo
	global_load_b64 v[2:3], v[2:3], off
	s_wait_loadcnt 0x0
	ds_store_b64 v100, v[2:3] offset:6336
.LBB119_68:                             ;   in Loop: Header=BB119_4 Depth=1
	s_wait_alu 0xfffe
	s_or_b32 exec_lo, exec_lo, s19
	v_add_co_u32 v0, vcc_lo, v0, v105
	s_wait_alu 0xfffd
	v_add_co_ci_u32_e64 v1, null, 0, v1, vcc_lo
	s_lshl_b64 s[20:21], s[52:53], 3
	s_wait_alu 0xfffe
	v_add_co_u32 v0, vcc_lo, v0, s20
	s_wait_alu 0xfffd
	v_add_co_ci_u32_e64 v1, null, s21, v1, vcc_lo
	s_delay_alu instid0(VALU_DEP_2) | instskip(SKIP_1) | instid1(VALU_DEP_2)
	v_add_co_u32 v0, vcc_lo, 0x108, v0
	s_wait_alu 0xfffd
	v_add_co_ci_u32_e64 v1, null, 0, v1, vcc_lo
	s_delay_alu instid0(VALU_DEP_2) | instskip(NEXT) | instid1(VALU_DEP_2)
	v_cndmask_b32_e64 v18, v0, v18, s12
	v_cndmask_b32_e64 v19, v1, v19, s12
.LBB119_69:                             ;   in Loop: Header=BB119_4 Depth=1
	s_wait_loadcnt_dscnt 0x0
	s_barrier_signal -1
	s_barrier_wait -1
	global_inv scope:SCOPE_SE
	ds_load_b64 v[24:25], v103
	ds_load_b64 v[26:27], v100
	ds_load_b64 v[28:29], v100 offset:2112
	ds_load_2addr_b64 v[20:23], v99 offset0:8 offset1:16
	ds_load_b64 v[30:31], v100 offset:6336
	ds_load_b64 v[46:47], v100 offset:4224
	;; [unrolled: 1-line block ×3, first 2 shown]
	ds_load_b128 v[8:11], v89 offset:256
	ds_load_b128 v[0:3], v89 offset:272
	ds_load_2addr_b64 v[12:15], v91 offset1:1
	ds_load_2addr_b64 v[4:7], v91 offset0:2 offset1:3
	s_wait_loadcnt_dscnt 0x0
	s_barrier_signal -1
	s_barrier_wait -1
	global_inv scope:SCOPE_SE
	v_mul_f32_e32 v32, v25, v27
	v_dual_mul_f32 v27, v24, v27 :: v_dual_mul_f32 v50, v21, v29
	v_mul_f32_e32 v29, v20, v29
	s_delay_alu instid0(VALU_DEP_3) | instskip(SKIP_1) | instid1(VALU_DEP_4)
	v_fma_f32 v24, v24, v26, -v32
	v_mul_f32_e32 v52, v49, v31
	v_dual_fmac_f32 v27, v25, v26 :: v_dual_mul_f32 v26, v48, v31
	v_fma_f32 v20, v20, v28, -v50
	v_fmac_f32_e32 v29, v21, v28
	v_add_f32_e32 v21, 0, v24
	v_mul_f32_e32 v51, v23, v47
	v_dual_mul_f32 v25, v22, v47 :: v_dual_fmac_f32 v26, v49, v30
	v_add_f32_e32 v24, 0, v27
	s_delay_alu instid0(VALU_DEP_4) | instskip(NEXT) | instid1(VALU_DEP_4)
	v_add_f32_e32 v20, v21, v20
	v_fma_f32 v22, v22, v46, -v51
	s_delay_alu instid0(VALU_DEP_3) | instskip(NEXT) | instid1(VALU_DEP_2)
	v_add_f32_e32 v21, v24, v29
	v_add_f32_e32 v20, v20, v22
	v_fmac_f32_e32 v25, v23, v46
	v_fma_f32 v23, v48, v30, -v52
	s_delay_alu instid0(VALU_DEP_1) | instskip(NEXT) | instid1(VALU_DEP_1)
	v_dual_add_f32 v20, v20, v23 :: v_dual_add_f32 v21, v21, v25
	v_add_f32_e32 v21, v21, v26
	ds_store_b64 v90, v[20:21]
	s_wait_loadcnt_dscnt 0x0
	s_barrier_signal -1
	s_barrier_wait -1
	global_inv scope:SCOPE_SE
	s_and_saveexec_b32 s19, s17
	s_cbranch_execz .LBB119_71
; %bb.70:                               ;   in Loop: Header=BB119_4 Depth=1
	ds_load_2addr_b64 v[20:23], v88 offset1:1
	ds_load_2addr_b64 v[24:27], v88 offset0:2 offset1:3
	ds_load_2addr_b64 v[28:31], v88 offset0:4 offset1:5
	s_wait_dscnt 0x2
	v_dual_add_f32 v20, v44, v20 :: v_dual_add_f32 v21, v45, v21
	s_delay_alu instid0(VALU_DEP_1) | instskip(SKIP_1) | instid1(VALU_DEP_1)
	v_add_f32_e32 v44, v21, v23
	s_wait_dscnt 0x1
	v_add_f32_e32 v25, v44, v25
	s_delay_alu instid0(VALU_DEP_3) | instskip(SKIP_3) | instid1(VALU_DEP_1)
	v_add_f32_e32 v32, v20, v22
	ds_load_2addr_b64 v[20:23], v88 offset0:6 offset1:7
	v_dual_add_f32 v25, v25, v27 :: v_dual_add_f32 v24, v32, v24
	s_wait_dscnt 0x1
	v_dual_add_f32 v25, v25, v29 :: v_dual_add_f32 v24, v24, v26
	s_delay_alu instid0(VALU_DEP_1) | instskip(SKIP_1) | instid1(VALU_DEP_1)
	v_dual_add_f32 v25, v25, v31 :: v_dual_add_f32 v24, v24, v28
	s_wait_dscnt 0x0
	v_dual_add_f32 v21, v25, v21 :: v_dual_add_f32 v24, v24, v30
	s_delay_alu instid0(VALU_DEP_1) | instskip(NEXT) | instid1(VALU_DEP_1)
	v_dual_add_f32 v45, v21, v23 :: v_dual_add_f32 v20, v24, v20
	v_add_f32_e32 v44, v20, v22
.LBB119_71:                             ;   in Loop: Header=BB119_4 Depth=1
	s_wait_alu 0xfffe
	s_or_b32 exec_lo, exec_lo, s19
	v_dual_mul_f32 v20, v9, v13 :: v_dual_mul_f32 v21, v11, v15
	v_mul_f32_e32 v13, v8, v13
	v_dual_mul_f32 v15, v10, v15 :: v_dual_mul_f32 v22, v1, v5
	s_delay_alu instid0(VALU_DEP_3) | instskip(NEXT) | instid1(VALU_DEP_4)
	v_fma_f32 v8, v8, v12, -v20
	v_fma_f32 v10, v10, v14, -v21
	v_mul_f32_e32 v5, v0, v5
	s_delay_alu instid0(VALU_DEP_4)
	v_fmac_f32_e32 v15, v11, v14
	v_fma_f32 v0, v0, v4, -v22
	v_add_f32_e32 v8, 0, v8
	v_fmac_f32_e32 v13, v9, v12
	v_fmac_f32_e32 v5, v1, v4
	s_wait_loadcnt 0x0
	s_barrier_signal -1
	v_dual_add_f32 v8, v8, v10 :: v_dual_mul_f32 v9, v3, v7
	v_mul_f32_e32 v7, v2, v7
	s_barrier_wait -1
	global_inv scope:SCOPE_SE
	v_add_f32_e32 v0, v8, v0
	v_fma_f32 v2, v2, v6, -v9
	v_add_f32_e32 v11, 0, v13
	v_fmac_f32_e32 v7, v3, v6
	s_delay_alu instid0(VALU_DEP_2) | instskip(NEXT) | instid1(VALU_DEP_1)
	v_dual_add_f32 v0, v0, v2 :: v_dual_add_f32 v1, v11, v15
	v_add_f32_e32 v1, v1, v5
	s_delay_alu instid0(VALU_DEP_1)
	v_add_f32_e32 v1, v1, v7
	ds_store_b64 v90, v[0:1]
	s_wait_loadcnt_dscnt 0x0
	s_barrier_signal -1
	s_barrier_wait -1
	global_inv scope:SCOPE_SE
	s_and_saveexec_b32 s19, s11
	s_cbranch_execz .LBB119_73
; %bb.72:                               ;   in Loop: Header=BB119_4 Depth=1
	ds_load_2addr_b64 v[0:3], v88 offset1:1
	ds_load_2addr_b64 v[4:7], v88 offset0:2 offset1:3
	ds_load_2addr_b64 v[8:11], v88 offset0:4 offset1:5
	s_wait_dscnt 0x2
	v_dual_add_f32 v0, v44, v0 :: v_dual_add_f32 v1, v45, v1
	s_delay_alu instid0(VALU_DEP_1) | instskip(SKIP_3) | instid1(VALU_DEP_1)
	v_dual_add_f32 v12, v0, v2 :: v_dual_add_f32 v13, v1, v3
	ds_load_2addr_b64 v[0:3], v88 offset0:6 offset1:7
	s_wait_dscnt 0x2
	v_dual_add_f32 v4, v12, v4 :: v_dual_add_f32 v5, v13, v5
	v_dual_add_f32 v4, v4, v6 :: v_dual_add_f32 v5, v5, v7
	s_wait_dscnt 0x1
	s_delay_alu instid0(VALU_DEP_1) | instskip(NEXT) | instid1(VALU_DEP_1)
	v_dual_add_f32 v4, v4, v8 :: v_dual_add_f32 v5, v5, v9
	v_dual_add_f32 v4, v4, v10 :: v_dual_add_f32 v5, v5, v11
	s_wait_dscnt 0x0
	s_delay_alu instid0(VALU_DEP_1) | instskip(NEXT) | instid1(VALU_DEP_1)
	v_dual_add_f32 v0, v4, v0 :: v_dual_add_f32 v1, v5, v1
	v_dual_add_f32 v44, v0, v2 :: v_dual_add_f32 v45, v1, v3
.LBB119_73:                             ;   in Loop: Header=BB119_4 Depth=1
	s_wait_alu 0xfffe
	s_or_b32 exec_lo, exec_lo, s19
	s_mul_u64 s[20:21], s[28:29], s[22:23]
	s_and_not1_b32 vcc_lo, exec_lo, s97
	s_wait_alu 0xfffe
	s_lshl_b64 s[20:21], s[20:21], 3
	s_wait_loadcnt 0x0
	s_wait_alu 0xfffe
	s_add_nc_u64 s[20:21], s[34:35], s[20:21]
	s_barrier_signal -1
	s_barrier_wait -1
	global_inv scope:SCOPE_SE
	s_cbranch_vccnz .LBB119_80
; %bb.74:                               ;   in Loop: Header=BB119_4 Depth=1
	v_add_co_u32 v0, vcc_lo, v18, s92
	s_wait_alu 0xfffd
	v_add_co_ci_u32_e64 v1, null, s93, v19, vcc_lo
	s_lshl_b64 s[94:95], s[30:31], 3
	v_add_co_u32 v0, vcc_lo, v0, v36
	s_wait_alu 0xfffd
	v_add_co_ci_u32_e64 v1, null, v1, v37, vcc_lo
	v_mov_b32_e32 v32, v80
	s_delay_alu instid0(VALU_DEP_3) | instskip(SKIP_1) | instid1(VALU_DEP_3)
	v_add_co_u32 v0, vcc_lo, v0, v38
	s_wait_alu 0xfffd
	v_add_co_ci_u32_e64 v1, null, v1, v39, vcc_lo
	s_mov_b32 s19, ttmp9
	v_add_co_u32 v2, vcc_lo, v0, v40
	s_wait_alu 0xfffd
	v_add_co_ci_u32_e64 v3, null, v1, v41, vcc_lo
	s_wait_alu 0xfffe
	s_delay_alu instid0(VALU_DEP_2) | instskip(SKIP_1) | instid1(VALU_DEP_2)
	v_add_co_u32 v2, vcc_lo, v2, s94
	s_wait_alu 0xfffd
	v_add_co_ci_u32_e64 v3, null, s95, v3, vcc_lo
	v_add_co_u32 v0, vcc_lo, 0xffffff00, v0
	s_wait_alu 0xfffd
	v_add_co_ci_u32_e64 v1, null, -1, v1, vcc_lo
	v_add_co_u32 v2, vcc_lo, 0xfffffef8, v2
	s_wait_alu 0xfffd
	v_add_co_ci_u32_e64 v3, null, -1, v3, vcc_lo
	v_add_co_u32 v106, vcc_lo, v16, s90
	s_wait_alu 0xfffd
	v_add_co_ci_u32_e64 v107, null, s91, v17, vcc_lo
	s_delay_alu instid0(VALU_DEP_3)
	v_cndmask_b32_e64 v47, v1, v3, s1
	v_cndmask_b32_e64 v46, v0, v2, s1
	s_mov_b32 s94, 0
	s_branch .LBB119_76
.LBB119_75:                             ;   in Loop: Header=BB119_76 Depth=2
	s_wait_alu 0xfffe
	s_or_b32 exec_lo, exec_lo, s95
	v_dual_mul_f32 v108, v5, v49 :: v_dual_mul_f32 v109, v7, v55
	v_mul_f32_e32 v5, v5, v48
	v_dual_mul_f32 v7, v7, v54 :: v_dual_mul_f32 v110, v1, v53
	s_delay_alu instid0(VALU_DEP_3)
	v_fma_f32 v48, v4, v48, -v108
	v_mul_f32_e32 v108, v3, v51
	v_mul_f32_e32 v3, v3, v50
	v_fma_f32 v54, v6, v54, -v109
	v_add_co_u32 v46, vcc_lo, v46, s56
	v_add_f32_e32 v44, v44, v48
	v_mul_f32_e32 v1, v1, v52
	v_dual_mul_f32 v48, v13, v63 :: v_dual_fmac_f32 v5, v4, v49
	v_fma_f32 v4, v0, v52, -v110
	s_delay_alu instid0(VALU_DEP_4) | instskip(SKIP_3) | instid1(VALU_DEP_4)
	v_add_f32_e32 v44, v44, v54
	v_mul_f32_e32 v13, v13, v62
	v_fmac_f32_e32 v1, v0, v53
	v_fmac_f32_e32 v3, v2, v51
	v_dual_add_f32 v5, v45, v5 :: v_dual_add_f32 v4, v44, v4
	v_fmac_f32_e32 v7, v6, v55
	v_fma_f32 v6, v2, v50, -v108
	s_wait_alu 0xfffd
	v_add_co_ci_u32_e64 v47, null, s57, v47, vcc_lo
	v_add_nc_u32_e32 v32, 64, v32
	s_add_co_i32 s19, s19, -1
	v_dual_add_f32 v4, v4, v6 :: v_dual_mul_f32 v49, v15, v61
	v_dual_add_f32 v0, v5, v7 :: v_dual_mul_f32 v15, v15, v60
	v_mul_f32_e32 v6, v9, v59
	v_fma_f32 v5, v12, v62, -v48
	s_add_co_i32 s94, s94, s98
	s_delay_alu instid0(VALU_DEP_3)
	v_add_f32_e32 v0, v0, v1
	v_fma_f32 v1, v14, v60, -v49
	v_fmac_f32_e32 v13, v12, v63
	s_wait_alu 0xfffe
	s_cmp_eq_u32 s19, 0
	s_wait_loadcnt 0x0
	s_wait_storecnt 0x0
	v_add_f32_e32 v0, v0, v3
	v_fma_f32 v3, v8, v58, -v6
	v_add_f32_e32 v2, v4, v5
	v_mul_f32_e32 v4, v11, v57
	v_mul_f32_e32 v6, v31, v72
	v_add_f32_e32 v0, v0, v13
	s_barrier_signal -1
	v_dual_add_f32 v1, v2, v1 :: v_dual_mul_f32 v2, v9, v58
	v_fma_f32 v4, v10, v56, -v4
	v_dual_mul_f32 v5, v11, v56 :: v_dual_fmac_f32 v6, v30, v73
	s_barrier_wait -1
	s_delay_alu instid0(VALU_DEP_3)
	v_dual_fmac_f32 v2, v8, v59 :: v_dual_fmac_f32 v15, v14, v61
	v_add_f32_e32 v1, v1, v3
	v_mul_f32_e32 v3, v17, v71
	v_fmac_f32_e32 v5, v10, v57
	global_inv scope:SCOPE_SE
	v_dual_add_f32 v0, v0, v15 :: v_dual_add_f32 v1, v1, v4
	v_mul_f32_e32 v4, v19, v69
	v_fma_f32 v3, v16, v70, -v3
	s_delay_alu instid0(VALU_DEP_3) | instskip(SKIP_1) | instid1(VALU_DEP_3)
	v_add_f32_e32 v0, v0, v2
	v_mul_f32_e32 v2, v17, v70
	v_add_f32_e32 v1, v1, v3
	v_fma_f32 v3, v18, v68, -v4
	v_mul_f32_e32 v4, v21, v67
	v_dual_add_f32 v0, v0, v5 :: v_dual_mul_f32 v5, v19, v68
	v_fmac_f32_e32 v2, v16, v71
	s_delay_alu instid0(VALU_DEP_4) | instskip(NEXT) | instid1(VALU_DEP_4)
	v_add_f32_e32 v1, v1, v3
	v_fma_f32 v3, v20, v66, -v4
	v_mul_f32_e32 v4, v23, v65
	s_delay_alu instid0(VALU_DEP_4) | instskip(SKIP_1) | instid1(VALU_DEP_4)
	v_dual_fmac_f32 v5, v18, v69 :: v_dual_add_f32 v0, v0, v2
	v_mul_f32_e32 v2, v21, v66
	v_add_f32_e32 v1, v1, v3
	s_delay_alu instid0(VALU_DEP_4) | instskip(NEXT) | instid1(VALU_DEP_4)
	v_fma_f32 v3, v22, v64, -v4
	v_dual_add_f32 v0, v0, v5 :: v_dual_mul_f32 v5, v23, v64
	s_delay_alu instid0(VALU_DEP_4) | instskip(SKIP_1) | instid1(VALU_DEP_4)
	v_fmac_f32_e32 v2, v20, v67
	v_mul_f32_e32 v4, v25, v79
	v_add_f32_e32 v1, v1, v3
	v_mul_f32_e32 v3, v27, v77
	s_delay_alu instid0(VALU_DEP_4) | instskip(NEXT) | instid1(VALU_DEP_4)
	v_dual_fmac_f32 v5, v22, v65 :: v_dual_add_f32 v0, v0, v2
	v_fma_f32 v2, v24, v78, -v4
	s_delay_alu instid0(VALU_DEP_1) | instskip(NEXT) | instid1(VALU_DEP_4)
	v_add_f32_e32 v1, v1, v2
	v_fma_f32 v2, v26, v76, -v3
	v_dual_mul_f32 v3, v27, v76 :: v_dual_mul_f32 v4, v25, v78
	s_delay_alu instid0(VALU_DEP_2) | instskip(NEXT) | instid1(VALU_DEP_2)
	v_dual_add_f32 v0, v0, v5 :: v_dual_add_f32 v1, v1, v2
	v_dual_fmac_f32 v3, v26, v77 :: v_dual_fmac_f32 v4, v24, v79
	v_mul_f32_e32 v5, v29, v75
	v_mul_f32_e32 v2, v29, v74
	s_delay_alu instid0(VALU_DEP_3) | instskip(NEXT) | instid1(VALU_DEP_3)
	v_add_f32_e32 v0, v0, v4
	v_fma_f32 v4, v28, v74, -v5
	s_delay_alu instid0(VALU_DEP_3) | instskip(NEXT) | instid1(VALU_DEP_2)
	v_dual_mul_f32 v5, v31, v73 :: v_dual_fmac_f32 v2, v28, v75
	v_dual_add_f32 v0, v0, v3 :: v_dual_add_f32 v1, v1, v4
	s_delay_alu instid0(VALU_DEP_2) | instskip(NEXT) | instid1(VALU_DEP_2)
	v_fma_f32 v3, v30, v72, -v5
	v_add_f32_e32 v0, v0, v2
	s_delay_alu instid0(VALU_DEP_1)
	v_dual_add_f32 v44, v1, v3 :: v_dual_add_f32 v45, v0, v6
	s_cbranch_scc1 .LBB119_80
.LBB119_76:                             ;   Parent Loop BB119_4 Depth=1
                                        ; =>  This Inner Loop Header: Depth=2
	s_and_saveexec_b32 s100, s0
	s_cbranch_execz .LBB119_78
; %bb.77:                               ;   in Loop: Header=BB119_76 Depth=2
	s_wait_alu 0xfffe
	s_ashr_i32 s95, s94, 31
	s_wait_alu 0xfffe
	s_lshl_b64 s[102:103], s[94:95], 3
	s_wait_alu 0xfffe
	v_add_co_u32 v0, vcc_lo, v106, s102
	s_wait_alu 0xfffd
	v_add_co_ci_u32_e64 v1, null, s103, v107, vcc_lo
	global_load_b64 v[0:1], v[0:1], off
	s_wait_loadcnt 0x0
	ds_store_b64 v92, v[0:1]
.LBB119_78:                             ;   in Loop: Header=BB119_76 Depth=2
	s_or_b32 exec_lo, exec_lo, s100
	v_add_co_u32 v0, vcc_lo, v46, s54
	s_wait_alu 0xfffd
	v_add_co_ci_u32_e64 v1, null, s55, v47, vcc_lo
	v_add_co_u32 v2, vcc_lo, v46, s58
	s_wait_loadcnt_dscnt 0x0
	s_barrier_signal -1
	s_barrier_wait -1
	global_inv scope:SCOPE_SE
	global_load_b64 v[48:49], v[46:47], off
	s_wait_alu 0xfffd
	v_add_co_ci_u32_e64 v3, null, s59, v47, vcc_lo
	v_add_co_u32 v4, vcc_lo, v46, s60
	s_wait_alu 0xfffd
	v_add_co_ci_u32_e64 v5, null, s61, v47, vcc_lo
	s_clause 0x2
	global_load_b64 v[54:55], v[0:1], off
	global_load_b64 v[52:53], v[2:3], off
	;; [unrolled: 1-line block ×3, first 2 shown]
	ds_load_b64 v[8:9], v84
	ds_load_b128 v[4:7], v93
	ds_load_b128 v[0:3], v93 offset:16
	v_add_co_u32 v10, vcc_lo, v46, s84
	s_wait_alu 0xfffd
	v_add_co_ci_u32_e64 v11, null, s85, v47, vcc_lo
	v_add_co_u32 v14, vcc_lo, v46, s82
	s_wait_alu 0xfffd
	v_add_co_ci_u32_e64 v15, null, s83, v47, vcc_lo
	s_wait_loadcnt_dscnt 0x302
	v_mul_f32_e32 v13, v9, v48
	v_mul_f32_e32 v12, v9, v49
	s_wait_loadcnt 0x2
	s_delay_alu instid0(VALU_DEP_2)
	v_dual_fmac_f32 v13, v8, v49 :: v_dual_mul_f32 v16, v9, v55
	v_mul_f32_e32 v17, v9, v54
	s_wait_loadcnt 0x1
	v_mul_f32_e32 v18, v9, v53
	v_mul_f32_e32 v19, v9, v52
	s_wait_loadcnt 0x0
	v_mul_f32_e32 v20, v9, v51
	v_mul_f32_e32 v21, v8, v51
	v_fma_f32 v12, v8, v48, -v12
	v_fma_f32 v16, v8, v54, -v16
	v_fmac_f32_e32 v17, v8, v55
	v_fma_f32 v18, v8, v52, -v18
	v_fmac_f32_e32 v19, v8, v53
	;; [unrolled: 2-line block ×3, first 2 shown]
	v_add_co_u32 v8, vcc_lo, v46, s62
	s_wait_alu 0xfffd
	v_add_co_ci_u32_e64 v9, null, s63, v47, vcc_lo
	ds_store_2addr_b64 v94, v[12:13], v[16:17] offset1:67
	ds_store_2addr_b64 v94, v[18:19], v[20:21] offset0:134 offset1:201
	s_wait_dscnt 0x0
	s_barrier_signal -1
	s_barrier_wait -1
	global_inv scope:SCOPE_SE
	ds_load_2addr_b64 v[108:111], v95 offset1:1
	ds_load_2addr_b64 v[112:115], v95 offset0:2 offset1:3
	s_wait_loadcnt_dscnt 0x0
	s_barrier_signal -1
	s_barrier_wait -1
	global_inv scope:SCOPE_SE
	global_load_b64 v[62:63], v[10:11], off
	v_add_co_u32 v10, vcc_lo, v46, s64
	s_wait_alu 0xfffd
	v_add_co_ci_u32_e64 v11, null, s65, v47, vcc_lo
	s_clause 0x2
	global_load_b64 v[60:61], v[14:15], off
	global_load_b64 v[58:59], v[8:9], off
	global_load_b64 v[56:57], v[10:11], off
	ds_load_b64 v[8:9], v84
	ds_load_b128 v[12:15], v93 offset:128
	v_add_co_u32 v16, vcc_lo, v46, s80
	s_wait_alu 0xfffd
	v_add_co_ci_u32_e64 v17, null, s81, v47, vcc_lo
	v_add_co_u32 v18, vcc_lo, v46, s78
	v_add_f32_e32 v108, 0, v108
	s_wait_alu 0xfffd
	v_add_co_ci_u32_e64 v19, null, s79, v47, vcc_lo
	v_add_co_u32 v28, vcc_lo, v46, s66
	s_delay_alu instid0(VALU_DEP_3) | instskip(SKIP_2) | instid1(VALU_DEP_2)
	v_add_f32_e32 v108, v108, v110
	s_wait_alu 0xfffd
	v_add_co_ci_u32_e64 v29, null, s67, v47, vcc_lo
	v_add_f32_e32 v112, v108, v112
	s_delay_alu instid0(VALU_DEP_1)
	v_add_f32_e32 v112, v112, v114
	s_wait_loadcnt_dscnt 0x301
	v_mul_f32_e32 v10, v9, v63
	v_mul_f32_e32 v21, v9, v62
	s_wait_loadcnt 0x2
	v_mul_f32_e32 v11, v9, v61
	v_mul_f32_e32 v23, v9, v60
	s_wait_loadcnt 0x1
	;; [unrolled: 3-line block ×3, first 2 shown]
	v_dual_mul_f32 v26, v9, v57 :: v_dual_fmac_f32 v21, v8, v63
	v_mul_f32_e32 v27, v8, v57
	v_fma_f32 v20, v8, v62, -v10
	v_fma_f32 v22, v8, v60, -v11
	v_fmac_f32_e32 v23, v8, v61
	v_fma_f32 v24, v8, v58, -v24
	v_fmac_f32_e32 v25, v8, v59
	;; [unrolled: 2-line block ×3, first 2 shown]
	ds_load_b128 v[8:11], v93 offset:144
	ds_store_2addr_b64 v94, v[20:21], v[22:23] offset1:67
	ds_store_2addr_b64 v94, v[24:25], v[26:27] offset0:134 offset1:201
	s_wait_dscnt 0x0
	s_barrier_signal -1
	s_barrier_wait -1
	global_inv scope:SCOPE_SE
	ds_load_2addr_b64 v[116:119], v95 offset1:1
	ds_load_2addr_b64 v[120:123], v95 offset0:2 offset1:3
	s_wait_loadcnt_dscnt 0x0
	s_barrier_signal -1
	s_barrier_wait -1
	global_inv scope:SCOPE_SE
	global_load_b64 v[70:71], v[16:17], off
	v_add_co_u32 v16, vcc_lo, v46, s68
	s_wait_alu 0xfffd
	v_add_co_ci_u32_e64 v17, null, s69, v47, vcc_lo
	s_clause 0x2
	global_load_b64 v[68:69], v[18:19], off
	global_load_b64 v[66:67], v[28:29], off
	global_load_b64 v[64:65], v[16:17], off
	ds_load_b64 v[20:21], v84
	ds_load_b128 v[16:19], v93 offset:256
	v_add_co_u32 v24, vcc_lo, v46, s76
	s_wait_alu 0xfffd
	v_add_co_ci_u32_e64 v25, null, s77, v47, vcc_lo
	v_add_co_u32 v26, vcc_lo, v46, s74
	v_add_f32_e32 v117, 0, v117
	v_dual_add_f32 v109, 0, v109 :: v_dual_add_f32 v116, 0, v116
	s_wait_alu 0xfffd
	v_add_co_ci_u32_e64 v27, null, s75, v47, vcc_lo
	s_delay_alu instid0(VALU_DEP_3) | instskip(NEXT) | instid1(VALU_DEP_3)
	v_add_f32_e32 v114, v117, v119
	v_dual_add_f32 v109, v109, v111 :: v_dual_add_f32 v116, v116, v118
	v_add_co_u32 v132, vcc_lo, v46, s70
	s_delay_alu instid0(VALU_DEP_3) | instskip(NEXT) | instid1(VALU_DEP_3)
	v_add_f32_e32 v118, v114, v121
	v_add_f32_e32 v113, v109, v113
	s_wait_alu 0xfffd
	v_add_co_ci_u32_e64 v133, null, s71, v47, vcc_lo
	s_delay_alu instid0(VALU_DEP_2) | instskip(SKIP_1) | instid1(VALU_DEP_1)
	v_add_f32_e32 v113, v113, v115
	v_add_f32_e32 v115, v116, v120
	v_dual_add_f32 v114, v115, v122 :: v_dual_add_f32 v115, v118, v123
	s_wait_loadcnt_dscnt 0x301
	v_mul_f32_e32 v22, v21, v71
	v_mul_f32_e32 v29, v21, v70
	s_wait_loadcnt 0x2
	v_mul_f32_e32 v23, v21, v69
	v_mul_f32_e32 v31, v21, v68
	s_wait_loadcnt 0x1
	;; [unrolled: 3-line block ×3, first 2 shown]
	v_mul_f32_e32 v74, v21, v65
	v_mul_f32_e32 v75, v20, v65
	v_fma_f32 v28, v20, v70, -v22
	v_fmac_f32_e32 v29, v20, v71
	v_fma_f32 v30, v20, v68, -v23
	v_fmac_f32_e32 v31, v20, v69
	;; [unrolled: 2-line block ×4, first 2 shown]
	ds_load_b128 v[20:23], v93 offset:272
	ds_store_2addr_b64 v94, v[28:29], v[30:31] offset1:67
	ds_store_2addr_b64 v94, v[72:73], v[74:75] offset0:134 offset1:201
	s_wait_dscnt 0x0
	s_barrier_signal -1
	s_barrier_wait -1
	global_inv scope:SCOPE_SE
	ds_load_2addr_b64 v[124:127], v95 offset1:1
	ds_load_2addr_b64 v[128:131], v95 offset0:2 offset1:3
	s_wait_loadcnt_dscnt 0x0
	s_barrier_signal -1
	s_barrier_wait -1
	global_inv scope:SCOPE_SE
	global_load_b64 v[78:79], v[24:25], off
	v_add_co_u32 v24, vcc_lo, v46, s72
	s_wait_alu 0xfffd
	v_add_co_ci_u32_e64 v25, null, s73, v47, vcc_lo
	s_clause 0x2
	global_load_b64 v[76:77], v[26:27], off
	global_load_b64 v[74:75], v[132:133], off
	;; [unrolled: 1-line block ×3, first 2 shown]
	ds_load_b64 v[28:29], v84
	ds_load_b128 v[24:27], v93 offset:384
	v_dual_add_f32 v116, 0, v124 :: v_dual_add_f32 v117, 0, v125
	s_delay_alu instid0(VALU_DEP_1) | instskip(NEXT) | instid1(VALU_DEP_1)
	v_dual_add_f32 v116, v116, v126 :: v_dual_add_f32 v117, v117, v127
	v_dual_add_f32 v116, v116, v128 :: v_dual_add_f32 v117, v117, v129
	s_wait_loadcnt_dscnt 0x301
	v_mul_f32_e32 v30, v29, v79
	v_mul_f32_e32 v133, v29, v78
	s_wait_loadcnt 0x2
	v_mul_f32_e32 v31, v29, v77
	v_mul_f32_e32 v135, v29, v76
	s_wait_loadcnt 0x1
	;; [unrolled: 3-line block ×3, first 2 shown]
	v_dual_mul_f32 v138, v29, v73 :: v_dual_fmac_f32 v133, v28, v79
	v_mul_f32_e32 v139, v28, v73
	v_fma_f32 v132, v28, v78, -v30
	v_fma_f32 v134, v28, v76, -v31
	v_fmac_f32_e32 v135, v28, v77
	v_fma_f32 v136, v28, v74, -v136
	v_fmac_f32_e32 v137, v28, v75
	;; [unrolled: 2-line block ×3, first 2 shown]
	ds_load_b128 v[28:31], v93 offset:400
	ds_store_2addr_b64 v94, v[132:133], v[134:135] offset1:67
	ds_store_2addr_b64 v94, v[136:137], v[138:139] offset0:134 offset1:201
	s_wait_dscnt 0x0
	s_barrier_signal -1
	s_barrier_wait -1
	global_inv scope:SCOPE_SE
	ds_load_2addr_b64 v[132:135], v95 offset1:1
	ds_load_2addr_b64 v[108:111], v95 offset0:2 offset1:3
	s_wait_loadcnt_dscnt 0x0
	s_barrier_signal -1
	s_barrier_wait -1
	global_inv scope:SCOPE_SE
	v_dual_add_f32 v119, 0, v132 :: v_dual_add_f32 v120, 0, v133
	s_delay_alu instid0(VALU_DEP_1) | instskip(NEXT) | instid1(VALU_DEP_1)
	v_dual_add_f32 v119, v119, v134 :: v_dual_add_f32 v120, v120, v135
	v_dual_add_f32 v118, v119, v108 :: v_dual_add_f32 v119, v120, v109
	;; [unrolled: 1-line block ×3, first 2 shown]
	s_delay_alu instid0(VALU_DEP_2)
	v_dual_add_f32 v110, v118, v110 :: v_dual_add_f32 v111, v119, v111
	ds_store_2addr_b64 v104, v[112:113], v[114:115] offset1:16
	ds_store_2addr_b64 v104, v[108:109], v[110:111] offset0:32 offset1:48
	s_wait_loadcnt_dscnt 0x0
	s_barrier_signal -1
	s_barrier_wait -1
	global_inv scope:SCOPE_SE
	s_and_saveexec_b32 s95, s18
	s_cbranch_execz .LBB119_75
; %bb.79:                               ;   in Loop: Header=BB119_76 Depth=2
	ds_load_b64 v[120:121], v96
	ds_load_2addr_b64 v[108:111], v96 offset0:1 offset1:2
	ds_load_2addr_b64 v[112:115], v96 offset0:3 offset1:4
	;; [unrolled: 1-line block ×3, first 2 shown]
	s_wait_dscnt 0x2
	v_dual_add_f32 v108, v108, v120 :: v_dual_add_f32 v109, v109, v121
	s_delay_alu instid0(VALU_DEP_1) | instskip(SKIP_3) | instid1(VALU_DEP_1)
	v_dual_add_f32 v120, v110, v108 :: v_dual_add_f32 v121, v111, v109
	ds_load_2addr_b64 v[108:111], v96 offset0:7 offset1:8
	s_wait_dscnt 0x2
	v_dual_add_f32 v112, v120, v112 :: v_dual_add_f32 v113, v121, v113
	v_dual_add_f32 v120, v112, v114 :: v_dual_add_f32 v121, v113, v115
	ds_load_2addr_b64 v[112:115], v96 offset0:9 offset1:10
	s_wait_dscnt 0x2
	v_dual_add_f32 v116, v120, v116 :: v_dual_add_f32 v117, v121, v117
	s_delay_alu instid0(VALU_DEP_1) | instskip(SKIP_3) | instid1(VALU_DEP_1)
	v_dual_add_f32 v120, v116, v118 :: v_dual_add_f32 v121, v117, v119
	ds_load_2addr_b64 v[116:119], v96 offset0:11 offset1:12
	s_wait_dscnt 0x2
	v_dual_add_f32 v108, v120, v108 :: v_dual_add_f32 v109, v121, v109
	v_dual_add_f32 v120, v108, v110 :: v_dual_add_f32 v121, v109, v111
	ds_load_2addr_b64 v[108:111], v96 offset0:13 offset1:14
	s_wait_dscnt 0x2
	v_dual_add_f32 v112, v120, v112 :: v_dual_add_f32 v113, v121, v113
	s_delay_alu instid0(VALU_DEP_1) | instskip(SKIP_3) | instid1(VALU_DEP_1)
	v_dual_add_f32 v114, v112, v114 :: v_dual_add_f32 v115, v113, v115
	ds_load_b64 v[112:113], v97
	s_wait_dscnt 0x2
	v_dual_add_f32 v114, v114, v116 :: v_dual_add_f32 v115, v115, v117
	v_dual_add_f32 v114, v114, v118 :: v_dual_add_f32 v115, v115, v119
	s_wait_dscnt 0x1
	s_delay_alu instid0(VALU_DEP_1) | instskip(NEXT) | instid1(VALU_DEP_1)
	v_dual_add_f32 v108, v114, v108 :: v_dual_add_f32 v109, v115, v109
	v_dual_add_f32 v110, v108, v110 :: v_dual_add_f32 v111, v109, v111
	v_lshlrev_b64_e32 v[108:109], 3, v[32:33]
	s_wait_dscnt 0x0
	s_delay_alu instid0(VALU_DEP_2) | instskip(SKIP_1) | instid1(VALU_DEP_2)
	v_dual_add_f32 v110, v110, v112 :: v_dual_add_f32 v111, v111, v113
	s_wait_alu 0xfffe
	v_add_co_u32 v108, vcc_lo, s20, v108
	s_wait_alu 0xfffd
	v_add_co_ci_u32_e64 v109, null, s21, v109, vcc_lo
	global_store_b64 v[108:109], v[110:111], off
	s_branch .LBB119_75
.LBB119_80:                             ;   in Loop: Header=BB119_4 Depth=1
	ds_store_b64 v98, v[44:45]
	s_wait_loadcnt_dscnt 0x0
	s_barrier_signal -1
	s_barrier_wait -1
	global_inv scope:SCOPE_SE
	s_and_saveexec_b32 s19, s99
	s_cbranch_execz .LBB119_2
; %bb.81:                               ;   in Loop: Header=BB119_4 Depth=1
	ds_load_2addr_b64 v[0:3], v83 offset1:67
	ds_load_2addr_b64 v[4:7], v83 offset0:134 offset1:201
	s_wait_dscnt 0x1
	v_dual_add_f32 v0, v2, v0 :: v_dual_add_f32 v1, v3, v1
	s_wait_alu 0xfffe
	v_add_co_u32 v2, vcc_lo, s20, v42
	s_wait_alu 0xfffd
	v_add_co_ci_u32_e64 v3, null, s21, v43, vcc_lo
	s_wait_dscnt 0x0
	v_dual_add_f32 v0, v4, v0 :: v_dual_add_f32 v1, v5, v1
	s_delay_alu instid0(VALU_DEP_1)
	v_dual_add_f32 v0, v0, v6 :: v_dual_add_f32 v1, v1, v7
	global_store_b64 v[2:3], v[0:1], off
	s_branch .LBB119_2
.LBB119_82:                             ;   in Loop: Header=BB119_4 Depth=1
	ds_load_b64 v[2:3], v101
	s_wait_dscnt 0x0
	ds_store_b64 v87, v[2:3]
	s_wait_alu 0xfffe
	s_or_b32 exec_lo, exec_lo, s19
	s_and_saveexec_b32 s19, s8
	s_cbranch_execz .LBB119_29
.LBB119_83:                             ;   in Loop: Header=BB119_4 Depth=1
	ds_load_b64 v[2:3], v102
	s_wait_dscnt 0x0
	ds_store_b64 v87, v[2:3] offset:8
	s_wait_alu 0xfffe
	s_or_b32 exec_lo, exec_lo, s19
	s_and_saveexec_b32 s19, s9
	s_cbranch_execz .LBB119_30
.LBB119_84:                             ;   in Loop: Header=BB119_4 Depth=1
	ds_load_b64 v[2:3], v102 offset:264
	s_wait_dscnt 0x0
	ds_store_b64 v87, v[2:3] offset:16
	s_wait_alu 0xfffe
	s_or_b32 exec_lo, exec_lo, s19
	s_and_saveexec_b32 s19, s10
	s_cbranch_execnz .LBB119_31
	s_branch .LBB119_32
.LBB119_85:                             ;   in Loop: Header=BB119_4 Depth=1
	ds_load_b64 v[0:1], v101
	s_wait_dscnt 0x0
	ds_store_b64 v87, v[0:1]
	s_wait_alu 0xfffe
	s_or_b32 exec_lo, exec_lo, s19
	s_and_saveexec_b32 s19, s8
	s_cbranch_execz .LBB119_50
.LBB119_86:                             ;   in Loop: Header=BB119_4 Depth=1
	ds_load_b64 v[0:1], v102
	s_wait_dscnt 0x0
	ds_store_b64 v87, v[0:1] offset:8
	s_wait_alu 0xfffe
	s_or_b32 exec_lo, exec_lo, s19
	s_and_saveexec_b32 s19, s9
	s_cbranch_execz .LBB119_51
.LBB119_87:                             ;   in Loop: Header=BB119_4 Depth=1
	ds_load_b64 v[0:1], v102 offset:264
	s_wait_dscnt 0x0
	ds_store_b64 v87, v[0:1] offset:16
	s_wait_alu 0xfffe
	s_or_b32 exec_lo, exec_lo, s19
	s_and_saveexec_b32 s19, s10
	s_cbranch_execnz .LBB119_52
	s_branch .LBB119_53
.LBB119_88:                             ;   in Loop: Header=BB119_4 Depth=1
	global_load_b64 v[4:5], v[2:3], off
	s_wait_loadcnt 0x0
	ds_store_b64 v100, v[4:5]
	s_or_b32 exec_lo, exec_lo, s19
	s_and_saveexec_b32 s19, s4
	s_wait_alu 0xfffe
	s_xor_b32 s19, exec_lo, s19
	s_cbranch_execz .LBB119_20
.LBB119_89:                             ;   in Loop: Header=BB119_4 Depth=1
	v_mov_b32_e32 v32, v33
	ds_store_b64 v100, v[32:33] offset:2112
	s_wait_alu 0xfffe
	s_and_not1_saveexec_b32 s19, s19
	s_cbranch_execz .LBB119_21
.LBB119_90:                             ;   in Loop: Header=BB119_4 Depth=1
	s_lshl_b64 s[20:21], s[42:43], 3
	s_wait_alu 0xfffe
	v_add_co_u32 v4, vcc_lo, v2, s20
	s_wait_alu 0xfffd
	v_add_co_ci_u32_e64 v5, null, s21, v3, vcc_lo
	global_load_b64 v[4:5], v[4:5], off
	s_wait_loadcnt 0x0
	ds_store_b64 v100, v[4:5] offset:2112
	s_or_b32 exec_lo, exec_lo, s19
	s_and_saveexec_b32 s19, s5
	s_wait_alu 0xfffe
	s_xor_b32 s19, exec_lo, s19
	s_cbranch_execz .LBB119_22
.LBB119_91:                             ;   in Loop: Header=BB119_4 Depth=1
	v_mov_b32_e32 v32, v33
	ds_store_b64 v100, v[32:33] offset:4224
	s_wait_alu 0xfffe
	s_and_not1_saveexec_b32 s19, s19
	s_cbranch_execz .LBB119_23
.LBB119_92:                             ;   in Loop: Header=BB119_4 Depth=1
	s_lshl_b64 s[20:21], s[46:47], 3
	s_wait_alu 0xfffe
	v_add_co_u32 v4, vcc_lo, v2, s20
	s_wait_alu 0xfffd
	v_add_co_ci_u32_e64 v5, null, s21, v3, vcc_lo
	global_load_b64 v[4:5], v[4:5], off
	s_wait_loadcnt 0x0
	ds_store_b64 v100, v[4:5] offset:4224
	s_or_b32 exec_lo, exec_lo, s19
	s_and_saveexec_b32 s19, s6
	s_wait_alu 0xfffe
	s_xor_b32 s19, exec_lo, s19
	s_cbranch_execz .LBB119_24
.LBB119_93:                             ;   in Loop: Header=BB119_4 Depth=1
	v_mov_b32_e32 v32, v33
	ds_store_b64 v100, v[32:33] offset:6336
	s_wait_alu 0xfffe
	s_and_not1_saveexec_b32 s19, s19
	s_cbranch_execnz .LBB119_25
	s_branch .LBB119_26
.LBB119_94:                             ;   in Loop: Header=BB119_4 Depth=1
	global_load_b64 v[4:5], v[0:1], off
	s_wait_loadcnt 0x0
	ds_store_b64 v100, v[4:5]
	s_or_b32 exec_lo, exec_lo, s19
	s_and_saveexec_b32 s19, s14
	s_wait_alu 0xfffe
	s_xor_b32 s19, exec_lo, s19
	s_cbranch_execz .LBB119_41
.LBB119_95:                             ;   in Loop: Header=BB119_4 Depth=1
	v_mov_b32_e32 v32, v33
	ds_store_b64 v100, v[32:33] offset:2112
	s_wait_alu 0xfffe
	s_and_not1_saveexec_b32 s19, s19
	s_cbranch_execz .LBB119_42
.LBB119_96:                             ;   in Loop: Header=BB119_4 Depth=1
	s_lshl_b64 s[20:21], s[42:43], 3
	s_wait_alu 0xfffe
	v_add_co_u32 v4, vcc_lo, v0, s20
	s_wait_alu 0xfffd
	v_add_co_ci_u32_e64 v5, null, s21, v1, vcc_lo
	global_load_b64 v[4:5], v[4:5], off
	s_wait_loadcnt 0x0
	ds_store_b64 v100, v[4:5] offset:2112
	s_or_b32 exec_lo, exec_lo, s19
	s_and_saveexec_b32 s19, s15
	s_wait_alu 0xfffe
	s_xor_b32 s19, exec_lo, s19
	s_cbranch_execz .LBB119_43
.LBB119_97:                             ;   in Loop: Header=BB119_4 Depth=1
	v_mov_b32_e32 v32, v33
	ds_store_b64 v100, v[32:33] offset:4224
	s_wait_alu 0xfffe
	s_and_not1_saveexec_b32 s19, s19
	s_cbranch_execz .LBB119_44
.LBB119_98:                             ;   in Loop: Header=BB119_4 Depth=1
	s_lshl_b64 s[20:21], s[46:47], 3
	s_wait_alu 0xfffe
	v_add_co_u32 v4, vcc_lo, v0, s20
	s_wait_alu 0xfffd
	v_add_co_ci_u32_e64 v5, null, s21, v1, vcc_lo
	global_load_b64 v[4:5], v[4:5], off
	s_wait_loadcnt 0x0
	ds_store_b64 v100, v[4:5] offset:4224
	s_or_b32 exec_lo, exec_lo, s19
	s_and_saveexec_b32 s19, s16
	s_wait_alu 0xfffe
	s_xor_b32 s19, exec_lo, s19
	s_cbranch_execz .LBB119_45
.LBB119_99:                             ;   in Loop: Header=BB119_4 Depth=1
	v_mov_b32_e32 v32, v33
	ds_store_b64 v100, v[32:33] offset:6336
	s_wait_alu 0xfffe
	s_and_not1_saveexec_b32 s19, s19
	s_cbranch_execnz .LBB119_46
	s_branch .LBB119_47
.LBB119_100:                            ;   in Loop: Header=BB119_4 Depth=1
	global_load_b64 v[2:3], v[0:1], off
	s_wait_loadcnt 0x0
	ds_store_b64 v100, v[2:3]
	s_or_b32 exec_lo, exec_lo, s19
	s_and_saveexec_b32 s19, s4
	s_wait_alu 0xfffe
	s_xor_b32 s19, exec_lo, s19
	s_cbranch_execz .LBB119_62
.LBB119_101:                            ;   in Loop: Header=BB119_4 Depth=1
	v_mov_b32_e32 v32, v33
	ds_store_b64 v100, v[32:33] offset:2112
	s_wait_alu 0xfffe
	s_and_not1_saveexec_b32 s19, s19
	s_cbranch_execz .LBB119_63
.LBB119_102:                            ;   in Loop: Header=BB119_4 Depth=1
	s_lshl_b64 s[20:21], s[42:43], 3
	s_wait_alu 0xfffe
	v_add_co_u32 v2, vcc_lo, v0, s20
	s_wait_alu 0xfffd
	v_add_co_ci_u32_e64 v3, null, s21, v1, vcc_lo
	global_load_b64 v[2:3], v[2:3], off
	s_wait_loadcnt 0x0
	ds_store_b64 v100, v[2:3] offset:2112
	s_or_b32 exec_lo, exec_lo, s19
	s_and_saveexec_b32 s19, s5
	s_wait_alu 0xfffe
	s_xor_b32 s19, exec_lo, s19
	s_cbranch_execz .LBB119_64
.LBB119_103:                            ;   in Loop: Header=BB119_4 Depth=1
	v_mov_b32_e32 v32, v33
	ds_store_b64 v100, v[32:33] offset:4224
	s_wait_alu 0xfffe
	s_and_not1_saveexec_b32 s19, s19
	s_cbranch_execz .LBB119_65
.LBB119_104:                            ;   in Loop: Header=BB119_4 Depth=1
	s_lshl_b64 s[20:21], s[46:47], 3
	s_wait_alu 0xfffe
	v_add_co_u32 v2, vcc_lo, v0, s20
	s_wait_alu 0xfffd
	v_add_co_ci_u32_e64 v3, null, s21, v1, vcc_lo
	global_load_b64 v[2:3], v[2:3], off
	s_wait_loadcnt 0x0
	ds_store_b64 v100, v[2:3] offset:4224
	s_or_b32 exec_lo, exec_lo, s19
	s_and_saveexec_b32 s19, s6
	s_wait_alu 0xfffe
	s_xor_b32 s19, exec_lo, s19
	s_cbranch_execz .LBB119_66
.LBB119_105:                            ;   in Loop: Header=BB119_4 Depth=1
	v_mov_b32_e32 v32, v33
	ds_store_b64 v100, v[32:33] offset:6336
	s_wait_alu 0xfffe
	s_and_not1_saveexec_b32 s19, s19
	s_cbranch_execnz .LBB119_67
	s_branch .LBB119_68
.LBB119_106:
	s_nop 0
	s_sendmsg sendmsg(MSG_DEALLOC_VGPRS)
	s_endpgm
	.section	.rodata,"a",@progbits
	.p2align	6, 0x0
	.amdhsa_kernel _ZL26rocblas_hemvn_kernel_lowerILb0ELi64ELi4ELi33ELi32ELi16EiPK19rocblas_complex_numIfES3_PS1_EviT6_lT7_lT5_lS6_lS7_lS5_lT8_i
		.amdhsa_group_segment_fixed_size 9600
		.amdhsa_private_segment_fixed_size 0
		.amdhsa_kernarg_size 376
		.amdhsa_user_sgpr_count 2
		.amdhsa_user_sgpr_dispatch_ptr 0
		.amdhsa_user_sgpr_queue_ptr 0
		.amdhsa_user_sgpr_kernarg_segment_ptr 1
		.amdhsa_user_sgpr_dispatch_id 0
		.amdhsa_user_sgpr_private_segment_size 0
		.amdhsa_wavefront_size32 1
		.amdhsa_uses_dynamic_stack 0
		.amdhsa_enable_private_segment 0
		.amdhsa_system_sgpr_workgroup_id_x 1
		.amdhsa_system_sgpr_workgroup_id_y 0
		.amdhsa_system_sgpr_workgroup_id_z 1
		.amdhsa_system_sgpr_workgroup_info 0
		.amdhsa_system_vgpr_workitem_id 1
		.amdhsa_next_free_vgpr 140
		.amdhsa_next_free_sgpr 104
		.amdhsa_reserve_vcc 1
		.amdhsa_float_round_mode_32 0
		.amdhsa_float_round_mode_16_64 0
		.amdhsa_float_denorm_mode_32 3
		.amdhsa_float_denorm_mode_16_64 3
		.amdhsa_fp16_overflow 0
		.amdhsa_workgroup_processor_mode 1
		.amdhsa_memory_ordered 1
		.amdhsa_forward_progress 1
		.amdhsa_inst_pref_size 72
		.amdhsa_round_robin_scheduling 0
		.amdhsa_exception_fp_ieee_invalid_op 0
		.amdhsa_exception_fp_denorm_src 0
		.amdhsa_exception_fp_ieee_div_zero 0
		.amdhsa_exception_fp_ieee_overflow 0
		.amdhsa_exception_fp_ieee_underflow 0
		.amdhsa_exception_fp_ieee_inexact 0
		.amdhsa_exception_int_div_zero 0
	.end_amdhsa_kernel
	.section	.text._ZL26rocblas_hemvn_kernel_lowerILb0ELi64ELi4ELi33ELi32ELi16EiPK19rocblas_complex_numIfES3_PS1_EviT6_lT7_lT5_lS6_lS7_lS5_lT8_i,"axG",@progbits,_ZL26rocblas_hemvn_kernel_lowerILb0ELi64ELi4ELi33ELi32ELi16EiPK19rocblas_complex_numIfES3_PS1_EviT6_lT7_lT5_lS6_lS7_lS5_lT8_i,comdat
.Lfunc_end119:
	.size	_ZL26rocblas_hemvn_kernel_lowerILb0ELi64ELi4ELi33ELi32ELi16EiPK19rocblas_complex_numIfES3_PS1_EviT6_lT7_lT5_lS6_lS7_lS5_lT8_i, .Lfunc_end119-_ZL26rocblas_hemvn_kernel_lowerILb0ELi64ELi4ELi33ELi32ELi16EiPK19rocblas_complex_numIfES3_PS1_EviT6_lT7_lT5_lS6_lS7_lS5_lT8_i
                                        ; -- End function
	.set _ZL26rocblas_hemvn_kernel_lowerILb0ELi64ELi4ELi33ELi32ELi16EiPK19rocblas_complex_numIfES3_PS1_EviT6_lT7_lT5_lS6_lS7_lS5_lT8_i.num_vgpr, 140
	.set _ZL26rocblas_hemvn_kernel_lowerILb0ELi64ELi4ELi33ELi32ELi16EiPK19rocblas_complex_numIfES3_PS1_EviT6_lT7_lT5_lS6_lS7_lS5_lT8_i.num_agpr, 0
	.set _ZL26rocblas_hemvn_kernel_lowerILb0ELi64ELi4ELi33ELi32ELi16EiPK19rocblas_complex_numIfES3_PS1_EviT6_lT7_lT5_lS6_lS7_lS5_lT8_i.numbered_sgpr, 104
	.set _ZL26rocblas_hemvn_kernel_lowerILb0ELi64ELi4ELi33ELi32ELi16EiPK19rocblas_complex_numIfES3_PS1_EviT6_lT7_lT5_lS6_lS7_lS5_lT8_i.num_named_barrier, 0
	.set _ZL26rocblas_hemvn_kernel_lowerILb0ELi64ELi4ELi33ELi32ELi16EiPK19rocblas_complex_numIfES3_PS1_EviT6_lT7_lT5_lS6_lS7_lS5_lT8_i.private_seg_size, 0
	.set _ZL26rocblas_hemvn_kernel_lowerILb0ELi64ELi4ELi33ELi32ELi16EiPK19rocblas_complex_numIfES3_PS1_EviT6_lT7_lT5_lS6_lS7_lS5_lT8_i.uses_vcc, 1
	.set _ZL26rocblas_hemvn_kernel_lowerILb0ELi64ELi4ELi33ELi32ELi16EiPK19rocblas_complex_numIfES3_PS1_EviT6_lT7_lT5_lS6_lS7_lS5_lT8_i.uses_flat_scratch, 0
	.set _ZL26rocblas_hemvn_kernel_lowerILb0ELi64ELi4ELi33ELi32ELi16EiPK19rocblas_complex_numIfES3_PS1_EviT6_lT7_lT5_lS6_lS7_lS5_lT8_i.has_dyn_sized_stack, 0
	.set _ZL26rocblas_hemvn_kernel_lowerILb0ELi64ELi4ELi33ELi32ELi16EiPK19rocblas_complex_numIfES3_PS1_EviT6_lT7_lT5_lS6_lS7_lS5_lT8_i.has_recursion, 0
	.set _ZL26rocblas_hemvn_kernel_lowerILb0ELi64ELi4ELi33ELi32ELi16EiPK19rocblas_complex_numIfES3_PS1_EviT6_lT7_lT5_lS6_lS7_lS5_lT8_i.has_indirect_call, 0
	.section	.AMDGPU.csdata,"",@progbits
; Kernel info:
; codeLenInByte = 9120
; TotalNumSgprs: 106
; NumVgprs: 140
; ScratchSize: 0
; MemoryBound: 1
; FloatMode: 240
; IeeeMode: 1
; LDSByteSize: 9600 bytes/workgroup (compile time only)
; SGPRBlocks: 0
; VGPRBlocks: 17
; NumSGPRsForWavesPerEU: 106
; NumVGPRsForWavesPerEU: 140
; Occupancy: 10
; WaveLimiterHint : 0
; COMPUTE_PGM_RSRC2:SCRATCH_EN: 0
; COMPUTE_PGM_RSRC2:USER_SGPR: 2
; COMPUTE_PGM_RSRC2:TRAP_HANDLER: 0
; COMPUTE_PGM_RSRC2:TGID_X_EN: 1
; COMPUTE_PGM_RSRC2:TGID_Y_EN: 0
; COMPUTE_PGM_RSRC2:TGID_Z_EN: 1
; COMPUTE_PGM_RSRC2:TIDIG_COMP_CNT: 1
	.section	.text._ZL26rocblas_hemvn_kernel_lowerILb0ELi64ELi4ELi33ELi32ELi16El19rocblas_complex_numIfEPKS1_PS1_EviT6_lT7_lT5_lS6_lS7_lS5_lT8_i,"axG",@progbits,_ZL26rocblas_hemvn_kernel_lowerILb0ELi64ELi4ELi33ELi32ELi16El19rocblas_complex_numIfEPKS1_PS1_EviT6_lT7_lT5_lS6_lS7_lS5_lT8_i,comdat
	.globl	_ZL26rocblas_hemvn_kernel_lowerILb0ELi64ELi4ELi33ELi32ELi16El19rocblas_complex_numIfEPKS1_PS1_EviT6_lT7_lT5_lS6_lS7_lS5_lT8_i ; -- Begin function _ZL26rocblas_hemvn_kernel_lowerILb0ELi64ELi4ELi33ELi32ELi16El19rocblas_complex_numIfEPKS1_PS1_EviT6_lT7_lT5_lS6_lS7_lS5_lT8_i
	.p2align	8
	.type	_ZL26rocblas_hemvn_kernel_lowerILb0ELi64ELi4ELi33ELi32ELi16El19rocblas_complex_numIfEPKS1_PS1_EviT6_lT7_lT5_lS6_lS7_lS5_lT8_i,@function
_ZL26rocblas_hemvn_kernel_lowerILb0ELi64ELi4ELi33ELi32ELi16El19rocblas_complex_numIfEPKS1_PS1_EviT6_lT7_lT5_lS6_lS7_lS5_lT8_i: ; @_ZL26rocblas_hemvn_kernel_lowerILb0ELi64ELi4ELi33ELi32ELi16El19rocblas_complex_numIfEPKS1_PS1_EviT6_lT7_lT5_lS6_lS7_lS5_lT8_i
; %bb.0:
	s_clause 0x1
	s_load_b64 s[2:3], s[0:1], 0x84
	s_load_b32 s33, s[0:1], 0x70
	s_lshr_b32 s34, ttmp7, 16
	s_wait_kmcnt 0x0
	s_lshr_b32 s4, s2, 16
	s_and_b32 s2, s2, 0xffff
	s_and_b32 s3, s3, 0xffff
	s_mul_i32 s2, s4, s2
	s_delay_alu instid0(SALU_CYCLE_1) | instskip(NEXT) | instid1(SALU_CYCLE_1)
	s_mul_i32 s2, s2, s3
	s_cmp_lg_u32 s2, 0x100
	s_cselect_b32 s2, -1, 0
	s_cmp_ge_u32 s34, s33
	s_cselect_b32 s3, -1, 0
	s_delay_alu instid0(SALU_CYCLE_1) | instskip(NEXT) | instid1(SALU_CYCLE_1)
	s_or_b32 s2, s2, s3
	s_and_b32 vcc_lo, exec_lo, s2
	s_cbranch_vccnz .LBB120_104
; %bb.1:
	s_clause 0x4
	s_load_b32 s2, s[0:1], 0x0
	s_load_b64 s[4:5], s[0:1], 0x4
	s_load_b512 s[16:31], s[0:1], 0x18
	s_load_b64 s[6:7], s[0:1], 0x58
	s_load_b64 s[8:9], s[0:1], 0x68
	v_dual_mov_b32 v33, 0 :: v_dual_and_b32 v78, 0x3ff, v0
	v_bfe_u32 v11, v0, 10, 10
	s_add_nc_u64 s[0:1], s[0:1], 0x78
	v_and_b32_e32 v32, 31, v0
	s_load_b32 s36, s[0:1], 0x0
	s_mov_b32 s37, 0
	v_lshl_add_u32 v12, v11, 6, v78
	v_cmp_eq_u32_e64 s0, 0, v11
	v_lshlrev_b32_e32 v13, 3, v32
	v_mul_u32_u24_e32 v19, 33, v32
	v_lshl_add_u32 v91, v11, 5, 0x2180
	v_lshrrev_b32_e32 v10, 5, v12
	v_and_b32_e32 v17, 0x7fe0, v12
	v_lshl_or_b32 v16, v32, 8, v13
	v_lshlrev_b32_e32 v86, 3, v19
	s_wait_kmcnt 0x0
	s_ashr_i32 s3, s2, 31
	s_or_b32 s10, s4, s5
	s_lshl_b64 s[4:5], s[26:27], 3
	s_and_b32 s12, s10, 0x7fffffff
	s_lshl_b64 s[10:11], s[18:19], 3
	s_cmp_lg_u32 s12, 0
	v_mad_co_u64_u32 v[1:2], null, s20, v10, v[32:33]
	s_cselect_b32 s35, -1, 0
	s_cmp_neq_f32 s6, 1.0
	s_add_nc_u64 s[4:5], s[24:25], s[4:5]
	s_mul_u64 s[24:25], s[36:37], s[2:3]
	s_mul_i32 s6, s2, ttmp9
	s_cselect_b32 s50, -1, 0
	s_cmp_neq_f32 s7, 0
	s_add_nc_u64 s[10:11], s[16:17], s[10:11]
	v_add_nc_u32_e32 v85, v16, v17
	v_add_nc_u32_e32 v87, 0x2380, v17
	s_cselect_b32 s51, -1, 0
	s_lshl_b32 s18, ttmp9, 6
	s_lshr_b32 s1, s3, 26
	v_add_nc_u32_e32 v3, s18, v78
	s_add_co_i32 s1, s2, s1
	s_add_co_i32 s3, s36, -1
	s_and_not1_b32 s1, s1, 63
	v_lshlrev_b32_e32 v17, 2, v11
	v_ashrrev_i32_e32 v4, 31, v3
	v_mad_co_u64_u32 v[5:6], null, s21, v10, v[2:3]
	v_mul_lo_u32 v8, s29, v3
	v_mad_co_u64_u32 v[6:7], null, s28, v3, 0
	s_delay_alu instid0(VALU_DEP_4) | instskip(SKIP_2) | instid1(VALU_DEP_4)
	v_mul_lo_u32 v9, s28, v4
	s_sub_co_i32 s1, s2, s1
	s_cmp_eq_u32 ttmp9, s3
	v_dual_mov_b32 v2, v5 :: v_dual_lshlrev_b32 v79, 3, v78
	s_cselect_b32 s26, s1, 0
	v_lshlrev_b32_e32 v21, 3, v10
	s_cmp_eq_u32 s26, 0
	s_delay_alu instid0(VALU_DEP_3)
	v_add3_u32 v7, v7, v9, v8
	v_cmp_le_i32_e32 vcc_lo, s26, v78
	v_lshlrev_b32_e32 v9, 2, v10
	s_cselect_b32 s86, -1, 0
	s_cmp_lg_u32 s26, 0
	v_lshlrev_b64_e32 v[6:7], 3, v[6:7]
	s_cselect_b32 s1, -1, 0
	s_ashr_i32 s7, s6, 31
	s_and_b32 s1, s1, vcc_lo
	s_lshl_b64 s[2:3], s[6:7], 3
	v_or_b32_e32 v18, 1, v9
	v_add_co_u32 v81, vcc_lo, s4, v6
	v_cmp_lt_u32_e64 s7, v9, v32
	v_or_b32_e32 v20, 2, v9
	v_or_b32_e32 v9, 3, v9
	s_ashr_i32 s19, s18, 31
	v_add_co_ci_u32_e64 v82, null, s5, v7, vcc_lo
	v_lshlrev_b64_e32 v[6:7], 3, v[1:2]
	s_wait_alu 0xfffe
	s_lshl_b64 s[4:5], s[18:19], 3
	s_add_nc_u64 s[38:39], s[8:9], s[2:3]
	s_wait_alu 0xfffe
	s_add_nc_u64 s[2:3], s[10:11], s[4:5]
	v_add_nc_u32_e32 v8, 16, v10
	v_cmp_lt_u32_e64 s10, v9, v32
	v_or_b32_e32 v9, 32, v32
	v_add_co_u32 v2, vcc_lo, s2, v6
	s_sub_co_i32 s16, s26, 32
	s_mul_u64 s[48:49], s[20:21], s[18:19]
	v_cmp_le_i32_e64 s5, s26, v8
	v_cmp_gt_i32_e64 s12, s26, v9
	v_cmp_le_i32_e64 s15, s16, v8
	v_mad_co_u64_u32 v[8:9], null, s20, v17, 0
	s_wait_alu 0xfffd
	v_add_co_ci_u32_e64 v6, null, s3, v7, vcc_lo
	s_lshl_b64 s[2:3], s[48:49], 3
	v_add_nc_u32_e32 v15, 24, v10
	s_wait_alu 0xfffe
	v_add_co_u32 v83, vcc_lo, v2, s2
	v_add_nc_u32_e32 v2, 8, v10
	v_add_nc_u32_e32 v88, v86, v21
	s_wait_alu 0xfffd
	v_add_co_ci_u32_e64 v84, null, s3, v6, vcc_lo
	v_sub_co_u32 v6, s3, 0, v32
	v_cmp_le_i32_e64 s4, s26, v2
	v_cmp_le_i32_e64 s14, s16, v2
	v_mov_b32_e32 v2, v9
	v_mul_u32_u24_e32 v14, 0x108, v10
	s_wait_alu 0xf1ff
	v_sub_co_ci_u32_e64 v7, null, 0, 0, s3
	v_cmp_le_i32_e64 s3, s26, v10
	v_cmp_le_i32_e64 s6, s26, v15
	v_mul_u32_u24_e32 v16, 0x420, v10
	v_cmp_le_i32_e64 s13, s16, v10
	v_cmp_le_i32_e64 s16, s16, v15
	v_cmp_eq_u32_e64 s17, 1, v10
	v_mul_i32_i24_e32 v15, 0xffffffe8, v10
	v_mad_u32_u24 v89, v10, 24, v88
	v_mad_co_u64_u32 v[9:10], null, s21, v17, v[2:3]
	v_lshrrev_b32_e32 v10, 4, v12
	v_sub_co_u32 v1, vcc_lo, 0, v1
	v_and_b32_e32 v17, 15, v0
	s_wait_alu 0xfffd
	v_sub_co_ci_u32_e64 v2, null, 0, v5, vcc_lo
	v_and_b32_e32 v0, 48, v0
	v_lshlrev_b32_e32 v5, 5, v10
	v_cmp_lt_u32_e64 s8, v18, v32
	v_mul_u32_u24_e32 v18, 0x108, v18
	v_or_b32_e32 v19, 0x78, v79
	v_lshlrev_b32_e32 v0, 3, v0
	v_mad_u32_u24 v93, 0x218, v17, v5
	v_mul_i32_i24_e32 v5, 0xffffffe8, v10
	s_lshl_b64 s[40:41], s[20:21], 6
	s_lshl_b64 s[42:43], s[20:21], 7
	s_ashr_i32 s27, s26, 31
	s_lshl_b64 s[46:47], s[20:21], 5
	s_xor_b32 s36, s1, -1
	s_mul_u64 s[18:19], s[28:29], s[18:19]
	s_cmp_gt_i32 ttmp9, 0
	v_lshlrev_b64_e32 v[34:35], 3, v[6:7]
	v_lshlrev_b64_e32 v[36:37], 3, v[1:2]
	;; [unrolled: 1-line block ×4, first 2 shown]
	v_add_nc_u32_e32 v80, 0x2380, v79
	v_cmp_gt_i32_e64 s2, s26, v32
	v_cmp_lt_u32_e64 s9, v20, v32
	v_cmp_gt_u32_e64 s11, 32, v12
	s_wait_alu 0xfffe
	s_sub_nc_u64 s[80:81], 0, s[18:19]
	v_add_nc_u32_e32 v90, 0x2180, v79
	v_mad_u32_u24 v92, 0x860, v11, v79
	v_cmp_gt_u32_e64 s18, 64, v12
	v_mad_u32_u24 v94, 0x218, v17, v0
	v_mad_u32_u24 v95, 0x218, v17, v19
	;; [unrolled: 1-line block ×3, first 2 shown]
	v_add_nc_u32_e32 v97, 0x2380, v21
	v_cndmask_b32_e64 v98, 0, 1, s35
	v_add_nc_u32_e32 v99, v13, v14
	v_add_nc_u32_e32 v100, v13, v16
	;; [unrolled: 1-line block ×5, first 2 shown]
	v_lshlrev_b32_e32 v104, 3, v32
	s_sub_nc_u64 s[78:79], 0, s[46:47]
	s_cselect_b32 s19, -1, 0
	s_sub_nc_u64 s[82:83], 0, s[48:49]
	s_and_b32 s87, s0, s36
	s_or_b32 s36, s50, s51
	s_mul_u64 s[44:45], s[20:21], 0xc0
	s_sub_nc_u64 s[48:49], 0, s[26:27]
	s_lshl_b64 s[50:51], s[20:21], 3
	s_lshl_b64 s[52:53], s[20:21], 9
	;; [unrolled: 1-line block ×3, first 2 shown]
	s_mul_u64 s[56:57], s[20:21], 24
	s_mul_u64 s[58:59], s[20:21], 0x90
	;; [unrolled: 1-line block ×10, first 2 shown]
	s_lshl_b64 s[76:77], s[20:21], 8
	s_mul_u64 s[20:21], s[20:21], 0x88
	s_or_b32 s88, s36, s35
	s_lshl_b64 s[78:79], s[78:79], 3
	s_lshl_b64 s[80:81], s[80:81], 3
	;; [unrolled: 1-line block ×3, first 2 shown]
	s_branch .LBB120_4
.LBB120_2:                              ;   in Loop: Header=BB120_4 Depth=1
	s_wait_alu 0xfffe
	s_or_b32 exec_lo, exec_lo, s35
.LBB120_3:                              ;   in Loop: Header=BB120_4 Depth=1
	s_add_co_i32 s34, s34, 0x10000
	s_wait_alu 0xfffe
	s_cmp_lt_u32 s34, s33
	s_cbranch_scc0 .LBB120_104
.LBB120_4:                              ; =>This Loop Header: Depth=1
                                        ;     Child Loop BB120_74 Depth 2
	s_and_not1_b32 vcc_lo, exec_lo, s88
	s_wait_alu 0xfffe
	s_cbranch_vccnz .LBB120_3
; %bb.5:                                ;   in Loop: Header=BB120_4 Depth=1
	v_cmp_ne_u32_e32 vcc_lo, 1, v98
	s_cbranch_vccnz .LBB120_3
; %bb.6:                                ;   in Loop: Header=BB120_4 Depth=1
	s_mov_b32 s35, s37
	s_wait_alu 0xfffe
	s_mul_u64 s[84:85], s[30:31], s[34:35]
	s_wait_alu 0xfffe
	s_lshl_b64 s[84:85], s[84:85], 3
	s_wait_alu 0xfffe
	v_add_co_u32 v16, vcc_lo, v81, s84
	s_wait_alu 0xfffd
	v_add_co_ci_u32_e64 v17, null, s85, v82, vcc_lo
	s_and_saveexec_b32 s36, s0
	s_cbranch_execz .LBB120_11
; %bb.7:                                ;   in Loop: Header=BB120_4 Depth=1
	s_and_saveexec_b32 s84, s1
	s_wait_alu 0xfffe
	s_xor_b32 s84, exec_lo, s84
; %bb.8:                                ;   in Loop: Header=BB120_4 Depth=1
	v_mov_b32_e32 v32, v33
	ds_store_b64 v80, v[32:33]
; %bb.9:                                ;   in Loop: Header=BB120_4 Depth=1
	s_wait_alu 0xfffe
	s_and_not1_saveexec_b32 s84, s84
	s_cbranch_execz .LBB120_11
; %bb.10:                               ;   in Loop: Header=BB120_4 Depth=1
	global_load_b64 v[0:1], v[16:17], off
	s_wait_loadcnt 0x0
	ds_store_b64 v80, v[0:1]
.LBB120_11:                             ;   in Loop: Header=BB120_4 Depth=1
	s_wait_alu 0xfffe
	s_or_b32 exec_lo, exec_lo, s36
	s_mul_u64 s[84:85], s[22:23], s[34:35]
	s_mov_b32 s36, -1
	s_wait_alu 0xfffe
	s_lshl_b64 s[84:85], s[84:85], 3
	s_wait_alu 0xfffe
	v_add_co_u32 v0, vcc_lo, v83, s84
	s_wait_alu 0xfffd
	v_add_co_ci_u32_e64 v1, null, s85, v84, vcc_lo
	s_and_not1_b32 vcc_lo, exec_lo, s86
	s_wait_alu 0xfffe
	s_cbranch_vccnz .LBB120_13
; %bb.12:                               ;   in Loop: Header=BB120_4 Depth=1
	v_add_co_u32 v2, vcc_lo, v0, s40
	s_wait_alu 0xfffd
	v_add_co_ci_u32_e64 v3, null, s41, v1, vcc_lo
	s_mov_b32 s36, 0
	v_add_co_u32 v4, vcc_lo, v2, s40
	s_wait_alu 0xfffd
	v_add_co_ci_u32_e64 v5, null, s41, v3, vcc_lo
	s_delay_alu instid0(VALU_DEP_2) | instskip(SKIP_1) | instid1(VALU_DEP_2)
	v_add_co_u32 v6, vcc_lo, v4, s40
	s_wait_alu 0xfffd
	v_add_co_ci_u32_e64 v7, null, s41, v5, vcc_lo
	s_clause 0x3
	global_load_b64 v[8:9], v[0:1], off
	global_load_b64 v[2:3], v[2:3], off
	;; [unrolled: 1-line block ×4, first 2 shown]
	s_wait_loadcnt 0x3
	ds_store_b64 v99, v[8:9]
	s_wait_loadcnt 0x2
	ds_store_b64 v99, v[2:3] offset:2112
	s_wait_loadcnt 0x1
	ds_store_b64 v99, v[4:5] offset:4224
	;; [unrolled: 2-line block ×3, first 2 shown]
.LBB120_13:                             ;   in Loop: Header=BB120_4 Depth=1
	s_wait_alu 0xfffe
	s_and_not1_b32 vcc_lo, exec_lo, s36
	s_wait_alu 0xfffe
	s_cbranch_vccnz .LBB120_25
; %bb.14:                               ;   in Loop: Header=BB120_4 Depth=1
	s_and_saveexec_b32 s36, s3
	s_wait_alu 0xfffe
	s_xor_b32 s36, exec_lo, s36
; %bb.15:                               ;   in Loop: Header=BB120_4 Depth=1
	v_mov_b32_e32 v32, v33
	ds_store_b64 v99, v[32:33]
; %bb.16:                               ;   in Loop: Header=BB120_4 Depth=1
	s_wait_alu 0xfffe
	s_or_saveexec_b32 s36, s36
	v_add_co_u32 v2, vcc_lo, v0, v34
	s_wait_alu 0xfffd
	v_add_co_ci_u32_e64 v3, null, v1, v35, vcc_lo
	s_lshl_b64 s[84:85], s[26:27], 3
	s_wait_alu 0xfffe
	v_add_co_u32 v2, vcc_lo, v2, s84
	s_wait_alu 0xfffd
	v_add_co_ci_u32_e64 v3, null, s85, v3, vcc_lo
	s_delay_alu instid0(VALU_DEP_2) | instskip(SKIP_1) | instid1(VALU_DEP_2)
	v_add_co_u32 v2, vcc_lo, v2, -8
	s_wait_alu 0xfffd
	v_add_co_ci_u32_e64 v3, null, -1, v3, vcc_lo
	s_delay_alu instid0(VALU_DEP_2) | instskip(NEXT) | instid1(VALU_DEP_2)
	v_cndmask_b32_e64 v2, v2, v0, s2
	v_cndmask_b32_e64 v3, v3, v1, s2
	s_xor_b32 exec_lo, exec_lo, s36
	s_cbranch_execnz .LBB120_86
; %bb.17:                               ;   in Loop: Header=BB120_4 Depth=1
	s_or_b32 exec_lo, exec_lo, s36
	s_and_saveexec_b32 s36, s4
	s_wait_alu 0xfffe
	s_xor_b32 s36, exec_lo, s36
	s_cbranch_execnz .LBB120_87
.LBB120_18:                             ;   in Loop: Header=BB120_4 Depth=1
	s_wait_alu 0xfffe
	s_and_not1_saveexec_b32 s36, s36
	s_cbranch_execnz .LBB120_88
.LBB120_19:                             ;   in Loop: Header=BB120_4 Depth=1
	s_wait_alu 0xfffe
	s_or_b32 exec_lo, exec_lo, s36
	s_and_saveexec_b32 s36, s5
	s_wait_alu 0xfffe
	s_xor_b32 s36, exec_lo, s36
	s_cbranch_execnz .LBB120_89
.LBB120_20:                             ;   in Loop: Header=BB120_4 Depth=1
	s_wait_alu 0xfffe
	s_and_not1_saveexec_b32 s36, s36
	s_cbranch_execnz .LBB120_90
.LBB120_21:                             ;   in Loop: Header=BB120_4 Depth=1
	s_wait_alu 0xfffe
	s_or_b32 exec_lo, exec_lo, s36
	s_and_saveexec_b32 s36, s6
	s_wait_alu 0xfffe
	s_xor_b32 s36, exec_lo, s36
	s_cbranch_execnz .LBB120_91
.LBB120_22:                             ;   in Loop: Header=BB120_4 Depth=1
	s_wait_alu 0xfffe
	s_and_not1_saveexec_b32 s36, s36
	s_cbranch_execz .LBB120_24
.LBB120_23:                             ;   in Loop: Header=BB120_4 Depth=1
	v_add_co_u32 v4, vcc_lo, v2, s44
	s_wait_alu 0xfffd
	v_add_co_ci_u32_e64 v5, null, s45, v3, vcc_lo
	global_load_b64 v[4:5], v[4:5], off
	s_wait_loadcnt 0x0
	ds_store_b64 v99, v[4:5] offset:6336
.LBB120_24:                             ;   in Loop: Header=BB120_4 Depth=1
	s_wait_alu 0xfffe
	s_or_b32 exec_lo, exec_lo, s36
	v_add_co_u32 v2, vcc_lo, v2, v104
	s_wait_alu 0xfffd
	v_add_co_ci_u32_e64 v3, null, 0, v3, vcc_lo
	s_lshl_b64 s[84:85], s[48:49], 3
	s_wait_alu 0xfffe
	v_add_co_u32 v2, vcc_lo, v2, s84
	s_wait_alu 0xfffd
	v_add_co_ci_u32_e64 v3, null, s85, v3, vcc_lo
	s_delay_alu instid0(VALU_DEP_2) | instskip(SKIP_1) | instid1(VALU_DEP_2)
	v_add_co_u32 v2, vcc_lo, v2, 8
	s_wait_alu 0xfffd
	v_add_co_ci_u32_e64 v3, null, 0, v3, vcc_lo
	s_delay_alu instid0(VALU_DEP_2) | instskip(NEXT) | instid1(VALU_DEP_2)
	v_cndmask_b32_e64 v0, v2, v0, s2
	v_cndmask_b32_e64 v1, v3, v1, s2
.LBB120_25:                             ;   in Loop: Header=BB120_4 Depth=1
	s_wait_dscnt 0x0
	s_barrier_signal -1
	s_barrier_wait -1
	global_inv scope:SCOPE_SE
	s_and_saveexec_b32 s36, s7
	s_cbranch_execnz .LBB120_80
; %bb.26:                               ;   in Loop: Header=BB120_4 Depth=1
	s_wait_alu 0xfffe
	s_or_b32 exec_lo, exec_lo, s36
	s_and_saveexec_b32 s36, s8
	s_cbranch_execnz .LBB120_81
.LBB120_27:                             ;   in Loop: Header=BB120_4 Depth=1
	s_wait_alu 0xfffe
	s_or_b32 exec_lo, exec_lo, s36
	s_and_saveexec_b32 s36, s9
	s_cbranch_execnz .LBB120_82
.LBB120_28:                             ;   in Loop: Header=BB120_4 Depth=1
	s_wait_alu 0xfffe
	s_or_b32 exec_lo, exec_lo, s36
	s_and_saveexec_b32 s36, s10
	s_cbranch_execz .LBB120_30
.LBB120_29:                             ;   in Loop: Header=BB120_4 Depth=1
	ds_load_b64 v[2:3], v101 offset:528
	s_wait_dscnt 0x0
	ds_store_b64 v85, v[2:3] offset:24
.LBB120_30:                             ;   in Loop: Header=BB120_4 Depth=1
	s_wait_alu 0xfffe
	s_or_b32 exec_lo, exec_lo, s36
	s_wait_loadcnt_dscnt 0x0
	s_barrier_signal -1
	s_barrier_wait -1
	global_inv scope:SCOPE_SE
	ds_load_b64 v[14:15], v100
	ds_load_b128 v[2:5], v87
	ds_load_2addr_b64 v[6:9], v101 offset1:33
	ds_load_b128 v[10:13], v87 offset:16
	ds_load_b64 v[18:19], v101 offset:528
	s_wait_loadcnt_dscnt 0x0
	s_barrier_signal -1
	s_barrier_wait -1
	global_inv scope:SCOPE_SE
	v_dual_mov_b32 v43, 0 :: v_dual_mul_f32 v20, v3, v15
	v_dual_mul_f32 v15, v2, v15 :: v_dual_mul_f32 v22, v11, v9
	v_mul_f32_e32 v9, v10, v9
	s_delay_alu instid0(VALU_DEP_3) | instskip(SKIP_1) | instid1(VALU_DEP_4)
	v_fma_f32 v2, v2, v14, -v20
	v_mul_f32_e32 v21, v5, v7
	v_fmac_f32_e32 v15, v3, v14
	s_delay_alu instid0(VALU_DEP_4) | instskip(SKIP_3) | instid1(VALU_DEP_1)
	v_fmac_f32_e32 v9, v11, v8
	v_fma_f32 v10, v10, v8, -v22
	v_dual_add_f32 v2, 0, v2 :: v_dual_mul_f32 v7, v4, v7
	v_fma_f32 v4, v4, v6, -v21
	v_dual_add_f32 v2, v2, v4 :: v_dual_fmac_f32 v7, v5, v6
	v_mul_f32_e32 v6, v12, v19
	v_add_f32_e32 v5, 0, v15
	s_delay_alu instid0(VALU_DEP_3) | instskip(NEXT) | instid1(VALU_DEP_3)
	v_dual_mul_f32 v3, v13, v19 :: v_dual_add_f32 v2, v2, v10
	v_fmac_f32_e32 v6, v13, v18
	s_delay_alu instid0(VALU_DEP_3) | instskip(NEXT) | instid1(VALU_DEP_3)
	v_add_f32_e32 v4, v5, v7
	v_fma_f32 v3, v12, v18, -v3
	s_delay_alu instid0(VALU_DEP_2) | instskip(SKIP_1) | instid1(VALU_DEP_2)
	v_add_f32_e32 v4, v4, v9
	v_mov_b32_e32 v42, 0
	v_dual_add_f32 v2, v2, v3 :: v_dual_add_f32 v3, v4, v6
	ds_store_b64 v88, v[2:3]
	s_wait_loadcnt_dscnt 0x0
	s_barrier_signal -1
	s_barrier_wait -1
	global_inv scope:SCOPE_SE
	s_and_saveexec_b32 s36, s11
	s_cbranch_execz .LBB120_32
; %bb.31:                               ;   in Loop: Header=BB120_4 Depth=1
	ds_load_2addr_b64 v[2:5], v86 offset1:7
	ds_load_2addr_b64 v[6:9], v86 offset0:1 offset1:2
	ds_load_2addr_b64 v[10:13], v86 offset0:3 offset1:4
	;; [unrolled: 1-line block ×3, first 2 shown]
	s_wait_dscnt 0x2
	v_dual_add_f32 v2, v6, v2 :: v_dual_add_f32 v3, v7, v3
	s_delay_alu instid0(VALU_DEP_1) | instskip(SKIP_1) | instid1(VALU_DEP_1)
	v_dual_add_f32 v2, v8, v2 :: v_dual_add_f32 v3, v9, v3
	s_wait_dscnt 0x1
	v_dual_add_f32 v2, v2, v10 :: v_dual_add_f32 v3, v3, v11
	s_delay_alu instid0(VALU_DEP_1) | instskip(SKIP_1) | instid1(VALU_DEP_1)
	v_dual_add_f32 v2, v2, v12 :: v_dual_add_f32 v3, v3, v13
	s_wait_dscnt 0x0
	v_dual_add_f32 v2, v2, v18 :: v_dual_add_f32 v3, v3, v19
	s_delay_alu instid0(VALU_DEP_1) | instskip(NEXT) | instid1(VALU_DEP_1)
	v_dual_add_f32 v2, v2, v20 :: v_dual_add_f32 v3, v3, v21
	v_dual_add_f32 v42, v2, v4 :: v_dual_add_f32 v43, v3, v5
.LBB120_32:                             ;   in Loop: Header=BB120_4 Depth=1
	s_wait_alu 0xfffe
	s_or_b32 exec_lo, exec_lo, s36
	s_lshl_b64 s[84:85], s[46:47], 3
	s_mov_b32 s36, -1
	s_wait_alu 0xfffe
	v_add_co_u32 v0, vcc_lo, v0, s84
	s_wait_alu 0xfffd
	v_add_co_ci_u32_e64 v1, null, s85, v1, vcc_lo
	s_and_not1_b32 vcc_lo, exec_lo, s86
	s_wait_loadcnt 0x0
	s_barrier_signal -1
	s_barrier_wait -1
	global_inv scope:SCOPE_SE
	s_wait_alu 0xfffe
	s_cbranch_vccnz .LBB120_34
; %bb.33:                               ;   in Loop: Header=BB120_4 Depth=1
	v_add_co_u32 v2, vcc_lo, v0, s40
	s_wait_alu 0xfffd
	v_add_co_ci_u32_e64 v3, null, s41, v1, vcc_lo
	s_mov_b32 s36, 0
	v_add_co_u32 v4, vcc_lo, v2, s40
	s_wait_alu 0xfffd
	v_add_co_ci_u32_e64 v5, null, s41, v3, vcc_lo
	s_delay_alu instid0(VALU_DEP_2) | instskip(SKIP_1) | instid1(VALU_DEP_2)
	v_add_co_u32 v6, vcc_lo, v4, s40
	s_wait_alu 0xfffd
	v_add_co_ci_u32_e64 v7, null, s41, v5, vcc_lo
	s_clause 0x3
	global_load_b64 v[8:9], v[0:1], off offset:256
	global_load_b64 v[2:3], v[2:3], off offset:256
	;; [unrolled: 1-line block ×4, first 2 shown]
	s_wait_loadcnt 0x3
	ds_store_b64 v99, v[8:9]
	s_wait_loadcnt 0x2
	ds_store_b64 v99, v[2:3] offset:2112
	s_wait_loadcnt 0x1
	ds_store_b64 v99, v[4:5] offset:4224
	;; [unrolled: 2-line block ×3, first 2 shown]
.LBB120_34:                             ;   in Loop: Header=BB120_4 Depth=1
	v_add_co_u32 v2, vcc_lo, 0x100, v0
	s_wait_alu 0xfffd
	v_add_co_ci_u32_e64 v3, null, 0, v1, vcc_lo
	s_wait_alu 0xfffe
	s_and_not1_b32 vcc_lo, exec_lo, s36
	s_wait_alu 0xfffe
	s_cbranch_vccnz .LBB120_46
; %bb.35:                               ;   in Loop: Header=BB120_4 Depth=1
	s_and_saveexec_b32 s36, s13
	s_wait_alu 0xfffe
	s_xor_b32 s36, exec_lo, s36
; %bb.36:                               ;   in Loop: Header=BB120_4 Depth=1
	v_mov_b32_e32 v32, v33
	ds_store_b64 v99, v[32:33]
; %bb.37:                               ;   in Loop: Header=BB120_4 Depth=1
	s_wait_alu 0xfffe
	s_or_saveexec_b32 s36, s36
	v_add_co_u32 v0, vcc_lo, v0, v34
	s_wait_alu 0xfffd
	v_add_co_ci_u32_e64 v1, null, v1, v35, vcc_lo
	s_lshl_b64 s[84:85], s[26:27], 3
	s_wait_alu 0xfffe
	v_add_co_u32 v0, vcc_lo, v0, s84
	s_wait_alu 0xfffd
	v_add_co_ci_u32_e64 v1, null, s85, v1, vcc_lo
	s_delay_alu instid0(VALU_DEP_2) | instskip(SKIP_1) | instid1(VALU_DEP_2)
	v_add_co_u32 v0, vcc_lo, v0, -8
	s_wait_alu 0xfffd
	v_add_co_ci_u32_e64 v1, null, -1, v1, vcc_lo
	s_delay_alu instid0(VALU_DEP_2) | instskip(NEXT) | instid1(VALU_DEP_2)
	v_cndmask_b32_e64 v0, v0, v2, s12
	v_cndmask_b32_e64 v1, v1, v3, s12
	s_xor_b32 exec_lo, exec_lo, s36
	s_cbranch_execnz .LBB120_92
; %bb.38:                               ;   in Loop: Header=BB120_4 Depth=1
	s_or_b32 exec_lo, exec_lo, s36
	s_and_saveexec_b32 s36, s14
	s_wait_alu 0xfffe
	s_xor_b32 s36, exec_lo, s36
	s_cbranch_execnz .LBB120_93
.LBB120_39:                             ;   in Loop: Header=BB120_4 Depth=1
	s_wait_alu 0xfffe
	s_and_not1_saveexec_b32 s36, s36
	s_cbranch_execnz .LBB120_94
.LBB120_40:                             ;   in Loop: Header=BB120_4 Depth=1
	s_wait_alu 0xfffe
	s_or_b32 exec_lo, exec_lo, s36
	s_and_saveexec_b32 s36, s15
	s_wait_alu 0xfffe
	s_xor_b32 s36, exec_lo, s36
	s_cbranch_execnz .LBB120_95
.LBB120_41:                             ;   in Loop: Header=BB120_4 Depth=1
	s_wait_alu 0xfffe
	s_and_not1_saveexec_b32 s36, s36
	s_cbranch_execnz .LBB120_96
.LBB120_42:                             ;   in Loop: Header=BB120_4 Depth=1
	s_wait_alu 0xfffe
	s_or_b32 exec_lo, exec_lo, s36
	s_and_saveexec_b32 s36, s16
	s_wait_alu 0xfffe
	s_xor_b32 s36, exec_lo, s36
	s_cbranch_execnz .LBB120_97
.LBB120_43:                             ;   in Loop: Header=BB120_4 Depth=1
	s_wait_alu 0xfffe
	s_and_not1_saveexec_b32 s36, s36
	s_cbranch_execz .LBB120_45
.LBB120_44:                             ;   in Loop: Header=BB120_4 Depth=1
	v_add_co_u32 v4, vcc_lo, v0, s44
	s_wait_alu 0xfffd
	v_add_co_ci_u32_e64 v5, null, s45, v1, vcc_lo
	global_load_b64 v[4:5], v[4:5], off
	s_wait_loadcnt 0x0
	ds_store_b64 v99, v[4:5] offset:6336
.LBB120_45:                             ;   in Loop: Header=BB120_4 Depth=1
	s_wait_alu 0xfffe
	s_or_b32 exec_lo, exec_lo, s36
	v_add_co_u32 v0, vcc_lo, v0, v104
	s_wait_alu 0xfffd
	v_add_co_ci_u32_e64 v1, null, 0, v1, vcc_lo
	s_lshl_b64 s[84:85], s[48:49], 3
	s_wait_alu 0xfffe
	v_add_co_u32 v0, vcc_lo, v0, s84
	s_wait_alu 0xfffd
	v_add_co_ci_u32_e64 v1, null, s85, v1, vcc_lo
	s_delay_alu instid0(VALU_DEP_2) | instskip(SKIP_1) | instid1(VALU_DEP_2)
	v_add_co_u32 v0, vcc_lo, 0x108, v0
	s_wait_alu 0xfffd
	v_add_co_ci_u32_e64 v1, null, 0, v1, vcc_lo
	s_delay_alu instid0(VALU_DEP_2) | instskip(NEXT) | instid1(VALU_DEP_2)
	v_cndmask_b32_e64 v2, v0, v2, s12
	v_cndmask_b32_e64 v3, v1, v3, s12
.LBB120_46:                             ;   in Loop: Header=BB120_4 Depth=1
	s_wait_loadcnt_dscnt 0x0
	s_barrier_signal -1
	s_barrier_wait -1
	global_inv scope:SCOPE_SE
	s_and_saveexec_b32 s36, s7
	s_cbranch_execnz .LBB120_83
; %bb.47:                               ;   in Loop: Header=BB120_4 Depth=1
	s_wait_alu 0xfffe
	s_or_b32 exec_lo, exec_lo, s36
	s_and_saveexec_b32 s36, s8
	s_cbranch_execnz .LBB120_84
.LBB120_48:                             ;   in Loop: Header=BB120_4 Depth=1
	s_wait_alu 0xfffe
	s_or_b32 exec_lo, exec_lo, s36
	s_and_saveexec_b32 s36, s9
	s_cbranch_execnz .LBB120_85
.LBB120_49:                             ;   in Loop: Header=BB120_4 Depth=1
	s_wait_alu 0xfffe
	s_or_b32 exec_lo, exec_lo, s36
	s_and_saveexec_b32 s36, s10
	s_cbranch_execz .LBB120_51
.LBB120_50:                             ;   in Loop: Header=BB120_4 Depth=1
	ds_load_b64 v[0:1], v101 offset:528
	s_wait_dscnt 0x0
	ds_store_b64 v85, v[0:1] offset:24
.LBB120_51:                             ;   in Loop: Header=BB120_4 Depth=1
	s_wait_alu 0xfffe
	s_or_b32 exec_lo, exec_lo, s36
	s_wait_loadcnt_dscnt 0x0
	s_barrier_signal -1
	s_barrier_wait -1
	global_inv scope:SCOPE_SE
	ds_load_b64 v[0:1], v100
	ds_load_b128 v[4:7], v87 offset:256
	ds_load_2addr_b64 v[8:11], v101 offset1:33
	ds_load_b128 v[12:15], v87 offset:272
	ds_load_b64 v[18:19], v101 offset:528
	s_wait_loadcnt_dscnt 0x0
	s_barrier_signal -1
	s_barrier_wait -1
	global_inv scope:SCOPE_SE
	v_mul_f32_e32 v20, v5, v1
	v_dual_mul_f32 v1, v4, v1 :: v_dual_mul_f32 v22, v13, v11
	v_mul_f32_e32 v11, v12, v11
	s_delay_alu instid0(VALU_DEP_3) | instskip(SKIP_3) | instid1(VALU_DEP_4)
	v_fma_f32 v4, v4, v0, -v20
	v_mul_f32_e32 v21, v7, v9
	v_mul_f32_e32 v9, v6, v9
	v_dual_fmac_f32 v1, v5, v0 :: v_dual_mul_f32 v0, v15, v19
	v_add_f32_e32 v4, 0, v4
	s_delay_alu instid0(VALU_DEP_4) | instskip(NEXT) | instid1(VALU_DEP_4)
	v_fma_f32 v5, v6, v8, -v21
	v_dual_fmac_f32 v9, v7, v8 :: v_dual_mul_f32 v6, v14, v19
	s_delay_alu instid0(VALU_DEP_4) | instskip(SKIP_1) | instid1(VALU_DEP_4)
	v_add_f32_e32 v1, 0, v1
	v_fma_f32 v7, v12, v10, -v22
	v_dual_add_f32 v4, v4, v5 :: v_dual_fmac_f32 v11, v13, v10
	v_fma_f32 v0, v14, v18, -v0
	v_fmac_f32_e32 v6, v15, v18
	s_delay_alu instid0(VALU_DEP_3) | instskip(NEXT) | instid1(VALU_DEP_1)
	v_dual_add_f32 v4, v4, v7 :: v_dual_add_f32 v1, v1, v9
	v_dual_add_f32 v0, v4, v0 :: v_dual_add_f32 v1, v1, v11
	s_delay_alu instid0(VALU_DEP_1)
	v_add_f32_e32 v1, v1, v6
	ds_store_b64 v88, v[0:1]
	s_wait_loadcnt_dscnt 0x0
	s_barrier_signal -1
	s_barrier_wait -1
	global_inv scope:SCOPE_SE
	s_and_saveexec_b32 s36, s17
	s_cbranch_execz .LBB120_53
; %bb.52:                               ;   in Loop: Header=BB120_4 Depth=1
	ds_load_2addr_b64 v[4:7], v86 offset1:7
	ds_load_2addr_b64 v[8:11], v86 offset0:1 offset1:2
	ds_load_2addr_b64 v[12:15], v86 offset0:3 offset1:4
	;; [unrolled: 1-line block ×3, first 2 shown]
	s_wait_dscnt 0x2
	v_dual_add_f32 v0, v8, v4 :: v_dual_add_f32 v1, v9, v5
	s_delay_alu instid0(VALU_DEP_1) | instskip(SKIP_1) | instid1(VALU_DEP_1)
	v_dual_add_f32 v0, v10, v0 :: v_dual_add_f32 v1, v11, v1
	s_wait_dscnt 0x1
	v_dual_add_f32 v0, v0, v12 :: v_dual_add_f32 v1, v1, v13
	s_delay_alu instid0(VALU_DEP_1) | instskip(SKIP_1) | instid1(VALU_DEP_1)
	v_dual_add_f32 v0, v0, v14 :: v_dual_add_f32 v1, v1, v15
	s_wait_dscnt 0x0
	v_dual_add_f32 v0, v0, v18 :: v_dual_add_f32 v1, v1, v19
	s_delay_alu instid0(VALU_DEP_1) | instskip(NEXT) | instid1(VALU_DEP_1)
	v_dual_add_f32 v0, v0, v20 :: v_dual_add_f32 v1, v1, v21
	v_dual_add_f32 v42, v0, v6 :: v_dual_add_f32 v43, v1, v7
.LBB120_53:                             ;   in Loop: Header=BB120_4 Depth=1
	s_wait_alu 0xfffe
	s_or_b32 exec_lo, exec_lo, s36
	v_add_co_u32 v18, vcc_lo, v2, s78
	s_wait_alu 0xfffd
	v_add_co_ci_u32_e64 v19, null, s79, v3, vcc_lo
	s_and_not1_b32 vcc_lo, exec_lo, s86
	s_mov_b32 s36, -1
	s_wait_loadcnt 0x0
	s_barrier_signal -1
	s_barrier_wait -1
	global_inv scope:SCOPE_SE
	s_wait_alu 0xfffe
	s_cbranch_vccnz .LBB120_55
; %bb.54:                               ;   in Loop: Header=BB120_4 Depth=1
	v_add_co_u32 v0, vcc_lo, v18, s40
	s_wait_alu 0xfffd
	v_add_co_ci_u32_e64 v1, null, s41, v19, vcc_lo
	s_mov_b32 s36, 0
	v_add_co_u32 v2, vcc_lo, v0, s40
	s_wait_alu 0xfffd
	v_add_co_ci_u32_e64 v3, null, s41, v1, vcc_lo
	s_delay_alu instid0(VALU_DEP_2) | instskip(SKIP_1) | instid1(VALU_DEP_2)
	v_add_co_u32 v4, vcc_lo, v2, s40
	s_wait_alu 0xfffd
	v_add_co_ci_u32_e64 v5, null, s41, v3, vcc_lo
	s_clause 0x3
	global_load_b64 v[6:7], v[18:19], off
	global_load_b64 v[0:1], v[0:1], off
	;; [unrolled: 1-line block ×4, first 2 shown]
	s_wait_loadcnt 0x3
	ds_store_b64 v99, v[6:7]
	s_wait_loadcnt 0x2
	ds_store_b64 v99, v[0:1] offset:2112
	s_wait_loadcnt 0x1
	ds_store_b64 v99, v[2:3] offset:4224
	;; [unrolled: 2-line block ×3, first 2 shown]
.LBB120_55:                             ;   in Loop: Header=BB120_4 Depth=1
	s_wait_alu 0xfffe
	s_and_not1_b32 vcc_lo, exec_lo, s36
	s_wait_alu 0xfffe
	s_cbranch_vccnz .LBB120_67
; %bb.56:                               ;   in Loop: Header=BB120_4 Depth=1
	s_and_saveexec_b32 s36, s3
	s_wait_alu 0xfffe
	s_xor_b32 s36, exec_lo, s36
; %bb.57:                               ;   in Loop: Header=BB120_4 Depth=1
	v_mov_b32_e32 v32, v33
	ds_store_b64 v99, v[32:33]
; %bb.58:                               ;   in Loop: Header=BB120_4 Depth=1
	s_wait_alu 0xfffe
	s_or_saveexec_b32 s36, s36
	v_add_co_u32 v0, vcc_lo, v18, v34
	s_wait_alu 0xfffd
	v_add_co_ci_u32_e64 v1, null, v19, v35, vcc_lo
	s_lshl_b64 s[84:85], s[26:27], 3
	s_wait_alu 0xfffe
	v_add_co_u32 v0, vcc_lo, v0, s84
	s_wait_alu 0xfffd
	v_add_co_ci_u32_e64 v1, null, s85, v1, vcc_lo
	s_delay_alu instid0(VALU_DEP_2) | instskip(SKIP_1) | instid1(VALU_DEP_2)
	v_add_co_u32 v0, vcc_lo, 0xfffffef8, v0
	s_wait_alu 0xfffd
	v_add_co_ci_u32_e64 v1, null, -1, v1, vcc_lo
	s_delay_alu instid0(VALU_DEP_2) | instskip(NEXT) | instid1(VALU_DEP_2)
	v_cndmask_b32_e64 v0, v0, v18, s12
	v_cndmask_b32_e64 v1, v1, v19, s12
	s_xor_b32 exec_lo, exec_lo, s36
	s_cbranch_execnz .LBB120_98
; %bb.59:                               ;   in Loop: Header=BB120_4 Depth=1
	s_or_b32 exec_lo, exec_lo, s36
	s_and_saveexec_b32 s36, s4
	s_wait_alu 0xfffe
	s_xor_b32 s36, exec_lo, s36
	s_cbranch_execnz .LBB120_99
.LBB120_60:                             ;   in Loop: Header=BB120_4 Depth=1
	s_wait_alu 0xfffe
	s_and_not1_saveexec_b32 s36, s36
	s_cbranch_execnz .LBB120_100
.LBB120_61:                             ;   in Loop: Header=BB120_4 Depth=1
	s_wait_alu 0xfffe
	s_or_b32 exec_lo, exec_lo, s36
	s_and_saveexec_b32 s36, s5
	s_wait_alu 0xfffe
	s_xor_b32 s36, exec_lo, s36
	s_cbranch_execnz .LBB120_101
.LBB120_62:                             ;   in Loop: Header=BB120_4 Depth=1
	s_wait_alu 0xfffe
	s_and_not1_saveexec_b32 s36, s36
	s_cbranch_execnz .LBB120_102
.LBB120_63:                             ;   in Loop: Header=BB120_4 Depth=1
	s_wait_alu 0xfffe
	s_or_b32 exec_lo, exec_lo, s36
	s_and_saveexec_b32 s36, s6
	s_wait_alu 0xfffe
	s_xor_b32 s36, exec_lo, s36
	s_cbranch_execnz .LBB120_103
.LBB120_64:                             ;   in Loop: Header=BB120_4 Depth=1
	s_wait_alu 0xfffe
	s_and_not1_saveexec_b32 s36, s36
	s_cbranch_execz .LBB120_66
.LBB120_65:                             ;   in Loop: Header=BB120_4 Depth=1
	v_add_co_u32 v2, vcc_lo, v0, s44
	s_wait_alu 0xfffd
	v_add_co_ci_u32_e64 v3, null, s45, v1, vcc_lo
	global_load_b64 v[2:3], v[2:3], off
	s_wait_loadcnt 0x0
	ds_store_b64 v99, v[2:3] offset:6336
.LBB120_66:                             ;   in Loop: Header=BB120_4 Depth=1
	s_wait_alu 0xfffe
	s_or_b32 exec_lo, exec_lo, s36
	v_add_co_u32 v0, vcc_lo, v0, v104
	s_wait_alu 0xfffd
	v_add_co_ci_u32_e64 v1, null, 0, v1, vcc_lo
	s_lshl_b64 s[84:85], s[48:49], 3
	s_wait_alu 0xfffe
	v_add_co_u32 v0, vcc_lo, v0, s84
	s_wait_alu 0xfffd
	v_add_co_ci_u32_e64 v1, null, s85, v1, vcc_lo
	s_delay_alu instid0(VALU_DEP_2) | instskip(SKIP_1) | instid1(VALU_DEP_2)
	v_add_co_u32 v0, vcc_lo, 0x108, v0
	s_wait_alu 0xfffd
	v_add_co_ci_u32_e64 v1, null, 0, v1, vcc_lo
	s_delay_alu instid0(VALU_DEP_2) | instskip(NEXT) | instid1(VALU_DEP_2)
	v_cndmask_b32_e64 v18, v0, v18, s12
	v_cndmask_b32_e64 v19, v1, v19, s12
.LBB120_67:                             ;   in Loop: Header=BB120_4 Depth=1
	s_wait_loadcnt_dscnt 0x0
	s_barrier_signal -1
	s_barrier_wait -1
	global_inv scope:SCOPE_SE
	ds_load_b64 v[24:25], v102
	ds_load_b64 v[26:27], v99
	ds_load_b64 v[28:29], v99 offset:2112
	ds_load_2addr_b64 v[20:23], v97 offset0:8 offset1:16
	ds_load_b64 v[30:31], v99 offset:6336
	ds_load_b64 v[44:45], v99 offset:4224
	;; [unrolled: 1-line block ×3, first 2 shown]
	ds_load_b128 v[8:11], v87 offset:256
	ds_load_b128 v[0:3], v87 offset:272
	ds_load_2addr_b64 v[12:15], v89 offset1:1
	ds_load_2addr_b64 v[4:7], v89 offset0:2 offset1:3
	s_wait_loadcnt_dscnt 0x0
	s_barrier_signal -1
	s_barrier_wait -1
	global_inv scope:SCOPE_SE
	v_mul_f32_e32 v32, v25, v27
	v_dual_mul_f32 v27, v24, v27 :: v_dual_mul_f32 v48, v21, v29
	v_mul_f32_e32 v29, v20, v29
	v_mul_f32_e32 v49, v23, v45
	;; [unrolled: 1-line block ×3, first 2 shown]
	v_fma_f32 v24, v24, v26, -v32
	v_dual_fmac_f32 v27, v25, v26 :: v_dual_mul_f32 v26, v46, v31
	v_mul_f32_e32 v25, v22, v45
	v_fma_f32 v20, v20, v28, -v48
	v_fmac_f32_e32 v29, v21, v28
	v_fma_f32 v22, v22, v44, -v49
	v_dual_add_f32 v21, 0, v24 :: v_dual_add_f32 v24, 0, v27
	v_fmac_f32_e32 v26, v47, v30
	s_delay_alu instid0(VALU_DEP_2) | instskip(NEXT) | instid1(VALU_DEP_1)
	v_dual_add_f32 v20, v21, v20 :: v_dual_add_f32 v21, v24, v29
	v_dual_add_f32 v20, v20, v22 :: v_dual_fmac_f32 v25, v23, v44
	v_fma_f32 v23, v46, v30, -v50
	s_delay_alu instid0(VALU_DEP_1) | instskip(NEXT) | instid1(VALU_DEP_1)
	v_dual_add_f32 v20, v20, v23 :: v_dual_add_f32 v21, v21, v25
	v_add_f32_e32 v21, v21, v26
	ds_store_b64 v88, v[20:21]
	s_wait_loadcnt_dscnt 0x0
	s_barrier_signal -1
	s_barrier_wait -1
	global_inv scope:SCOPE_SE
	s_and_saveexec_b32 s36, s17
	s_cbranch_execz .LBB120_69
; %bb.68:                               ;   in Loop: Header=BB120_4 Depth=1
	ds_load_2addr_b64 v[20:23], v86 offset1:1
	ds_load_2addr_b64 v[24:27], v86 offset0:2 offset1:3
	ds_load_2addr_b64 v[28:31], v86 offset0:4 offset1:5
	s_wait_dscnt 0x2
	v_dual_add_f32 v20, v42, v20 :: v_dual_add_f32 v21, v43, v21
	s_delay_alu instid0(VALU_DEP_1) | instskip(NEXT) | instid1(VALU_DEP_2)
	v_add_f32_e32 v42, v21, v23
	v_add_f32_e32 v32, v20, v22
	ds_load_2addr_b64 v[20:23], v86 offset0:6 offset1:7
	s_wait_dscnt 0x2
	v_dual_add_f32 v25, v42, v25 :: v_dual_add_f32 v24, v32, v24
	s_delay_alu instid0(VALU_DEP_1) | instskip(SKIP_1) | instid1(VALU_DEP_1)
	v_dual_add_f32 v25, v25, v27 :: v_dual_add_f32 v24, v24, v26
	s_wait_dscnt 0x1
	v_dual_add_f32 v25, v25, v29 :: v_dual_add_f32 v24, v24, v28
	s_delay_alu instid0(VALU_DEP_1) | instskip(SKIP_1) | instid1(VALU_DEP_1)
	v_dual_add_f32 v25, v25, v31 :: v_dual_add_f32 v24, v24, v30
	s_wait_dscnt 0x0
	v_dual_add_f32 v21, v25, v21 :: v_dual_add_f32 v20, v24, v20
	s_delay_alu instid0(VALU_DEP_1)
	v_dual_add_f32 v43, v21, v23 :: v_dual_add_f32 v42, v20, v22
.LBB120_69:                             ;   in Loop: Header=BB120_4 Depth=1
	s_wait_alu 0xfffe
	s_or_b32 exec_lo, exec_lo, s36
	v_dual_mul_f32 v20, v9, v13 :: v_dual_mul_f32 v21, v11, v15
	v_mul_f32_e32 v13, v8, v13
	v_dual_mul_f32 v15, v10, v15 :: v_dual_mul_f32 v22, v1, v5
	s_delay_alu instid0(VALU_DEP_3) | instskip(NEXT) | instid1(VALU_DEP_4)
	v_fma_f32 v8, v8, v12, -v20
	v_fma_f32 v10, v10, v14, -v21
	v_mul_f32_e32 v5, v0, v5
	s_delay_alu instid0(VALU_DEP_4)
	v_fmac_f32_e32 v15, v11, v14
	v_fma_f32 v0, v0, v4, -v22
	v_add_f32_e32 v8, 0, v8
	v_fmac_f32_e32 v13, v9, v12
	v_fmac_f32_e32 v5, v1, v4
	s_wait_loadcnt 0x0
	s_barrier_signal -1
	v_dual_add_f32 v8, v8, v10 :: v_dual_mul_f32 v9, v3, v7
	v_mul_f32_e32 v7, v2, v7
	s_barrier_wait -1
	global_inv scope:SCOPE_SE
	v_add_f32_e32 v0, v8, v0
	v_fma_f32 v2, v2, v6, -v9
	v_add_f32_e32 v11, 0, v13
	v_fmac_f32_e32 v7, v3, v6
	s_delay_alu instid0(VALU_DEP_2) | instskip(NEXT) | instid1(VALU_DEP_1)
	v_dual_add_f32 v0, v0, v2 :: v_dual_add_f32 v1, v11, v15
	v_add_f32_e32 v1, v1, v5
	s_delay_alu instid0(VALU_DEP_1)
	v_add_f32_e32 v1, v1, v7
	ds_store_b64 v88, v[0:1]
	s_wait_loadcnt_dscnt 0x0
	s_barrier_signal -1
	s_barrier_wait -1
	global_inv scope:SCOPE_SE
	s_and_saveexec_b32 s36, s11
	s_cbranch_execz .LBB120_71
; %bb.70:                               ;   in Loop: Header=BB120_4 Depth=1
	ds_load_2addr_b64 v[0:3], v86 offset1:1
	ds_load_2addr_b64 v[4:7], v86 offset0:2 offset1:3
	ds_load_2addr_b64 v[8:11], v86 offset0:4 offset1:5
	s_wait_dscnt 0x2
	v_dual_add_f32 v0, v42, v0 :: v_dual_add_f32 v1, v43, v1
	s_delay_alu instid0(VALU_DEP_1) | instskip(SKIP_3) | instid1(VALU_DEP_1)
	v_dual_add_f32 v12, v0, v2 :: v_dual_add_f32 v13, v1, v3
	ds_load_2addr_b64 v[0:3], v86 offset0:6 offset1:7
	s_wait_dscnt 0x2
	v_dual_add_f32 v4, v12, v4 :: v_dual_add_f32 v5, v13, v5
	v_dual_add_f32 v4, v4, v6 :: v_dual_add_f32 v5, v5, v7
	s_wait_dscnt 0x1
	s_delay_alu instid0(VALU_DEP_1) | instskip(NEXT) | instid1(VALU_DEP_1)
	v_dual_add_f32 v4, v4, v8 :: v_dual_add_f32 v5, v5, v9
	v_dual_add_f32 v4, v4, v10 :: v_dual_add_f32 v5, v5, v11
	s_wait_dscnt 0x0
	s_delay_alu instid0(VALU_DEP_1) | instskip(NEXT) | instid1(VALU_DEP_1)
	v_dual_add_f32 v0, v4, v0 :: v_dual_add_f32 v1, v5, v1
	v_dual_add_f32 v42, v0, v2 :: v_dual_add_f32 v43, v1, v3
.LBB120_71:                             ;   in Loop: Header=BB120_4 Depth=1
	s_wait_alu 0xfffe
	s_or_b32 exec_lo, exec_lo, s36
	s_mul_u64 s[84:85], s[24:25], s[34:35]
	s_and_not1_b32 vcc_lo, exec_lo, s19
	s_wait_alu 0xfffe
	s_lshl_b64 s[84:85], s[84:85], 3
	s_wait_loadcnt 0x0
	s_wait_alu 0xfffe
	s_add_nc_u64 s[84:85], s[38:39], s[84:85]
	s_barrier_signal -1
	s_barrier_wait -1
	global_inv scope:SCOPE_SE
	s_cbranch_vccnz .LBB120_78
; %bb.72:                               ;   in Loop: Header=BB120_4 Depth=1
	v_add_co_u32 v0, vcc_lo, v18, s82
	s_wait_alu 0xfffd
	v_add_co_ci_u32_e64 v1, null, s83, v19, vcc_lo
	v_lshlrev_b32_e32 v2, 3, v78
	s_delay_alu instid0(VALU_DEP_3) | instskip(SKIP_1) | instid1(VALU_DEP_3)
	v_add_co_u32 v0, vcc_lo, v0, v36
	s_wait_alu 0xfffd
	v_add_co_ci_u32_e64 v1, null, v1, v37, vcc_lo
	s_lshl_b64 s[90:91], s[26:27], 3
	v_add_co_u32 v0, vcc_lo, v0, v38
	s_wait_alu 0xfffd
	v_add_co_ci_u32_e64 v1, null, v1, v39, vcc_lo
	s_mov_b32 s35, ttmp9
	s_wait_alu 0xfffe
	v_add_co_u32 v3, vcc_lo, v0, s90
	s_wait_alu 0xfffd
	v_add_co_ci_u32_e64 v4, null, s91, v1, vcc_lo
	v_add_co_u32 v0, vcc_lo, v0, v2
	s_wait_alu 0xfffd
	v_add_co_ci_u32_e64 v1, null, 0, v1, vcc_lo
	v_add_co_u32 v2, vcc_lo, 0xfffffef8, v3
	s_wait_alu 0xfffd
	v_add_co_ci_u32_e64 v3, null, -1, v4, vcc_lo
	v_add_co_u32 v0, vcc_lo, 0xffffff00, v0
	s_wait_alu 0xfffd
	v_add_co_ci_u32_e64 v1, null, -1, v1, vcc_lo
	v_add_co_u32 v105, vcc_lo, v16, s80
	s_wait_alu 0xfffd
	v_add_co_ci_u32_e64 v106, null, s81, v17, vcc_lo
	s_delay_alu instid0(VALU_DEP_3)
	v_cndmask_b32_e64 v45, v1, v3, s1
	v_cndmask_b32_e64 v44, v0, v2, s1
	s_mov_b32 s36, 0
	s_branch .LBB120_74
.LBB120_73:                             ;   in Loop: Header=BB120_74 Depth=2
	s_or_b32 exec_lo, exec_lo, s89
	v_dual_mul_f32 v32, v5, v47 :: v_dual_mul_f32 v107, v7, v53
	v_mul_f32_e32 v5, v5, v46
	v_dual_mul_f32 v7, v7, v52 :: v_dual_mul_f32 v108, v1, v51
	s_delay_alu instid0(VALU_DEP_3) | instskip(SKIP_3) | instid1(VALU_DEP_4)
	v_fma_f32 v32, v4, v46, -v32
	v_mul_f32_e32 v1, v1, v50
	v_fma_f32 v52, v6, v52, -v107
	v_dual_mul_f32 v46, v3, v49 :: v_dual_fmac_f32 v5, v4, v47
	v_add_f32_e32 v32, v42, v32
	v_fma_f32 v4, v0, v50, -v108
	v_dual_mul_f32 v3, v3, v48 :: v_dual_mul_f32 v42, v13, v61
	v_fmac_f32_e32 v1, v0, v51
	s_delay_alu instid0(VALU_DEP_4) | instskip(SKIP_2) | instid1(VALU_DEP_3)
	v_dual_add_f32 v32, v32, v52 :: v_dual_mul_f32 v47, v15, v59
	v_fmac_f32_e32 v7, v6, v53
	v_fma_f32 v6, v2, v48, -v46
	v_dual_fmac_f32 v3, v2, v49 :: v_dual_add_f32 v4, v32, v4
	v_mul_f32_e32 v13, v13, v60
	v_add_co_u32 v44, vcc_lo, v44, s52
	s_wait_alu 0xfffd
	v_add_co_ci_u32_e64 v45, null, s53, v45, vcc_lo
	v_add_f32_e32 v4, v4, v6
	v_mul_f32_e32 v6, v9, v57
	v_add_f32_e32 v5, v43, v5
	v_mul_f32_e32 v15, v15, v58
	v_fmac_f32_e32 v13, v12, v61
	s_wait_alu 0xfffe
	s_add_co_i32 s35, s35, -1
	s_add_co_i32 s36, s36, 64
	v_add_f32_e32 v0, v5, v7
	v_fma_f32 v5, v12, v60, -v42
	v_fmac_f32_e32 v15, v14, v59
	s_wait_alu 0xfffe
	s_cmp_eq_u32 s35, 0
	s_wait_loadcnt 0x0
	s_wait_storecnt 0x0
	v_add_f32_e32 v0, v0, v1
	v_fma_f32 v1, v14, v58, -v47
	v_add_f32_e32 v2, v4, v5
	v_mul_f32_e32 v4, v11, v55
	s_barrier_signal -1
	v_add_f32_e32 v0, v0, v3
	v_fma_f32 v3, v8, v56, -v6
	v_dual_add_f32 v1, v2, v1 :: v_dual_mul_f32 v2, v9, v56
	v_fma_f32 v4, v10, v54, -v4
	s_barrier_wait -1
	global_inv scope:SCOPE_SE
	v_dual_add_f32 v1, v1, v3 :: v_dual_fmac_f32 v2, v8, v57
	v_mul_f32_e32 v5, v11, v54
	s_delay_alu instid0(VALU_DEP_2) | instskip(NEXT) | instid1(VALU_DEP_2)
	v_dual_add_f32 v1, v1, v4 :: v_dual_mul_f32 v4, v19, v67
	v_dual_add_f32 v0, v0, v13 :: v_dual_fmac_f32 v5, v10, v55
	s_delay_alu instid0(VALU_DEP_1) | instskip(NEXT) | instid1(VALU_DEP_1)
	v_dual_add_f32 v0, v0, v15 :: v_dual_mul_f32 v3, v17, v69
	v_add_f32_e32 v0, v0, v2
	s_delay_alu instid0(VALU_DEP_2) | instskip(SKIP_1) | instid1(VALU_DEP_2)
	v_fma_f32 v3, v16, v68, -v3
	v_mul_f32_e32 v2, v17, v68
	v_dual_add_f32 v0, v0, v5 :: v_dual_add_f32 v1, v1, v3
	v_fma_f32 v3, v18, v66, -v4
	v_dual_mul_f32 v4, v21, v65 :: v_dual_mul_f32 v5, v19, v66
	s_delay_alu instid0(VALU_DEP_2) | instskip(NEXT) | instid1(VALU_DEP_2)
	v_dual_fmac_f32 v2, v16, v69 :: v_dual_add_f32 v1, v1, v3
	v_fma_f32 v3, v20, v64, -v4
	v_mul_f32_e32 v4, v23, v63
	s_delay_alu instid0(VALU_DEP_3) | instskip(SKIP_1) | instid1(VALU_DEP_4)
	v_dual_add_f32 v0, v0, v2 :: v_dual_fmac_f32 v5, v18, v67
	v_mul_f32_e32 v2, v21, v64
	v_add_f32_e32 v1, v1, v3
	s_delay_alu instid0(VALU_DEP_4) | instskip(SKIP_2) | instid1(VALU_DEP_3)
	v_fma_f32 v3, v22, v62, -v4
	v_mul_f32_e32 v4, v25, v77
	v_dual_add_f32 v0, v0, v5 :: v_dual_mul_f32 v5, v23, v62
	v_dual_fmac_f32 v2, v20, v65 :: v_dual_add_f32 v1, v1, v3
	v_mul_f32_e32 v3, v27, v75
	s_delay_alu instid0(VALU_DEP_2) | instskip(SKIP_2) | instid1(VALU_DEP_2)
	v_dual_fmac_f32 v5, v22, v63 :: v_dual_add_f32 v0, v0, v2
	v_fma_f32 v2, v24, v76, -v4
	v_mul_f32_e32 v4, v25, v76
	v_add_f32_e32 v1, v1, v2
	v_fma_f32 v2, v26, v74, -v3
	v_dual_add_f32 v0, v0, v5 :: v_dual_mul_f32 v3, v27, v74
	s_delay_alu instid0(VALU_DEP_2) | instskip(NEXT) | instid1(VALU_DEP_2)
	v_dual_fmac_f32 v4, v24, v77 :: v_dual_add_f32 v1, v1, v2
	v_dual_mul_f32 v2, v29, v72 :: v_dual_fmac_f32 v3, v26, v75
	s_delay_alu instid0(VALU_DEP_2) | instskip(NEXT) | instid1(VALU_DEP_1)
	v_dual_mul_f32 v5, v29, v73 :: v_dual_add_f32 v0, v0, v4
	v_fma_f32 v4, v28, v72, -v5
	v_mul_f32_e32 v5, v31, v71
	v_mul_f32_e32 v6, v31, v70
	v_fmac_f32_e32 v2, v28, v73
	s_delay_alu instid0(VALU_DEP_4) | instskip(NEXT) | instid1(VALU_DEP_4)
	v_dual_add_f32 v0, v0, v3 :: v_dual_add_f32 v1, v1, v4
	v_fma_f32 v3, v30, v70, -v5
	s_delay_alu instid0(VALU_DEP_4) | instskip(NEXT) | instid1(VALU_DEP_3)
	v_fmac_f32_e32 v6, v30, v71
	v_add_f32_e32 v0, v0, v2
	s_delay_alu instid0(VALU_DEP_1)
	v_dual_add_f32 v42, v1, v3 :: v_dual_add_f32 v43, v0, v6
	s_cbranch_scc1 .LBB120_78
.LBB120_74:                             ;   Parent Loop BB120_4 Depth=1
                                        ; =>  This Inner Loop Header: Depth=2
	s_and_saveexec_b32 s89, s0
	s_cbranch_execz .LBB120_76
; %bb.75:                               ;   in Loop: Header=BB120_74 Depth=2
	s_wait_alu 0xfffe
	s_mul_u64 s[90:91], s[28:29], s[36:37]
	s_wait_alu 0xfffe
	s_lshl_b64 s[90:91], s[90:91], 3
	s_wait_alu 0xfffe
	v_add_co_u32 v0, vcc_lo, v105, s90
	s_wait_alu 0xfffd
	v_add_co_ci_u32_e64 v1, null, s91, v106, vcc_lo
	global_load_b64 v[0:1], v[0:1], off
	s_wait_loadcnt 0x0
	ds_store_b64 v90, v[0:1]
.LBB120_76:                             ;   in Loop: Header=BB120_74 Depth=2
	s_or_b32 exec_lo, exec_lo, s89
	v_add_co_u32 v0, vcc_lo, v44, s50
	s_wait_alu 0xfffd
	v_add_co_ci_u32_e64 v1, null, s51, v45, vcc_lo
	v_add_co_u32 v2, vcc_lo, v44, s54
	s_wait_loadcnt_dscnt 0x0
	s_barrier_signal -1
	s_barrier_wait -1
	global_inv scope:SCOPE_SE
	global_load_b64 v[46:47], v[44:45], off
	s_wait_alu 0xfffd
	v_add_co_ci_u32_e64 v3, null, s55, v45, vcc_lo
	v_add_co_u32 v4, vcc_lo, v44, s56
	s_wait_alu 0xfffd
	v_add_co_ci_u32_e64 v5, null, s57, v45, vcc_lo
	s_clause 0x2
	global_load_b64 v[52:53], v[0:1], off
	global_load_b64 v[50:51], v[2:3], off
	;; [unrolled: 1-line block ×3, first 2 shown]
	ds_load_b64 v[8:9], v80
	ds_load_b128 v[4:7], v91
	ds_load_b128 v[0:3], v91 offset:16
	v_add_co_u32 v10, vcc_lo, v44, s42
	s_wait_alu 0xfffd
	v_add_co_ci_u32_e64 v11, null, s43, v45, vcc_lo
	v_add_co_u32 v14, vcc_lo, v44, s20
	s_wait_alu 0xfffd
	v_add_co_ci_u32_e64 v15, null, s21, v45, vcc_lo
	s_wait_loadcnt_dscnt 0x302
	v_mul_f32_e32 v13, v9, v46
	v_mul_f32_e32 v12, v9, v47
	s_wait_loadcnt 0x2
	s_delay_alu instid0(VALU_DEP_2)
	v_dual_fmac_f32 v13, v8, v47 :: v_dual_mul_f32 v16, v9, v53
	v_mul_f32_e32 v17, v9, v52
	s_wait_loadcnt 0x1
	v_mul_f32_e32 v18, v9, v51
	v_mul_f32_e32 v19, v9, v50
	s_wait_loadcnt 0x0
	v_mul_f32_e32 v20, v9, v49
	v_mul_f32_e32 v21, v8, v49
	v_fma_f32 v12, v8, v46, -v12
	v_fma_f32 v16, v8, v52, -v16
	v_fmac_f32_e32 v17, v8, v53
	v_fma_f32 v18, v8, v50, -v18
	v_fmac_f32_e32 v19, v8, v51
	;; [unrolled: 2-line block ×3, first 2 shown]
	v_add_co_u32 v8, vcc_lo, v44, s58
	s_wait_alu 0xfffd
	v_add_co_ci_u32_e64 v9, null, s59, v45, vcc_lo
	ds_store_2addr_b64 v92, v[12:13], v[16:17] offset1:67
	ds_store_2addr_b64 v92, v[18:19], v[20:21] offset0:134 offset1:201
	s_wait_dscnt 0x0
	s_barrier_signal -1
	s_barrier_wait -1
	global_inv scope:SCOPE_SE
	ds_load_2addr_b64 v[107:110], v93 offset1:1
	ds_load_2addr_b64 v[111:114], v93 offset0:2 offset1:3
	s_wait_loadcnt_dscnt 0x0
	s_barrier_signal -1
	s_barrier_wait -1
	global_inv scope:SCOPE_SE
	global_load_b64 v[60:61], v[10:11], off
	v_add_co_u32 v10, vcc_lo, v44, s60
	s_wait_alu 0xfffd
	v_add_co_ci_u32_e64 v11, null, s61, v45, vcc_lo
	s_clause 0x2
	global_load_b64 v[58:59], v[14:15], off
	global_load_b64 v[56:57], v[8:9], off
	;; [unrolled: 1-line block ×3, first 2 shown]
	ds_load_b64 v[8:9], v80
	ds_load_b128 v[12:15], v91 offset:128
	v_add_co_u32 v16, vcc_lo, v44, s76
	s_wait_alu 0xfffd
	v_add_co_ci_u32_e64 v17, null, s77, v45, vcc_lo
	v_add_co_u32 v18, vcc_lo, v44, s74
	s_wait_alu 0xfffd
	v_add_co_ci_u32_e64 v19, null, s75, v45, vcc_lo
	;; [unrolled: 3-line block ×3, first 2 shown]
	s_wait_loadcnt_dscnt 0x301
	v_mul_f32_e32 v10, v9, v61
	v_mul_f32_e32 v21, v9, v60
	s_wait_loadcnt 0x2
	v_mul_f32_e32 v11, v9, v59
	v_mul_f32_e32 v23, v9, v58
	s_wait_loadcnt 0x1
	;; [unrolled: 3-line block ×3, first 2 shown]
	v_dual_mul_f32 v26, v9, v55 :: v_dual_fmac_f32 v21, v8, v61
	v_mul_f32_e32 v27, v8, v55
	v_fma_f32 v20, v8, v60, -v10
	v_fma_f32 v22, v8, v58, -v11
	v_fmac_f32_e32 v23, v8, v59
	v_fma_f32 v24, v8, v56, -v24
	v_fmac_f32_e32 v25, v8, v57
	;; [unrolled: 2-line block ×3, first 2 shown]
	ds_load_b128 v[8:11], v91 offset:144
	ds_store_2addr_b64 v92, v[20:21], v[22:23] offset1:67
	ds_store_2addr_b64 v92, v[24:25], v[26:27] offset0:134 offset1:201
	s_wait_dscnt 0x0
	s_barrier_signal -1
	s_barrier_wait -1
	global_inv scope:SCOPE_SE
	ds_load_2addr_b64 v[115:118], v93 offset1:1
	ds_load_2addr_b64 v[119:122], v93 offset0:2 offset1:3
	s_wait_loadcnt_dscnt 0x0
	s_barrier_signal -1
	s_barrier_wait -1
	global_inv scope:SCOPE_SE
	global_load_b64 v[68:69], v[16:17], off
	v_add_co_u32 v16, vcc_lo, v44, s64
	s_wait_alu 0xfffd
	v_add_co_ci_u32_e64 v17, null, s65, v45, vcc_lo
	s_clause 0x2
	global_load_b64 v[66:67], v[18:19], off
	global_load_b64 v[64:65], v[28:29], off
	;; [unrolled: 1-line block ×3, first 2 shown]
	ds_load_b64 v[20:21], v80
	ds_load_b128 v[16:19], v91 offset:256
	v_add_co_u32 v24, vcc_lo, v44, s72
	s_wait_alu 0xfffd
	v_add_co_ci_u32_e64 v25, null, s73, v45, vcc_lo
	v_add_co_u32 v26, vcc_lo, v44, s70
	s_wait_alu 0xfffd
	v_add_co_ci_u32_e64 v27, null, s71, v45, vcc_lo
	;; [unrolled: 3-line block ×3, first 2 shown]
	v_dual_add_f32 v116, 0, v116 :: v_dual_add_f32 v115, 0, v115
	s_delay_alu instid0(VALU_DEP_1)
	v_add_f32_e32 v115, v115, v117
	s_wait_loadcnt_dscnt 0x301
	v_mul_f32_e32 v22, v21, v69
	v_mul_f32_e32 v29, v21, v68
	s_wait_loadcnt 0x2
	v_mul_f32_e32 v23, v21, v67
	v_mul_f32_e32 v31, v21, v66
	s_wait_loadcnt 0x1
	;; [unrolled: 3-line block ×3, first 2 shown]
	v_mul_f32_e32 v72, v21, v63
	v_mul_f32_e32 v73, v20, v63
	v_fma_f32 v28, v20, v68, -v22
	v_fmac_f32_e32 v29, v20, v69
	v_fma_f32 v30, v20, v66, -v23
	v_fmac_f32_e32 v31, v20, v67
	;; [unrolled: 2-line block ×4, first 2 shown]
	ds_load_b128 v[20:23], v91 offset:272
	ds_store_2addr_b64 v92, v[28:29], v[30:31] offset1:67
	ds_store_2addr_b64 v92, v[70:71], v[72:73] offset0:134 offset1:201
	s_wait_dscnt 0x0
	s_barrier_signal -1
	s_barrier_wait -1
	global_inv scope:SCOPE_SE
	ds_load_2addr_b64 v[123:126], v93 offset1:1
	ds_load_2addr_b64 v[127:130], v93 offset0:2 offset1:3
	s_wait_loadcnt_dscnt 0x0
	s_barrier_signal -1
	s_barrier_wait -1
	global_inv scope:SCOPE_SE
	global_load_b64 v[76:77], v[24:25], off
	v_add_co_u32 v24, vcc_lo, v44, s68
	s_wait_alu 0xfffd
	v_add_co_ci_u32_e64 v25, null, s69, v45, vcc_lo
	s_clause 0x2
	global_load_b64 v[74:75], v[26:27], off
	global_load_b64 v[72:73], v[131:132], off
	global_load_b64 v[70:71], v[24:25], off
	ds_load_b64 v[28:29], v80
	ds_load_b128 v[24:27], v91 offset:384
	s_wait_loadcnt_dscnt 0x301
	v_mul_f32_e32 v30, v29, v77
	v_mul_f32_e32 v132, v29, v76
	s_wait_loadcnt 0x2
	v_mul_f32_e32 v134, v29, v74
	s_wait_loadcnt 0x1
	v_mul_f32_e32 v32, v29, v73
	v_mul_f32_e32 v136, v29, v72
	s_wait_loadcnt 0x0
	v_mul_f32_e32 v137, v29, v71
	v_mul_f32_e32 v138, v28, v71
	v_fmac_f32_e32 v132, v28, v77
	v_fma_f32 v135, v28, v72, -v32
	v_dual_add_f32 v32, 0, v107 :: v_dual_add_f32 v107, 0, v108
	v_fma_f32 v131, v28, v76, -v30
	v_fmac_f32_e32 v134, v28, v75
	v_fmac_f32_e32 v136, v28, v73
	s_delay_alu instid0(VALU_DEP_4) | instskip(SKIP_1) | instid1(VALU_DEP_2)
	v_dual_add_f32 v32, v32, v109 :: v_dual_add_f32 v107, v107, v110
	v_fma_f32 v137, v28, v70, -v137
	v_add_f32_e32 v32, v32, v111
	s_delay_alu instid0(VALU_DEP_3) | instskip(NEXT) | instid1(VALU_DEP_2)
	v_add_f32_e32 v112, v107, v112
	v_dual_fmac_f32 v138, v29, v70 :: v_dual_add_f32 v111, v32, v113
	s_delay_alu instid0(VALU_DEP_2) | instskip(SKIP_2) | instid1(VALU_DEP_2)
	v_add_f32_e32 v112, v112, v114
	v_add_f32_e32 v114, 0, v123
	v_dual_mul_f32 v31, v29, v75 :: v_dual_add_f32 v32, v116, v118
	v_add_f32_e32 v114, v114, v125
	s_delay_alu instid0(VALU_DEP_2)
	v_fma_f32 v133, v28, v74, -v31
	ds_load_b128 v[28:31], v91 offset:400
	ds_store_2addr_b64 v92, v[131:132], v[133:134] offset1:67
	ds_store_2addr_b64 v92, v[135:136], v[137:138] offset0:134 offset1:201
	s_wait_dscnt 0x0
	s_barrier_signal -1
	s_barrier_wait -1
	global_inv scope:SCOPE_SE
	ds_load_2addr_b64 v[131:134], v93 offset1:1
	ds_load_2addr_b64 v[107:110], v93 offset0:2 offset1:3
	v_dual_add_f32 v32, v32, v120 :: v_dual_add_f32 v113, v115, v119
	v_add_f32_e32 v118, v114, v127
	s_wait_loadcnt_dscnt 0x0
	s_barrier_signal -1
	s_delay_alu instid0(VALU_DEP_2) | instskip(SKIP_3) | instid1(VALU_DEP_1)
	v_add_f32_e32 v114, v32, v122
	s_barrier_wait -1
	global_inv scope:SCOPE_SE
	v_add_f32_e32 v116, 0, v131
	v_dual_add_f32 v116, v116, v133 :: v_dual_add_f32 v115, 0, v124
	s_delay_alu instid0(VALU_DEP_1) | instskip(SKIP_1) | instid1(VALU_DEP_2)
	v_dual_add_f32 v32, v116, v107 :: v_dual_add_f32 v115, v115, v126
	v_add_f32_e32 v107, v118, v129
	v_add_f32_e32 v109, v32, v109
	s_delay_alu instid0(VALU_DEP_3) | instskip(SKIP_1) | instid1(VALU_DEP_1)
	v_add_f32_e32 v115, v115, v128
	v_add_f32_e32 v117, 0, v132
	;; [unrolled: 1-line block ×3, first 2 shown]
	s_delay_alu instid0(VALU_DEP_1) | instskip(NEXT) | instid1(VALU_DEP_4)
	v_add_f32_e32 v116, v117, v108
	v_dual_add_f32 v113, v113, v121 :: v_dual_add_f32 v108, v115, v130
	s_delay_alu instid0(VALU_DEP_2)
	v_add_f32_e32 v110, v116, v110
	ds_store_2addr_b64 v103, v[111:112], v[113:114] offset1:16
	ds_store_2addr_b64 v103, v[107:108], v[109:110] offset0:32 offset1:48
	s_wait_loadcnt_dscnt 0x0
	s_barrier_signal -1
	s_barrier_wait -1
	global_inv scope:SCOPE_SE
	s_and_saveexec_b32 s89, s18
	s_cbranch_execz .LBB120_73
; %bb.77:                               ;   in Loop: Header=BB120_74 Depth=2
	ds_load_b64 v[119:120], v94
	ds_load_2addr_b64 v[107:110], v94 offset0:1 offset1:2
	ds_load_2addr_b64 v[111:114], v94 offset0:3 offset1:4
	;; [unrolled: 1-line block ×3, first 2 shown]
	s_wait_dscnt 0x2
	v_dual_add_f32 v32, v107, v119 :: v_dual_add_f32 v107, v108, v120
	s_delay_alu instid0(VALU_DEP_1) | instskip(SKIP_3) | instid1(VALU_DEP_1)
	v_dual_add_f32 v32, v109, v32 :: v_dual_add_f32 v119, v110, v107
	ds_load_2addr_b64 v[107:110], v94 offset0:7 offset1:8
	s_wait_dscnt 0x2
	v_dual_add_f32 v32, v32, v111 :: v_dual_add_f32 v111, v119, v112
	v_dual_add_f32 v32, v32, v113 :: v_dual_add_f32 v119, v111, v114
	ds_load_2addr_b64 v[111:114], v94 offset0:9 offset1:10
	s_wait_dscnt 0x2
	v_dual_add_f32 v32, v32, v115 :: v_dual_add_f32 v115, v119, v116
	s_delay_alu instid0(VALU_DEP_1) | instskip(SKIP_3) | instid1(VALU_DEP_1)
	v_dual_add_f32 v32, v32, v117 :: v_dual_add_f32 v119, v115, v118
	ds_load_2addr_b64 v[115:118], v94 offset0:11 offset1:12
	s_wait_dscnt 0x2
	v_dual_add_f32 v32, v32, v107 :: v_dual_add_f32 v107, v119, v108
	v_dual_add_f32 v32, v32, v109 :: v_dual_add_f32 v119, v107, v110
	ds_load_2addr_b64 v[107:110], v94 offset0:13 offset1:14
	s_wait_dscnt 0x2
	v_dual_add_f32 v32, v32, v111 :: v_dual_add_f32 v111, v119, v112
	s_delay_alu instid0(VALU_DEP_1) | instskip(SKIP_3) | instid1(VALU_DEP_1)
	v_dual_add_f32 v32, v32, v113 :: v_dual_add_f32 v113, v111, v114
	ds_load_b64 v[111:112], v95
	s_wait_dscnt 0x2
	v_dual_add_f32 v32, v32, v115 :: v_dual_add_f32 v113, v113, v116
	v_dual_add_f32 v32, v32, v117 :: v_dual_add_f32 v113, v113, v118
	s_wait_dscnt 0x1
	s_delay_alu instid0(VALU_DEP_1) | instskip(SKIP_1) | instid1(VALU_DEP_1)
	v_dual_add_f32 v107, v32, v107 :: v_dual_add_f32 v108, v113, v108
	s_wait_alu 0xfffe
	v_dual_add_f32 v109, v107, v109 :: v_dual_add_nc_u32 v32, s36, v78
	s_delay_alu instid0(VALU_DEP_2) | instskip(NEXT) | instid1(VALU_DEP_2)
	v_add_f32_e32 v110, v108, v110
	v_lshlrev_b64_e32 v[107:108], 3, v[32:33]
	s_wait_dscnt 0x0
	s_delay_alu instid0(VALU_DEP_2) | instskip(NEXT) | instid1(VALU_DEP_2)
	v_dual_add_f32 v109, v109, v111 :: v_dual_add_f32 v110, v110, v112
	v_add_co_u32 v107, vcc_lo, s84, v107
	s_wait_alu 0xfffd
	s_delay_alu instid0(VALU_DEP_3)
	v_add_co_ci_u32_e64 v108, null, s85, v108, vcc_lo
	global_store_b64 v[107:108], v[109:110], off
	s_branch .LBB120_73
.LBB120_78:                             ;   in Loop: Header=BB120_4 Depth=1
	ds_store_b64 v96, v[42:43]
	s_wait_loadcnt_dscnt 0x0
	s_barrier_signal -1
	s_barrier_wait -1
	global_inv scope:SCOPE_SE
	s_and_saveexec_b32 s35, s87
	s_cbranch_execz .LBB120_2
; %bb.79:                               ;   in Loop: Header=BB120_4 Depth=1
	ds_load_2addr_b64 v[0:3], v79 offset1:67
	ds_load_2addr_b64 v[4:7], v79 offset0:134 offset1:201
	s_wait_dscnt 0x1
	v_dual_add_f32 v0, v2, v0 :: v_dual_add_f32 v1, v3, v1
	s_wait_alu 0xfffe
	v_add_co_u32 v2, vcc_lo, s84, v40
	s_wait_alu 0xfffd
	v_add_co_ci_u32_e64 v3, null, s85, v41, vcc_lo
	s_wait_dscnt 0x0
	v_dual_add_f32 v0, v4, v0 :: v_dual_add_f32 v1, v5, v1
	s_delay_alu instid0(VALU_DEP_1)
	v_dual_add_f32 v0, v0, v6 :: v_dual_add_f32 v1, v1, v7
	global_store_b64 v[2:3], v[0:1], off
	s_branch .LBB120_2
.LBB120_80:                             ;   in Loop: Header=BB120_4 Depth=1
	ds_load_b64 v[2:3], v100
	s_wait_dscnt 0x0
	ds_store_b64 v85, v[2:3]
	s_wait_alu 0xfffe
	s_or_b32 exec_lo, exec_lo, s36
	s_and_saveexec_b32 s36, s8
	s_cbranch_execz .LBB120_27
.LBB120_81:                             ;   in Loop: Header=BB120_4 Depth=1
	ds_load_b64 v[2:3], v101
	s_wait_dscnt 0x0
	ds_store_b64 v85, v[2:3] offset:8
	s_wait_alu 0xfffe
	s_or_b32 exec_lo, exec_lo, s36
	s_and_saveexec_b32 s36, s9
	s_cbranch_execz .LBB120_28
.LBB120_82:                             ;   in Loop: Header=BB120_4 Depth=1
	ds_load_b64 v[2:3], v101 offset:264
	s_wait_dscnt 0x0
	ds_store_b64 v85, v[2:3] offset:16
	s_wait_alu 0xfffe
	s_or_b32 exec_lo, exec_lo, s36
	s_and_saveexec_b32 s36, s10
	s_cbranch_execnz .LBB120_29
	s_branch .LBB120_30
.LBB120_83:                             ;   in Loop: Header=BB120_4 Depth=1
	ds_load_b64 v[0:1], v100
	s_wait_dscnt 0x0
	ds_store_b64 v85, v[0:1]
	s_wait_alu 0xfffe
	s_or_b32 exec_lo, exec_lo, s36
	s_and_saveexec_b32 s36, s8
	s_cbranch_execz .LBB120_48
.LBB120_84:                             ;   in Loop: Header=BB120_4 Depth=1
	ds_load_b64 v[0:1], v101
	s_wait_dscnt 0x0
	ds_store_b64 v85, v[0:1] offset:8
	s_wait_alu 0xfffe
	s_or_b32 exec_lo, exec_lo, s36
	s_and_saveexec_b32 s36, s9
	s_cbranch_execz .LBB120_49
.LBB120_85:                             ;   in Loop: Header=BB120_4 Depth=1
	ds_load_b64 v[0:1], v101 offset:264
	s_wait_dscnt 0x0
	ds_store_b64 v85, v[0:1] offset:16
	s_wait_alu 0xfffe
	s_or_b32 exec_lo, exec_lo, s36
	s_and_saveexec_b32 s36, s10
	s_cbranch_execnz .LBB120_50
	s_branch .LBB120_51
.LBB120_86:                             ;   in Loop: Header=BB120_4 Depth=1
	global_load_b64 v[4:5], v[2:3], off
	s_wait_loadcnt 0x0
	ds_store_b64 v99, v[4:5]
	s_or_b32 exec_lo, exec_lo, s36
	s_and_saveexec_b32 s36, s4
	s_wait_alu 0xfffe
	s_xor_b32 s36, exec_lo, s36
	s_cbranch_execz .LBB120_18
.LBB120_87:                             ;   in Loop: Header=BB120_4 Depth=1
	v_mov_b32_e32 v32, v33
	ds_store_b64 v99, v[32:33] offset:2112
	s_wait_alu 0xfffe
	s_and_not1_saveexec_b32 s36, s36
	s_cbranch_execz .LBB120_19
.LBB120_88:                             ;   in Loop: Header=BB120_4 Depth=1
	v_add_co_u32 v4, vcc_lo, v2, s40
	s_wait_alu 0xfffd
	v_add_co_ci_u32_e64 v5, null, s41, v3, vcc_lo
	global_load_b64 v[4:5], v[4:5], off
	s_wait_loadcnt 0x0
	ds_store_b64 v99, v[4:5] offset:2112
	s_wait_alu 0xfffe
	s_or_b32 exec_lo, exec_lo, s36
	s_and_saveexec_b32 s36, s5
	s_wait_alu 0xfffe
	s_xor_b32 s36, exec_lo, s36
	s_cbranch_execz .LBB120_20
.LBB120_89:                             ;   in Loop: Header=BB120_4 Depth=1
	v_mov_b32_e32 v32, v33
	ds_store_b64 v99, v[32:33] offset:4224
	s_wait_alu 0xfffe
	s_and_not1_saveexec_b32 s36, s36
	s_cbranch_execz .LBB120_21
.LBB120_90:                             ;   in Loop: Header=BB120_4 Depth=1
	v_add_co_u32 v4, vcc_lo, v2, s42
	s_wait_alu 0xfffd
	v_add_co_ci_u32_e64 v5, null, s43, v3, vcc_lo
	global_load_b64 v[4:5], v[4:5], off
	s_wait_loadcnt 0x0
	ds_store_b64 v99, v[4:5] offset:4224
	s_wait_alu 0xfffe
	s_or_b32 exec_lo, exec_lo, s36
	s_and_saveexec_b32 s36, s6
	s_wait_alu 0xfffe
	s_xor_b32 s36, exec_lo, s36
	s_cbranch_execz .LBB120_22
.LBB120_91:                             ;   in Loop: Header=BB120_4 Depth=1
	v_mov_b32_e32 v32, v33
	ds_store_b64 v99, v[32:33] offset:6336
	s_wait_alu 0xfffe
	s_and_not1_saveexec_b32 s36, s36
	s_cbranch_execnz .LBB120_23
	s_branch .LBB120_24
.LBB120_92:                             ;   in Loop: Header=BB120_4 Depth=1
	global_load_b64 v[4:5], v[0:1], off
	s_wait_loadcnt 0x0
	ds_store_b64 v99, v[4:5]
	s_or_b32 exec_lo, exec_lo, s36
	s_and_saveexec_b32 s36, s14
	s_wait_alu 0xfffe
	s_xor_b32 s36, exec_lo, s36
	s_cbranch_execz .LBB120_39
.LBB120_93:                             ;   in Loop: Header=BB120_4 Depth=1
	v_mov_b32_e32 v32, v33
	ds_store_b64 v99, v[32:33] offset:2112
	s_wait_alu 0xfffe
	s_and_not1_saveexec_b32 s36, s36
	s_cbranch_execz .LBB120_40
.LBB120_94:                             ;   in Loop: Header=BB120_4 Depth=1
	v_add_co_u32 v4, vcc_lo, v0, s40
	s_wait_alu 0xfffd
	v_add_co_ci_u32_e64 v5, null, s41, v1, vcc_lo
	global_load_b64 v[4:5], v[4:5], off
	s_wait_loadcnt 0x0
	ds_store_b64 v99, v[4:5] offset:2112
	s_wait_alu 0xfffe
	s_or_b32 exec_lo, exec_lo, s36
	s_and_saveexec_b32 s36, s15
	s_wait_alu 0xfffe
	s_xor_b32 s36, exec_lo, s36
	s_cbranch_execz .LBB120_41
.LBB120_95:                             ;   in Loop: Header=BB120_4 Depth=1
	v_mov_b32_e32 v32, v33
	ds_store_b64 v99, v[32:33] offset:4224
	s_wait_alu 0xfffe
	s_and_not1_saveexec_b32 s36, s36
	s_cbranch_execz .LBB120_42
.LBB120_96:                             ;   in Loop: Header=BB120_4 Depth=1
	v_add_co_u32 v4, vcc_lo, v0, s42
	s_wait_alu 0xfffd
	v_add_co_ci_u32_e64 v5, null, s43, v1, vcc_lo
	global_load_b64 v[4:5], v[4:5], off
	s_wait_loadcnt 0x0
	ds_store_b64 v99, v[4:5] offset:4224
	s_wait_alu 0xfffe
	s_or_b32 exec_lo, exec_lo, s36
	s_and_saveexec_b32 s36, s16
	s_wait_alu 0xfffe
	s_xor_b32 s36, exec_lo, s36
	s_cbranch_execz .LBB120_43
.LBB120_97:                             ;   in Loop: Header=BB120_4 Depth=1
	v_mov_b32_e32 v32, v33
	ds_store_b64 v99, v[32:33] offset:6336
	s_wait_alu 0xfffe
	s_and_not1_saveexec_b32 s36, s36
	s_cbranch_execnz .LBB120_44
	s_branch .LBB120_45
.LBB120_98:                             ;   in Loop: Header=BB120_4 Depth=1
	global_load_b64 v[2:3], v[0:1], off
	s_wait_loadcnt 0x0
	ds_store_b64 v99, v[2:3]
	s_or_b32 exec_lo, exec_lo, s36
	s_and_saveexec_b32 s36, s4
	s_wait_alu 0xfffe
	s_xor_b32 s36, exec_lo, s36
	s_cbranch_execz .LBB120_60
.LBB120_99:                             ;   in Loop: Header=BB120_4 Depth=1
	v_mov_b32_e32 v32, v33
	ds_store_b64 v99, v[32:33] offset:2112
	s_wait_alu 0xfffe
	s_and_not1_saveexec_b32 s36, s36
	s_cbranch_execz .LBB120_61
.LBB120_100:                            ;   in Loop: Header=BB120_4 Depth=1
	v_add_co_u32 v2, vcc_lo, v0, s40
	s_wait_alu 0xfffd
	v_add_co_ci_u32_e64 v3, null, s41, v1, vcc_lo
	global_load_b64 v[2:3], v[2:3], off
	s_wait_loadcnt 0x0
	ds_store_b64 v99, v[2:3] offset:2112
	s_wait_alu 0xfffe
	s_or_b32 exec_lo, exec_lo, s36
	s_and_saveexec_b32 s36, s5
	s_wait_alu 0xfffe
	s_xor_b32 s36, exec_lo, s36
	s_cbranch_execz .LBB120_62
.LBB120_101:                            ;   in Loop: Header=BB120_4 Depth=1
	v_mov_b32_e32 v32, v33
	ds_store_b64 v99, v[32:33] offset:4224
	s_wait_alu 0xfffe
	s_and_not1_saveexec_b32 s36, s36
	s_cbranch_execz .LBB120_63
.LBB120_102:                            ;   in Loop: Header=BB120_4 Depth=1
	v_add_co_u32 v2, vcc_lo, v0, s42
	s_wait_alu 0xfffd
	v_add_co_ci_u32_e64 v3, null, s43, v1, vcc_lo
	global_load_b64 v[2:3], v[2:3], off
	s_wait_loadcnt 0x0
	ds_store_b64 v99, v[2:3] offset:4224
	s_wait_alu 0xfffe
	s_or_b32 exec_lo, exec_lo, s36
	s_and_saveexec_b32 s36, s6
	s_wait_alu 0xfffe
	s_xor_b32 s36, exec_lo, s36
	s_cbranch_execz .LBB120_64
.LBB120_103:                            ;   in Loop: Header=BB120_4 Depth=1
	v_mov_b32_e32 v32, v33
	ds_store_b64 v99, v[32:33] offset:6336
	s_wait_alu 0xfffe
	s_and_not1_saveexec_b32 s36, s36
	s_cbranch_execnz .LBB120_65
	s_branch .LBB120_66
.LBB120_104:
	s_nop 0
	s_sendmsg sendmsg(MSG_DEALLOC_VGPRS)
	s_endpgm
	.section	.rodata,"a",@progbits
	.p2align	6, 0x0
	.amdhsa_kernel _ZL26rocblas_hemvn_kernel_lowerILb0ELi64ELi4ELi33ELi32ELi16El19rocblas_complex_numIfEPKS1_PS1_EviT6_lT7_lT5_lS6_lS7_lS5_lT8_i
		.amdhsa_group_segment_fixed_size 9600
		.amdhsa_private_segment_fixed_size 0
		.amdhsa_kernarg_size 376
		.amdhsa_user_sgpr_count 2
		.amdhsa_user_sgpr_dispatch_ptr 0
		.amdhsa_user_sgpr_queue_ptr 0
		.amdhsa_user_sgpr_kernarg_segment_ptr 1
		.amdhsa_user_sgpr_dispatch_id 0
		.amdhsa_user_sgpr_private_segment_size 0
		.amdhsa_wavefront_size32 1
		.amdhsa_uses_dynamic_stack 0
		.amdhsa_enable_private_segment 0
		.amdhsa_system_sgpr_workgroup_id_x 1
		.amdhsa_system_sgpr_workgroup_id_y 0
		.amdhsa_system_sgpr_workgroup_id_z 1
		.amdhsa_system_sgpr_workgroup_info 0
		.amdhsa_system_vgpr_workitem_id 1
		.amdhsa_next_free_vgpr 139
		.amdhsa_next_free_sgpr 92
		.amdhsa_reserve_vcc 1
		.amdhsa_float_round_mode_32 0
		.amdhsa_float_round_mode_16_64 0
		.amdhsa_float_denorm_mode_32 3
		.amdhsa_float_denorm_mode_16_64 3
		.amdhsa_fp16_overflow 0
		.amdhsa_workgroup_processor_mode 1
		.amdhsa_memory_ordered 1
		.amdhsa_forward_progress 1
		.amdhsa_inst_pref_size 70
		.amdhsa_round_robin_scheduling 0
		.amdhsa_exception_fp_ieee_invalid_op 0
		.amdhsa_exception_fp_denorm_src 0
		.amdhsa_exception_fp_ieee_div_zero 0
		.amdhsa_exception_fp_ieee_overflow 0
		.amdhsa_exception_fp_ieee_underflow 0
		.amdhsa_exception_fp_ieee_inexact 0
		.amdhsa_exception_int_div_zero 0
	.end_amdhsa_kernel
	.section	.text._ZL26rocblas_hemvn_kernel_lowerILb0ELi64ELi4ELi33ELi32ELi16El19rocblas_complex_numIfEPKS1_PS1_EviT6_lT7_lT5_lS6_lS7_lS5_lT8_i,"axG",@progbits,_ZL26rocblas_hemvn_kernel_lowerILb0ELi64ELi4ELi33ELi32ELi16El19rocblas_complex_numIfEPKS1_PS1_EviT6_lT7_lT5_lS6_lS7_lS5_lT8_i,comdat
.Lfunc_end120:
	.size	_ZL26rocblas_hemvn_kernel_lowerILb0ELi64ELi4ELi33ELi32ELi16El19rocblas_complex_numIfEPKS1_PS1_EviT6_lT7_lT5_lS6_lS7_lS5_lT8_i, .Lfunc_end120-_ZL26rocblas_hemvn_kernel_lowerILb0ELi64ELi4ELi33ELi32ELi16El19rocblas_complex_numIfEPKS1_PS1_EviT6_lT7_lT5_lS6_lS7_lS5_lT8_i
                                        ; -- End function
	.set _ZL26rocblas_hemvn_kernel_lowerILb0ELi64ELi4ELi33ELi32ELi16El19rocblas_complex_numIfEPKS1_PS1_EviT6_lT7_lT5_lS6_lS7_lS5_lT8_i.num_vgpr, 139
	.set _ZL26rocblas_hemvn_kernel_lowerILb0ELi64ELi4ELi33ELi32ELi16El19rocblas_complex_numIfEPKS1_PS1_EviT6_lT7_lT5_lS6_lS7_lS5_lT8_i.num_agpr, 0
	.set _ZL26rocblas_hemvn_kernel_lowerILb0ELi64ELi4ELi33ELi32ELi16El19rocblas_complex_numIfEPKS1_PS1_EviT6_lT7_lT5_lS6_lS7_lS5_lT8_i.numbered_sgpr, 92
	.set _ZL26rocblas_hemvn_kernel_lowerILb0ELi64ELi4ELi33ELi32ELi16El19rocblas_complex_numIfEPKS1_PS1_EviT6_lT7_lT5_lS6_lS7_lS5_lT8_i.num_named_barrier, 0
	.set _ZL26rocblas_hemvn_kernel_lowerILb0ELi64ELi4ELi33ELi32ELi16El19rocblas_complex_numIfEPKS1_PS1_EviT6_lT7_lT5_lS6_lS7_lS5_lT8_i.private_seg_size, 0
	.set _ZL26rocblas_hemvn_kernel_lowerILb0ELi64ELi4ELi33ELi32ELi16El19rocblas_complex_numIfEPKS1_PS1_EviT6_lT7_lT5_lS6_lS7_lS5_lT8_i.uses_vcc, 1
	.set _ZL26rocblas_hemvn_kernel_lowerILb0ELi64ELi4ELi33ELi32ELi16El19rocblas_complex_numIfEPKS1_PS1_EviT6_lT7_lT5_lS6_lS7_lS5_lT8_i.uses_flat_scratch, 0
	.set _ZL26rocblas_hemvn_kernel_lowerILb0ELi64ELi4ELi33ELi32ELi16El19rocblas_complex_numIfEPKS1_PS1_EviT6_lT7_lT5_lS6_lS7_lS5_lT8_i.has_dyn_sized_stack, 0
	.set _ZL26rocblas_hemvn_kernel_lowerILb0ELi64ELi4ELi33ELi32ELi16El19rocblas_complex_numIfEPKS1_PS1_EviT6_lT7_lT5_lS6_lS7_lS5_lT8_i.has_recursion, 0
	.set _ZL26rocblas_hemvn_kernel_lowerILb0ELi64ELi4ELi33ELi32ELi16El19rocblas_complex_numIfEPKS1_PS1_EviT6_lT7_lT5_lS6_lS7_lS5_lT8_i.has_indirect_call, 0
	.section	.AMDGPU.csdata,"",@progbits
; Kernel info:
; codeLenInByte = 8928
; TotalNumSgprs: 94
; NumVgprs: 139
; ScratchSize: 0
; MemoryBound: 1
; FloatMode: 240
; IeeeMode: 1
; LDSByteSize: 9600 bytes/workgroup (compile time only)
; SGPRBlocks: 0
; VGPRBlocks: 17
; NumSGPRsForWavesPerEU: 94
; NumVGPRsForWavesPerEU: 139
; Occupancy: 10
; WaveLimiterHint : 1
; COMPUTE_PGM_RSRC2:SCRATCH_EN: 0
; COMPUTE_PGM_RSRC2:USER_SGPR: 2
; COMPUTE_PGM_RSRC2:TRAP_HANDLER: 0
; COMPUTE_PGM_RSRC2:TGID_X_EN: 1
; COMPUTE_PGM_RSRC2:TGID_Y_EN: 0
; COMPUTE_PGM_RSRC2:TGID_Z_EN: 1
; COMPUTE_PGM_RSRC2:TIDIG_COMP_CNT: 1
	.section	.text._ZL26rocblas_hemvn_kernel_lowerILb0ELi64ELi4ELi33ELi32ELi16Ei19rocblas_complex_numIfEPKS1_PS1_EviT6_lT7_lT5_lS6_lS7_lS5_lT8_i,"axG",@progbits,_ZL26rocblas_hemvn_kernel_lowerILb0ELi64ELi4ELi33ELi32ELi16Ei19rocblas_complex_numIfEPKS1_PS1_EviT6_lT7_lT5_lS6_lS7_lS5_lT8_i,comdat
	.globl	_ZL26rocblas_hemvn_kernel_lowerILb0ELi64ELi4ELi33ELi32ELi16Ei19rocblas_complex_numIfEPKS1_PS1_EviT6_lT7_lT5_lS6_lS7_lS5_lT8_i ; -- Begin function _ZL26rocblas_hemvn_kernel_lowerILb0ELi64ELi4ELi33ELi32ELi16Ei19rocblas_complex_numIfEPKS1_PS1_EviT6_lT7_lT5_lS6_lS7_lS5_lT8_i
	.p2align	8
	.type	_ZL26rocblas_hemvn_kernel_lowerILb0ELi64ELi4ELi33ELi32ELi16Ei19rocblas_complex_numIfEPKS1_PS1_EviT6_lT7_lT5_lS6_lS7_lS5_lT8_i,@function
_ZL26rocblas_hemvn_kernel_lowerILb0ELi64ELi4ELi33ELi32ELi16Ei19rocblas_complex_numIfEPKS1_PS1_EviT6_lT7_lT5_lS6_lS7_lS5_lT8_i: ; @_ZL26rocblas_hemvn_kernel_lowerILb0ELi64ELi4ELi33ELi32ELi16Ei19rocblas_complex_numIfEPKS1_PS1_EviT6_lT7_lT5_lS6_lS7_lS5_lT8_i
; %bb.0:
	s_clause 0x1
	s_load_b64 s[2:3], s[0:1], 0x84
	s_load_b32 s19, s[0:1], 0x70
	s_lshr_b32 s28, ttmp7, 16
	s_wait_kmcnt 0x0
	s_lshr_b32 s4, s2, 16
	s_and_b32 s2, s2, 0xffff
	s_and_b32 s3, s3, 0xffff
	s_mul_i32 s2, s4, s2
	s_delay_alu instid0(SALU_CYCLE_1) | instskip(NEXT) | instid1(SALU_CYCLE_1)
	s_mul_i32 s2, s2, s3
	s_cmp_lg_u32 s2, 0x100
	s_cselect_b32 s2, -1, 0
	s_cmp_ge_u32 s28, s19
	s_cselect_b32 s3, -1, 0
	s_delay_alu instid0(SALU_CYCLE_1) | instskip(NEXT) | instid1(SALU_CYCLE_1)
	s_or_b32 s2, s2, s3
	s_and_b32 vcc_lo, exec_lo, s2
	s_cbranch_vccnz .LBB121_104
; %bb.1:
	s_clause 0x6
	s_load_b32 s2, s[0:1], 0x0
	s_load_b32 s74, s[0:1], 0x28
	s_load_b64 s[10:11], s[0:1], 0x4
	s_load_b96 s[16:18], s[0:1], 0x40
	s_load_b128 s[4:7], s[0:1], 0x18
	s_load_b128 s[20:23], s[0:1], 0x50
	;; [unrolled: 1-line block ×3, first 2 shown]
	s_add_nc_u64 s[12:13], s[0:1], 0x78
	s_load_b64 s[8:9], s[0:1], 0x68
	v_dual_mov_b32 v33, 0 :: v_dual_and_b32 v80, 0x3ff, v0
	v_bfe_u32 v13, v0, 10, 10
	s_load_b32 s12, s[12:13], 0x0
	v_and_b32_e32 v1, 31, v0
	s_mov_b32 s29, 0
	v_and_b32_e32 v22, 15, v0
	v_lshl_add_u32 v14, v13, 6, v80
	s_mov_b32 s13, s29
	v_lshlrev_b32_e32 v15, 3, v1
	v_lshlrev_b32_e32 v81, 3, v80
	s_wait_kmcnt 0x0
	s_ashr_i32 s3, s2, 31
	s_ashr_i32 s75, s74, 31
	s_or_b32 s0, s10, s11
	s_lshl_b64 s[10:11], s[16:17], 3
	s_bitset0_b32 s0, 31
	s_lshl_b64 s[6:7], s[6:7], 3
	s_cmp_lg_u32 s0, 0
	v_lshrrev_b32_e32 v7, 5, v14
	s_cselect_b32 s76, -1, 0
	s_cmp_neq_f32 s22, 1.0
	v_lshl_or_b32 v12, v1, 8, v15
	v_and_b32_e32 v17, 0x7fe0, v14
	s_add_nc_u64 s[10:11], s[26:27], s[10:11]
	s_cselect_b32 s44, -1, 0
	s_cmp_neq_f32 s23, 0
	s_mul_i32 s14, s2, ttmp9
	v_add_nc_u32_e32 v87, v12, v17
	v_mul_u32_u24_e32 v12, 33, v1
	s_cselect_b32 s45, -1, 0
	s_lshl_b32 s40, ttmp9, 6
	s_lshr_b32 s1, s3, 26
	v_add_nc_u32_e32 v2, s40, v80
	s_add_co_i32 s1, s2, s1
	s_add_co_i32 s15, s12, -1
	s_and_not1_b32 s1, s1, 63
	s_add_nc_u64 s[4:5], s[4:5], s[6:7]
	v_mad_co_u64_u32 v[3:4], null, s74, v7, v[1:2]
	v_mul_lo_u32 v4, s18, v2
	s_sub_co_i32 s1, s2, s1
	s_cmp_eq_u32 ttmp9, s15
	s_mul_u64 s[26:27], s[12:13], s[2:3]
	s_cselect_b32 s22, s1, 0
	s_mul_i32 s42, s74, s40
	s_cmp_eq_u32 s22, 0
	v_cmp_le_i32_e32 vcc_lo, s22, v80
	v_ashrrev_i32_e32 v5, 31, v4
	s_cselect_b32 s33, -1, 0
	s_cmp_lg_u32 s22, 0
	v_lshlrev_b32_e32 v21, 3, v7
	s_cselect_b32 s1, -1, 0
	v_lshlrev_b64_e32 v[5:6], 3, v[4:5]
	v_ashrrev_i32_e32 v4, 31, v3
	s_and_b32 s1, s1, vcc_lo
	s_ashr_i32 s41, s40, 31
	v_lshlrev_b32_e32 v88, 3, v12
	s_wait_alu 0xfffe
	s_lshl_b64 s[2:3], s[40:41], 3
	v_add_co_u32 v83, vcc_lo, s10, v5
	s_delay_alu instid0(VALU_DEP_1)
	v_add_co_ci_u32_e64 v84, null, s11, v6, vcc_lo
	v_lshlrev_b64_e32 v[5:6], 3, v[3:4]
	s_add_nc_u64 s[2:3], s[4:5], s[2:3]
	s_ashr_i32 s43, s42, 31
	v_lshlrev_b32_e32 v11, 2, v7
	v_add_nc_u32_e32 v90, v88, v21
	s_ashr_i32 s15, s14, 31
	v_add_co_u32 v5, vcc_lo, s2, v5
	s_wait_alu 0xfffd
	v_add_co_ci_u32_e64 v6, null, s3, v6, vcc_lo
	s_lshl_b64 s[2:3], s[42:43], 3
	v_or_b32_e32 v20, 2, v11
	s_wait_alu 0xfffe
	v_add_co_u32 v85, vcc_lo, v5, s2
	s_wait_alu 0xfffd
	v_add_co_ci_u32_e64 v86, null, s3, v6, vcc_lo
	v_sub_co_u32 v5, s3, 0, v1
	s_sub_co_i32 s16, s22, 32
	s_lshl_b64 s[6:7], s[14:15], 3
	v_mul_u32_u24_e32 v16, 0x108, v7
	v_add_nc_u32_e32 v8, 8, v7
	v_sub_co_ci_u32_e64 v6, null, 0, 0, s3
	v_cmp_le_i32_e64 s3, s22, v7
	v_add_nc_u32_e32 v9, 16, v7
	v_add_nc_u32_e32 v10, 24, v7
	v_mul_u32_u24_e32 v19, 0x420, v7
	v_add_nc_u32_e32 v89, 0x2380, v17
	v_cmp_le_i32_e64 s13, s16, v7
	v_cmp_eq_u32_e64 s17, 1, v7
	v_mul_i32_i24_e32 v17, 0xffffffe8, v7
	v_mad_u32_u24 v91, v7, 24, v90
	v_mul_lo_u32 v7, v13, s74
	s_add_nc_u64 s[30:31], s[8:9], s[6:7]
	v_or_b32_e32 v18, 1, v11
	v_cmp_lt_u32_e64 s7, v11, v1
	v_or_b32_e32 v11, 3, v11
	v_cmp_lt_u32_e64 s9, v20, v1
	v_lshrrev_b32_e32 v20, 4, v14
	s_mul_i32 s40, s18, s40
	v_cmp_le_i32_e64 s5, s22, v9
	v_cmp_lt_u32_e64 s10, v11, v1
	v_or_b32_e32 v11, 32, v1
	v_cmp_le_i32_e64 s15, s16, v9
	v_lshl_add_u32 v7, v7, 2, v80
	v_sub_co_u32 v9, vcc_lo, 0, v3
	v_lshlrev_b32_e32 v3, 5, v20
	s_wait_alu 0xfffe
	s_ashr_i32 s41, s40, 31
	v_and_b32_e32 v0, 48, v0
	v_cmp_gt_i32_e64 s12, s22, v11
	s_wait_alu 0xfffe
	s_sub_nc_u64 s[82:83], 0, s[40:41]
	v_sub_co_u32 v11, s40, 0, v80
	v_cmp_le_i32_e64 s4, s22, v8
	v_cmp_le_i32_e64 s6, s22, v10
	;; [unrolled: 1-line block ×4, first 2 shown]
	s_wait_alu 0xfffd
	v_sub_co_ci_u32_e64 v10, null, 0, v4, vcc_lo
	v_ashrrev_i32_e32 v8, 31, v7
	s_wait_alu 0xf1ff
	v_sub_co_ci_u32_e64 v12, null, 0, 0, s40
	v_mad_u32_u24 v95, 0x218, v22, v3
	v_ashrrev_i32_e32 v3, 31, v2
	s_lshl_b32 s34, s74, 3
	s_lshl_b32 s36, s74, 4
	s_mul_i32 s38, s74, 24
	v_cmp_lt_u32_e64 s8, v18, v1
	v_mul_u32_u24_e32 v18, 0x108, v18
	s_lshl_b32 s78, s74, 5
	v_lshlrev_b32_e32 v0, 3, v0
	v_or_b32_e32 v4, 0x78, v81
	v_mul_i32_i24_e32 v20, 0xffffffe8, v20
	s_ashr_i32 s35, s34, 31
	s_ashr_i32 s37, s36, 31
	;; [unrolled: 1-line block ×5, first 2 shown]
	s_xor_b32 s46, s1, -1
	v_cmp_eq_u32_e64 s0, 0, v13
	s_cmp_gt_i32 ttmp9, 0
	v_lshlrev_b64_e32 v[34:35], 3, v[5:6]
	v_lshlrev_b64_e32 v[36:37], 3, v[9:10]
	v_lshlrev_b64_e32 v[38:39], 3, v[7:8]
	v_lshlrev_b64_e32 v[40:41], 3, v[11:12]
	v_lshlrev_b64_e32 v[42:43], 3, v[2:3]
	v_add_nc_u32_e32 v82, 0x2380, v81
	v_cmp_gt_i32_e64 s2, s22, v1
	v_cmp_gt_u32_e64 s11, 32, v14
	s_cselect_b32 s88, -1, 0
	s_lshl_b32 s89, s18, 6
	v_add_nc_u32_e32 v92, 0x2180, v81
	v_lshl_add_u32 v93, v13, 5, 0x2180
	v_mad_u32_u24 v94, 0x860, v13, v81
	v_cmp_gt_u32_e64 s18, 64, v14
	v_mad_u32_u24 v96, 0x218, v22, v0
	v_mad_u32_u24 v97, 0x218, v22, v4
	;; [unrolled: 1-line block ×3, first 2 shown]
	v_add_nc_u32_e32 v99, 0x2380, v21
	v_cndmask_b32_e64 v100, 0, 1, s76
	v_add_nc_u32_e32 v101, v15, v16
	v_add_nc_u32_e32 v102, v15, v19
	v_add_nc_u32_e32 v103, v15, v18
	v_add_nc_u32_e32 v104, v89, v17
	v_add_nc_u32_e32 v105, v95, v20
	v_lshlrev_b32_e32 v106, 3, v1
	s_sub_nc_u64 s[80:81], 0, s[78:79]
	s_sub_nc_u64 s[84:85], 0, s[42:43]
	s_or_b32 s77, s44, s45
	s_and_b32 s90, s0, s46
	s_lshl_b64 s[40:41], s[74:75], 6
	s_wait_alu 0xfffe
	s_sub_nc_u64 s[42:43], 0, s[22:23]
	s_lshl_b64 s[44:45], s[74:75], 3
	s_lshl_b64 s[46:47], s[74:75], 9
	;; [unrolled: 1-line block ×3, first 2 shown]
	s_mul_u64 s[50:51], s[74:75], 24
	s_mul_u64 s[52:53], s[74:75], 0x90
	;; [unrolled: 1-line block ×10, first 2 shown]
	s_lshl_b64 s[70:71], s[74:75], 8
	s_mul_u64 s[72:73], s[74:75], 0x88
	s_lshl_b64 s[74:75], s[74:75], 7
	s_or_b32 s91, s77, s76
	s_lshl_b64 s[76:77], s[78:79], 3
	s_lshl_b64 s[78:79], s[80:81], 3
	;; [unrolled: 1-line block ×4, first 2 shown]
	s_branch .LBB121_4
.LBB121_2:                              ;   in Loop: Header=BB121_4 Depth=1
	s_wait_alu 0xfffe
	s_or_b32 exec_lo, exec_lo, s86
.LBB121_3:                              ;   in Loop: Header=BB121_4 Depth=1
	s_add_co_i32 s28, s28, 0x10000
	s_delay_alu instid0(SALU_CYCLE_1)
	s_cmp_lt_u32 s28, s19
	s_cbranch_scc0 .LBB121_104
.LBB121_4:                              ; =>This Loop Header: Depth=1
                                        ;     Child Loop BB121_74 Depth 2
	s_and_not1_b32 vcc_lo, exec_lo, s91
	s_wait_alu 0xfffe
	s_cbranch_vccnz .LBB121_3
; %bb.5:                                ;   in Loop: Header=BB121_4 Depth=1
	v_cmp_ne_u32_e32 vcc_lo, 1, v100
	s_cbranch_vccnz .LBB121_3
; %bb.6:                                ;   in Loop: Header=BB121_4 Depth=1
	s_mul_u64 s[84:85], s[20:21], s[28:29]
	s_wait_alu 0xfffe
	s_lshl_b64 s[84:85], s[84:85], 3
	s_wait_alu 0xfffe
	v_add_co_u32 v16, vcc_lo, v83, s84
	s_wait_alu 0xfffd
	v_add_co_ci_u32_e64 v17, null, s85, v84, vcc_lo
	s_and_saveexec_b32 s84, s0
	s_cbranch_execz .LBB121_11
; %bb.7:                                ;   in Loop: Header=BB121_4 Depth=1
	s_and_saveexec_b32 s85, s1
	s_wait_alu 0xfffe
	s_xor_b32 s85, exec_lo, s85
; %bb.8:                                ;   in Loop: Header=BB121_4 Depth=1
	v_mov_b32_e32 v32, v33
	ds_store_b64 v82, v[32:33]
; %bb.9:                                ;   in Loop: Header=BB121_4 Depth=1
	s_wait_alu 0xfffe
	s_and_not1_saveexec_b32 s85, s85
	s_cbranch_execz .LBB121_11
; %bb.10:                               ;   in Loop: Header=BB121_4 Depth=1
	global_load_b64 v[0:1], v[16:17], off
	s_wait_loadcnt 0x0
	ds_store_b64 v82, v[0:1]
.LBB121_11:                             ;   in Loop: Header=BB121_4 Depth=1
	s_wait_alu 0xfffe
	s_or_b32 exec_lo, exec_lo, s84
	s_mul_u64 s[84:85], s[24:25], s[28:29]
	s_wait_alu 0xfffe
	s_lshl_b64 s[84:85], s[84:85], 3
	s_wait_alu 0xfffe
	v_add_co_u32 v0, vcc_lo, v85, s84
	s_wait_alu 0xfffd
	v_add_co_ci_u32_e64 v1, null, s85, v86, vcc_lo
	s_and_not1_b32 vcc_lo, exec_lo, s33
	s_mov_b32 s84, -1
	s_wait_alu 0xfffe
	s_cbranch_vccnz .LBB121_13
; %bb.12:                               ;   in Loop: Header=BB121_4 Depth=1
	s_lshl_b64 s[84:85], s[34:35], 3
	s_wait_alu 0xfffe
	v_add_co_u32 v2, vcc_lo, v0, s84
	s_wait_alu 0xfffd
	v_add_co_ci_u32_e64 v3, null, s85, v1, vcc_lo
	s_mov_b32 s84, 0
	v_add_co_u32 v4, vcc_lo, v2, s40
	s_wait_alu 0xfffd
	v_add_co_ci_u32_e64 v5, null, s41, v3, vcc_lo
	s_delay_alu instid0(VALU_DEP_2) | instskip(SKIP_1) | instid1(VALU_DEP_2)
	v_add_co_u32 v6, vcc_lo, v4, s40
	s_wait_alu 0xfffd
	v_add_co_ci_u32_e64 v7, null, s41, v5, vcc_lo
	s_clause 0x3
	global_load_b64 v[8:9], v[0:1], off
	global_load_b64 v[2:3], v[2:3], off
	;; [unrolled: 1-line block ×4, first 2 shown]
	s_wait_loadcnt 0x3
	ds_store_b64 v101, v[8:9]
	s_wait_loadcnt 0x2
	ds_store_b64 v101, v[2:3] offset:2112
	s_wait_loadcnt 0x1
	ds_store_b64 v101, v[4:5] offset:4224
	;; [unrolled: 2-line block ×3, first 2 shown]
.LBB121_13:                             ;   in Loop: Header=BB121_4 Depth=1
	s_wait_alu 0xfffe
	s_and_not1_b32 vcc_lo, exec_lo, s84
	s_wait_alu 0xfffe
	s_cbranch_vccnz .LBB121_25
; %bb.14:                               ;   in Loop: Header=BB121_4 Depth=1
	s_and_saveexec_b32 s84, s3
	s_wait_alu 0xfffe
	s_xor_b32 s84, exec_lo, s84
; %bb.15:                               ;   in Loop: Header=BB121_4 Depth=1
	v_mov_b32_e32 v32, v33
	ds_store_b64 v101, v[32:33]
; %bb.16:                               ;   in Loop: Header=BB121_4 Depth=1
	s_wait_alu 0xfffe
	s_or_saveexec_b32 s84, s84
	v_add_co_u32 v2, vcc_lo, v0, v34
	s_wait_alu 0xfffd
	v_add_co_ci_u32_e64 v3, null, v1, v35, vcc_lo
	s_lshl_b64 s[86:87], s[22:23], 3
	s_wait_alu 0xfffe
	v_add_co_u32 v2, vcc_lo, v2, s86
	s_wait_alu 0xfffd
	v_add_co_ci_u32_e64 v3, null, s87, v3, vcc_lo
	s_delay_alu instid0(VALU_DEP_2) | instskip(SKIP_1) | instid1(VALU_DEP_2)
	v_add_co_u32 v2, vcc_lo, v2, -8
	s_wait_alu 0xfffd
	v_add_co_ci_u32_e64 v3, null, -1, v3, vcc_lo
	s_delay_alu instid0(VALU_DEP_2) | instskip(NEXT) | instid1(VALU_DEP_2)
	v_cndmask_b32_e64 v2, v2, v0, s2
	v_cndmask_b32_e64 v3, v3, v1, s2
	s_xor_b32 exec_lo, exec_lo, s84
	s_cbranch_execnz .LBB121_86
; %bb.17:                               ;   in Loop: Header=BB121_4 Depth=1
	s_or_b32 exec_lo, exec_lo, s84
	s_and_saveexec_b32 s84, s4
	s_wait_alu 0xfffe
	s_xor_b32 s84, exec_lo, s84
	s_cbranch_execnz .LBB121_87
.LBB121_18:                             ;   in Loop: Header=BB121_4 Depth=1
	s_wait_alu 0xfffe
	s_and_not1_saveexec_b32 s84, s84
	s_cbranch_execnz .LBB121_88
.LBB121_19:                             ;   in Loop: Header=BB121_4 Depth=1
	s_wait_alu 0xfffe
	s_or_b32 exec_lo, exec_lo, s84
	s_and_saveexec_b32 s84, s5
	s_wait_alu 0xfffe
	s_xor_b32 s84, exec_lo, s84
	s_cbranch_execnz .LBB121_89
.LBB121_20:                             ;   in Loop: Header=BB121_4 Depth=1
	s_wait_alu 0xfffe
	s_and_not1_saveexec_b32 s84, s84
	s_cbranch_execnz .LBB121_90
.LBB121_21:                             ;   in Loop: Header=BB121_4 Depth=1
	s_wait_alu 0xfffe
	s_or_b32 exec_lo, exec_lo, s84
	s_and_saveexec_b32 s84, s6
	s_wait_alu 0xfffe
	s_xor_b32 s84, exec_lo, s84
	s_cbranch_execnz .LBB121_91
.LBB121_22:                             ;   in Loop: Header=BB121_4 Depth=1
	s_wait_alu 0xfffe
	s_and_not1_saveexec_b32 s84, s84
	s_cbranch_execz .LBB121_24
.LBB121_23:                             ;   in Loop: Header=BB121_4 Depth=1
	s_lshl_b64 s[86:87], s[38:39], 3
	s_wait_alu 0xfffe
	v_add_co_u32 v4, vcc_lo, v2, s86
	s_wait_alu 0xfffd
	v_add_co_ci_u32_e64 v5, null, s87, v3, vcc_lo
	global_load_b64 v[4:5], v[4:5], off
	s_wait_loadcnt 0x0
	ds_store_b64 v101, v[4:5] offset:6336
.LBB121_24:                             ;   in Loop: Header=BB121_4 Depth=1
	s_wait_alu 0xfffe
	s_or_b32 exec_lo, exec_lo, s84
	v_add_co_u32 v2, vcc_lo, v2, v106
	s_wait_alu 0xfffd
	v_add_co_ci_u32_e64 v3, null, 0, v3, vcc_lo
	s_lshl_b64 s[84:85], s[42:43], 3
	s_wait_alu 0xfffe
	v_add_co_u32 v2, vcc_lo, v2, s84
	s_wait_alu 0xfffd
	v_add_co_ci_u32_e64 v3, null, s85, v3, vcc_lo
	s_delay_alu instid0(VALU_DEP_2) | instskip(SKIP_1) | instid1(VALU_DEP_2)
	v_add_co_u32 v2, vcc_lo, v2, 8
	s_wait_alu 0xfffd
	v_add_co_ci_u32_e64 v3, null, 0, v3, vcc_lo
	s_delay_alu instid0(VALU_DEP_2) | instskip(NEXT) | instid1(VALU_DEP_2)
	v_cndmask_b32_e64 v0, v2, v0, s2
	v_cndmask_b32_e64 v1, v3, v1, s2
.LBB121_25:                             ;   in Loop: Header=BB121_4 Depth=1
	s_wait_dscnt 0x0
	s_barrier_signal -1
	s_barrier_wait -1
	global_inv scope:SCOPE_SE
	s_and_saveexec_b32 s84, s7
	s_cbranch_execnz .LBB121_80
; %bb.26:                               ;   in Loop: Header=BB121_4 Depth=1
	s_wait_alu 0xfffe
	s_or_b32 exec_lo, exec_lo, s84
	s_and_saveexec_b32 s84, s8
	s_cbranch_execnz .LBB121_81
.LBB121_27:                             ;   in Loop: Header=BB121_4 Depth=1
	s_wait_alu 0xfffe
	s_or_b32 exec_lo, exec_lo, s84
	s_and_saveexec_b32 s84, s9
	s_cbranch_execnz .LBB121_82
.LBB121_28:                             ;   in Loop: Header=BB121_4 Depth=1
	s_wait_alu 0xfffe
	s_or_b32 exec_lo, exec_lo, s84
	s_and_saveexec_b32 s84, s10
	s_cbranch_execz .LBB121_30
.LBB121_29:                             ;   in Loop: Header=BB121_4 Depth=1
	ds_load_b64 v[2:3], v103 offset:528
	s_wait_dscnt 0x0
	ds_store_b64 v87, v[2:3] offset:24
.LBB121_30:                             ;   in Loop: Header=BB121_4 Depth=1
	s_wait_alu 0xfffe
	s_or_b32 exec_lo, exec_lo, s84
	s_wait_loadcnt_dscnt 0x0
	s_barrier_signal -1
	s_barrier_wait -1
	global_inv scope:SCOPE_SE
	ds_load_b64 v[14:15], v102
	ds_load_b128 v[2:5], v89
	ds_load_2addr_b64 v[6:9], v103 offset1:33
	ds_load_b128 v[10:13], v89 offset:16
	ds_load_b64 v[18:19], v103 offset:528
	s_wait_loadcnt_dscnt 0x0
	s_barrier_signal -1
	s_barrier_wait -1
	global_inv scope:SCOPE_SE
	v_dual_mov_b32 v45, 0 :: v_dual_mul_f32 v20, v3, v15
	v_dual_mul_f32 v15, v2, v15 :: v_dual_mul_f32 v22, v11, v9
	v_mul_f32_e32 v9, v10, v9
	s_delay_alu instid0(VALU_DEP_3) | instskip(SKIP_1) | instid1(VALU_DEP_4)
	v_fma_f32 v2, v2, v14, -v20
	v_mul_f32_e32 v21, v5, v7
	v_fmac_f32_e32 v15, v3, v14
	s_delay_alu instid0(VALU_DEP_4) | instskip(SKIP_3) | instid1(VALU_DEP_1)
	v_fmac_f32_e32 v9, v11, v8
	v_fma_f32 v10, v10, v8, -v22
	v_dual_add_f32 v2, 0, v2 :: v_dual_mul_f32 v7, v4, v7
	v_fma_f32 v4, v4, v6, -v21
	v_dual_add_f32 v2, v2, v4 :: v_dual_fmac_f32 v7, v5, v6
	v_mul_f32_e32 v6, v12, v19
	v_add_f32_e32 v5, 0, v15
	s_delay_alu instid0(VALU_DEP_3) | instskip(NEXT) | instid1(VALU_DEP_3)
	v_dual_mul_f32 v3, v13, v19 :: v_dual_add_f32 v2, v2, v10
	v_fmac_f32_e32 v6, v13, v18
	s_delay_alu instid0(VALU_DEP_3) | instskip(NEXT) | instid1(VALU_DEP_3)
	v_add_f32_e32 v4, v5, v7
	v_fma_f32 v3, v12, v18, -v3
	s_delay_alu instid0(VALU_DEP_2) | instskip(SKIP_1) | instid1(VALU_DEP_2)
	v_add_f32_e32 v4, v4, v9
	v_mov_b32_e32 v44, 0
	v_dual_add_f32 v2, v2, v3 :: v_dual_add_f32 v3, v4, v6
	ds_store_b64 v90, v[2:3]
	s_wait_loadcnt_dscnt 0x0
	s_barrier_signal -1
	s_barrier_wait -1
	global_inv scope:SCOPE_SE
	s_and_saveexec_b32 s84, s11
	s_cbranch_execz .LBB121_32
; %bb.31:                               ;   in Loop: Header=BB121_4 Depth=1
	ds_load_2addr_b64 v[2:5], v88 offset1:7
	ds_load_2addr_b64 v[6:9], v88 offset0:1 offset1:2
	ds_load_2addr_b64 v[10:13], v88 offset0:3 offset1:4
	ds_load_2addr_b64 v[18:21], v88 offset0:5 offset1:6
	s_wait_dscnt 0x2
	v_dual_add_f32 v2, v6, v2 :: v_dual_add_f32 v3, v7, v3
	s_delay_alu instid0(VALU_DEP_1) | instskip(SKIP_1) | instid1(VALU_DEP_1)
	v_dual_add_f32 v2, v8, v2 :: v_dual_add_f32 v3, v9, v3
	s_wait_dscnt 0x1
	v_dual_add_f32 v2, v2, v10 :: v_dual_add_f32 v3, v3, v11
	s_delay_alu instid0(VALU_DEP_1) | instskip(SKIP_1) | instid1(VALU_DEP_1)
	v_dual_add_f32 v2, v2, v12 :: v_dual_add_f32 v3, v3, v13
	s_wait_dscnt 0x0
	v_dual_add_f32 v2, v2, v18 :: v_dual_add_f32 v3, v3, v19
	s_delay_alu instid0(VALU_DEP_1) | instskip(NEXT) | instid1(VALU_DEP_1)
	v_dual_add_f32 v2, v2, v20 :: v_dual_add_f32 v3, v3, v21
	v_dual_add_f32 v44, v2, v4 :: v_dual_add_f32 v45, v3, v5
.LBB121_32:                             ;   in Loop: Header=BB121_4 Depth=1
	s_wait_alu 0xfffe
	s_or_b32 exec_lo, exec_lo, s84
	v_add_co_u32 v0, vcc_lo, v0, s76
	s_wait_alu 0xfffd
	v_add_co_ci_u32_e64 v1, null, s77, v1, vcc_lo
	s_and_not1_b32 vcc_lo, exec_lo, s33
	s_mov_b32 s84, -1
	s_wait_loadcnt 0x0
	s_barrier_signal -1
	s_barrier_wait -1
	global_inv scope:SCOPE_SE
	s_wait_alu 0xfffe
	s_cbranch_vccnz .LBB121_34
; %bb.33:                               ;   in Loop: Header=BB121_4 Depth=1
	s_lshl_b64 s[84:85], s[34:35], 3
	s_wait_alu 0xfffe
	v_add_co_u32 v2, vcc_lo, v0, s84
	s_wait_alu 0xfffd
	v_add_co_ci_u32_e64 v3, null, s85, v1, vcc_lo
	s_mov_b32 s84, 0
	v_add_co_u32 v4, vcc_lo, v2, s40
	s_wait_alu 0xfffd
	v_add_co_ci_u32_e64 v5, null, s41, v3, vcc_lo
	s_delay_alu instid0(VALU_DEP_2) | instskip(SKIP_1) | instid1(VALU_DEP_2)
	v_add_co_u32 v6, vcc_lo, v4, s40
	s_wait_alu 0xfffd
	v_add_co_ci_u32_e64 v7, null, s41, v5, vcc_lo
	s_clause 0x3
	global_load_b64 v[8:9], v[0:1], off offset:256
	global_load_b64 v[2:3], v[2:3], off offset:256
	;; [unrolled: 1-line block ×4, first 2 shown]
	s_wait_loadcnt 0x3
	ds_store_b64 v101, v[8:9]
	s_wait_loadcnt 0x2
	ds_store_b64 v101, v[2:3] offset:2112
	s_wait_loadcnt 0x1
	ds_store_b64 v101, v[4:5] offset:4224
	;; [unrolled: 2-line block ×3, first 2 shown]
.LBB121_34:                             ;   in Loop: Header=BB121_4 Depth=1
	v_add_co_u32 v2, vcc_lo, 0x100, v0
	s_wait_alu 0xfffd
	v_add_co_ci_u32_e64 v3, null, 0, v1, vcc_lo
	s_wait_alu 0xfffe
	s_and_not1_b32 vcc_lo, exec_lo, s84
	s_wait_alu 0xfffe
	s_cbranch_vccnz .LBB121_46
; %bb.35:                               ;   in Loop: Header=BB121_4 Depth=1
	s_and_saveexec_b32 s84, s13
	s_wait_alu 0xfffe
	s_xor_b32 s84, exec_lo, s84
; %bb.36:                               ;   in Loop: Header=BB121_4 Depth=1
	v_mov_b32_e32 v32, v33
	ds_store_b64 v101, v[32:33]
; %bb.37:                               ;   in Loop: Header=BB121_4 Depth=1
	s_wait_alu 0xfffe
	s_or_saveexec_b32 s84, s84
	v_add_co_u32 v0, vcc_lo, v0, v34
	s_wait_alu 0xfffd
	v_add_co_ci_u32_e64 v1, null, v1, v35, vcc_lo
	s_lshl_b64 s[86:87], s[22:23], 3
	s_wait_alu 0xfffe
	v_add_co_u32 v0, vcc_lo, v0, s86
	s_wait_alu 0xfffd
	v_add_co_ci_u32_e64 v1, null, s87, v1, vcc_lo
	s_delay_alu instid0(VALU_DEP_2) | instskip(SKIP_1) | instid1(VALU_DEP_2)
	v_add_co_u32 v0, vcc_lo, v0, -8
	s_wait_alu 0xfffd
	v_add_co_ci_u32_e64 v1, null, -1, v1, vcc_lo
	s_delay_alu instid0(VALU_DEP_2) | instskip(NEXT) | instid1(VALU_DEP_2)
	v_cndmask_b32_e64 v0, v0, v2, s12
	v_cndmask_b32_e64 v1, v1, v3, s12
	s_xor_b32 exec_lo, exec_lo, s84
	s_cbranch_execnz .LBB121_92
; %bb.38:                               ;   in Loop: Header=BB121_4 Depth=1
	s_or_b32 exec_lo, exec_lo, s84
	s_and_saveexec_b32 s84, s14
	s_wait_alu 0xfffe
	s_xor_b32 s84, exec_lo, s84
	s_cbranch_execnz .LBB121_93
.LBB121_39:                             ;   in Loop: Header=BB121_4 Depth=1
	s_wait_alu 0xfffe
	s_and_not1_saveexec_b32 s84, s84
	s_cbranch_execnz .LBB121_94
.LBB121_40:                             ;   in Loop: Header=BB121_4 Depth=1
	s_wait_alu 0xfffe
	s_or_b32 exec_lo, exec_lo, s84
	s_and_saveexec_b32 s84, s15
	s_wait_alu 0xfffe
	s_xor_b32 s84, exec_lo, s84
	s_cbranch_execnz .LBB121_95
.LBB121_41:                             ;   in Loop: Header=BB121_4 Depth=1
	s_wait_alu 0xfffe
	s_and_not1_saveexec_b32 s84, s84
	s_cbranch_execnz .LBB121_96
.LBB121_42:                             ;   in Loop: Header=BB121_4 Depth=1
	s_wait_alu 0xfffe
	s_or_b32 exec_lo, exec_lo, s84
	s_and_saveexec_b32 s84, s16
	s_wait_alu 0xfffe
	s_xor_b32 s84, exec_lo, s84
	s_cbranch_execnz .LBB121_97
.LBB121_43:                             ;   in Loop: Header=BB121_4 Depth=1
	s_wait_alu 0xfffe
	s_and_not1_saveexec_b32 s84, s84
	s_cbranch_execz .LBB121_45
.LBB121_44:                             ;   in Loop: Header=BB121_4 Depth=1
	s_lshl_b64 s[86:87], s[38:39], 3
	s_wait_alu 0xfffe
	v_add_co_u32 v4, vcc_lo, v0, s86
	s_wait_alu 0xfffd
	v_add_co_ci_u32_e64 v5, null, s87, v1, vcc_lo
	global_load_b64 v[4:5], v[4:5], off
	s_wait_loadcnt 0x0
	ds_store_b64 v101, v[4:5] offset:6336
.LBB121_45:                             ;   in Loop: Header=BB121_4 Depth=1
	s_wait_alu 0xfffe
	s_or_b32 exec_lo, exec_lo, s84
	v_add_co_u32 v0, vcc_lo, v0, v106
	s_wait_alu 0xfffd
	v_add_co_ci_u32_e64 v1, null, 0, v1, vcc_lo
	s_lshl_b64 s[84:85], s[42:43], 3
	s_wait_alu 0xfffe
	v_add_co_u32 v0, vcc_lo, v0, s84
	s_wait_alu 0xfffd
	v_add_co_ci_u32_e64 v1, null, s85, v1, vcc_lo
	s_delay_alu instid0(VALU_DEP_2) | instskip(SKIP_1) | instid1(VALU_DEP_2)
	v_add_co_u32 v0, vcc_lo, 0x108, v0
	s_wait_alu 0xfffd
	v_add_co_ci_u32_e64 v1, null, 0, v1, vcc_lo
	s_delay_alu instid0(VALU_DEP_2) | instskip(NEXT) | instid1(VALU_DEP_2)
	v_cndmask_b32_e64 v2, v0, v2, s12
	v_cndmask_b32_e64 v3, v1, v3, s12
.LBB121_46:                             ;   in Loop: Header=BB121_4 Depth=1
	s_wait_loadcnt_dscnt 0x0
	s_barrier_signal -1
	s_barrier_wait -1
	global_inv scope:SCOPE_SE
	s_and_saveexec_b32 s84, s7
	s_cbranch_execnz .LBB121_83
; %bb.47:                               ;   in Loop: Header=BB121_4 Depth=1
	s_wait_alu 0xfffe
	s_or_b32 exec_lo, exec_lo, s84
	s_and_saveexec_b32 s84, s8
	s_cbranch_execnz .LBB121_84
.LBB121_48:                             ;   in Loop: Header=BB121_4 Depth=1
	s_wait_alu 0xfffe
	s_or_b32 exec_lo, exec_lo, s84
	s_and_saveexec_b32 s84, s9
	s_cbranch_execnz .LBB121_85
.LBB121_49:                             ;   in Loop: Header=BB121_4 Depth=1
	s_wait_alu 0xfffe
	s_or_b32 exec_lo, exec_lo, s84
	s_and_saveexec_b32 s84, s10
	s_cbranch_execz .LBB121_51
.LBB121_50:                             ;   in Loop: Header=BB121_4 Depth=1
	ds_load_b64 v[0:1], v103 offset:528
	s_wait_dscnt 0x0
	ds_store_b64 v87, v[0:1] offset:24
.LBB121_51:                             ;   in Loop: Header=BB121_4 Depth=1
	s_wait_alu 0xfffe
	s_or_b32 exec_lo, exec_lo, s84
	s_wait_loadcnt_dscnt 0x0
	s_barrier_signal -1
	s_barrier_wait -1
	global_inv scope:SCOPE_SE
	ds_load_b64 v[0:1], v102
	ds_load_b128 v[4:7], v89 offset:256
	ds_load_2addr_b64 v[8:11], v103 offset1:33
	ds_load_b128 v[12:15], v89 offset:272
	ds_load_b64 v[18:19], v103 offset:528
	s_wait_loadcnt_dscnt 0x0
	s_barrier_signal -1
	s_barrier_wait -1
	global_inv scope:SCOPE_SE
	v_mul_f32_e32 v20, v5, v1
	v_dual_mul_f32 v1, v4, v1 :: v_dual_mul_f32 v22, v13, v11
	v_mul_f32_e32 v11, v12, v11
	s_delay_alu instid0(VALU_DEP_3) | instskip(SKIP_3) | instid1(VALU_DEP_4)
	v_fma_f32 v4, v4, v0, -v20
	v_mul_f32_e32 v21, v7, v9
	v_mul_f32_e32 v9, v6, v9
	v_dual_fmac_f32 v1, v5, v0 :: v_dual_mul_f32 v0, v15, v19
	v_add_f32_e32 v4, 0, v4
	s_delay_alu instid0(VALU_DEP_4) | instskip(NEXT) | instid1(VALU_DEP_4)
	v_fma_f32 v5, v6, v8, -v21
	v_dual_fmac_f32 v9, v7, v8 :: v_dual_mul_f32 v6, v14, v19
	s_delay_alu instid0(VALU_DEP_4) | instskip(SKIP_1) | instid1(VALU_DEP_4)
	v_add_f32_e32 v1, 0, v1
	v_fma_f32 v7, v12, v10, -v22
	v_dual_add_f32 v4, v4, v5 :: v_dual_fmac_f32 v11, v13, v10
	v_fma_f32 v0, v14, v18, -v0
	v_fmac_f32_e32 v6, v15, v18
	s_delay_alu instid0(VALU_DEP_3) | instskip(NEXT) | instid1(VALU_DEP_1)
	v_dual_add_f32 v4, v4, v7 :: v_dual_add_f32 v1, v1, v9
	v_dual_add_f32 v0, v4, v0 :: v_dual_add_f32 v1, v1, v11
	s_delay_alu instid0(VALU_DEP_1)
	v_add_f32_e32 v1, v1, v6
	ds_store_b64 v90, v[0:1]
	s_wait_loadcnt_dscnt 0x0
	s_barrier_signal -1
	s_barrier_wait -1
	global_inv scope:SCOPE_SE
	s_and_saveexec_b32 s84, s17
	s_cbranch_execz .LBB121_53
; %bb.52:                               ;   in Loop: Header=BB121_4 Depth=1
	ds_load_2addr_b64 v[4:7], v88 offset1:7
	ds_load_2addr_b64 v[8:11], v88 offset0:1 offset1:2
	ds_load_2addr_b64 v[12:15], v88 offset0:3 offset1:4
	;; [unrolled: 1-line block ×3, first 2 shown]
	s_wait_dscnt 0x2
	v_dual_add_f32 v0, v8, v4 :: v_dual_add_f32 v1, v9, v5
	s_delay_alu instid0(VALU_DEP_1) | instskip(SKIP_1) | instid1(VALU_DEP_1)
	v_dual_add_f32 v0, v10, v0 :: v_dual_add_f32 v1, v11, v1
	s_wait_dscnt 0x1
	v_dual_add_f32 v0, v0, v12 :: v_dual_add_f32 v1, v1, v13
	s_delay_alu instid0(VALU_DEP_1) | instskip(SKIP_1) | instid1(VALU_DEP_1)
	v_dual_add_f32 v0, v0, v14 :: v_dual_add_f32 v1, v1, v15
	s_wait_dscnt 0x0
	v_dual_add_f32 v0, v0, v18 :: v_dual_add_f32 v1, v1, v19
	s_delay_alu instid0(VALU_DEP_1) | instskip(NEXT) | instid1(VALU_DEP_1)
	v_dual_add_f32 v0, v0, v20 :: v_dual_add_f32 v1, v1, v21
	v_dual_add_f32 v44, v0, v6 :: v_dual_add_f32 v45, v1, v7
.LBB121_53:                             ;   in Loop: Header=BB121_4 Depth=1
	s_wait_alu 0xfffe
	s_or_b32 exec_lo, exec_lo, s84
	v_add_co_u32 v18, vcc_lo, v2, s78
	s_wait_alu 0xfffd
	v_add_co_ci_u32_e64 v19, null, s79, v3, vcc_lo
	s_and_not1_b32 vcc_lo, exec_lo, s33
	s_mov_b32 s84, -1
	s_wait_loadcnt 0x0
	s_barrier_signal -1
	s_barrier_wait -1
	global_inv scope:SCOPE_SE
	s_wait_alu 0xfffe
	s_cbranch_vccnz .LBB121_55
; %bb.54:                               ;   in Loop: Header=BB121_4 Depth=1
	s_lshl_b64 s[84:85], s[34:35], 3
	s_wait_alu 0xfffe
	v_add_co_u32 v0, vcc_lo, v18, s84
	s_wait_alu 0xfffd
	v_add_co_ci_u32_e64 v1, null, s85, v19, vcc_lo
	s_mov_b32 s84, 0
	v_add_co_u32 v2, vcc_lo, v0, s40
	s_wait_alu 0xfffd
	v_add_co_ci_u32_e64 v3, null, s41, v1, vcc_lo
	s_delay_alu instid0(VALU_DEP_2) | instskip(SKIP_1) | instid1(VALU_DEP_2)
	v_add_co_u32 v4, vcc_lo, v2, s40
	s_wait_alu 0xfffd
	v_add_co_ci_u32_e64 v5, null, s41, v3, vcc_lo
	s_clause 0x3
	global_load_b64 v[6:7], v[18:19], off
	global_load_b64 v[0:1], v[0:1], off
	;; [unrolled: 1-line block ×4, first 2 shown]
	s_wait_loadcnt 0x3
	ds_store_b64 v101, v[6:7]
	s_wait_loadcnt 0x2
	ds_store_b64 v101, v[0:1] offset:2112
	s_wait_loadcnt 0x1
	ds_store_b64 v101, v[2:3] offset:4224
	;; [unrolled: 2-line block ×3, first 2 shown]
.LBB121_55:                             ;   in Loop: Header=BB121_4 Depth=1
	s_wait_alu 0xfffe
	s_and_not1_b32 vcc_lo, exec_lo, s84
	s_wait_alu 0xfffe
	s_cbranch_vccnz .LBB121_67
; %bb.56:                               ;   in Loop: Header=BB121_4 Depth=1
	s_and_saveexec_b32 s84, s3
	s_wait_alu 0xfffe
	s_xor_b32 s84, exec_lo, s84
; %bb.57:                               ;   in Loop: Header=BB121_4 Depth=1
	v_mov_b32_e32 v32, v33
	ds_store_b64 v101, v[32:33]
; %bb.58:                               ;   in Loop: Header=BB121_4 Depth=1
	s_wait_alu 0xfffe
	s_or_saveexec_b32 s84, s84
	v_add_co_u32 v0, vcc_lo, v18, v34
	s_wait_alu 0xfffd
	v_add_co_ci_u32_e64 v1, null, v19, v35, vcc_lo
	s_lshl_b64 s[86:87], s[22:23], 3
	s_wait_alu 0xfffe
	v_add_co_u32 v0, vcc_lo, v0, s86
	s_wait_alu 0xfffd
	v_add_co_ci_u32_e64 v1, null, s87, v1, vcc_lo
	s_delay_alu instid0(VALU_DEP_2) | instskip(SKIP_1) | instid1(VALU_DEP_2)
	v_add_co_u32 v0, vcc_lo, 0xfffffef8, v0
	s_wait_alu 0xfffd
	v_add_co_ci_u32_e64 v1, null, -1, v1, vcc_lo
	s_delay_alu instid0(VALU_DEP_2) | instskip(NEXT) | instid1(VALU_DEP_2)
	v_cndmask_b32_e64 v0, v0, v18, s12
	v_cndmask_b32_e64 v1, v1, v19, s12
	s_xor_b32 exec_lo, exec_lo, s84
	s_cbranch_execnz .LBB121_98
; %bb.59:                               ;   in Loop: Header=BB121_4 Depth=1
	s_or_b32 exec_lo, exec_lo, s84
	s_and_saveexec_b32 s84, s4
	s_wait_alu 0xfffe
	s_xor_b32 s84, exec_lo, s84
	s_cbranch_execnz .LBB121_99
.LBB121_60:                             ;   in Loop: Header=BB121_4 Depth=1
	s_wait_alu 0xfffe
	s_and_not1_saveexec_b32 s84, s84
	s_cbranch_execnz .LBB121_100
.LBB121_61:                             ;   in Loop: Header=BB121_4 Depth=1
	s_wait_alu 0xfffe
	s_or_b32 exec_lo, exec_lo, s84
	s_and_saveexec_b32 s84, s5
	s_wait_alu 0xfffe
	s_xor_b32 s84, exec_lo, s84
	s_cbranch_execnz .LBB121_101
.LBB121_62:                             ;   in Loop: Header=BB121_4 Depth=1
	s_wait_alu 0xfffe
	s_and_not1_saveexec_b32 s84, s84
	s_cbranch_execnz .LBB121_102
.LBB121_63:                             ;   in Loop: Header=BB121_4 Depth=1
	s_wait_alu 0xfffe
	s_or_b32 exec_lo, exec_lo, s84
	s_and_saveexec_b32 s84, s6
	s_wait_alu 0xfffe
	s_xor_b32 s84, exec_lo, s84
	s_cbranch_execnz .LBB121_103
.LBB121_64:                             ;   in Loop: Header=BB121_4 Depth=1
	s_wait_alu 0xfffe
	s_and_not1_saveexec_b32 s84, s84
	s_cbranch_execz .LBB121_66
.LBB121_65:                             ;   in Loop: Header=BB121_4 Depth=1
	s_lshl_b64 s[86:87], s[38:39], 3
	s_wait_alu 0xfffe
	v_add_co_u32 v2, vcc_lo, v0, s86
	s_wait_alu 0xfffd
	v_add_co_ci_u32_e64 v3, null, s87, v1, vcc_lo
	global_load_b64 v[2:3], v[2:3], off
	s_wait_loadcnt 0x0
	ds_store_b64 v101, v[2:3] offset:6336
.LBB121_66:                             ;   in Loop: Header=BB121_4 Depth=1
	s_wait_alu 0xfffe
	s_or_b32 exec_lo, exec_lo, s84
	v_add_co_u32 v0, vcc_lo, v0, v106
	s_wait_alu 0xfffd
	v_add_co_ci_u32_e64 v1, null, 0, v1, vcc_lo
	s_lshl_b64 s[84:85], s[42:43], 3
	s_wait_alu 0xfffe
	v_add_co_u32 v0, vcc_lo, v0, s84
	s_wait_alu 0xfffd
	v_add_co_ci_u32_e64 v1, null, s85, v1, vcc_lo
	s_delay_alu instid0(VALU_DEP_2) | instskip(SKIP_1) | instid1(VALU_DEP_2)
	v_add_co_u32 v0, vcc_lo, 0x108, v0
	s_wait_alu 0xfffd
	v_add_co_ci_u32_e64 v1, null, 0, v1, vcc_lo
	s_delay_alu instid0(VALU_DEP_2) | instskip(NEXT) | instid1(VALU_DEP_2)
	v_cndmask_b32_e64 v18, v0, v18, s12
	v_cndmask_b32_e64 v19, v1, v19, s12
.LBB121_67:                             ;   in Loop: Header=BB121_4 Depth=1
	s_wait_loadcnt_dscnt 0x0
	s_barrier_signal -1
	s_barrier_wait -1
	global_inv scope:SCOPE_SE
	ds_load_b64 v[24:25], v104
	ds_load_b64 v[26:27], v101
	ds_load_b64 v[28:29], v101 offset:2112
	ds_load_2addr_b64 v[20:23], v99 offset0:8 offset1:16
	ds_load_b64 v[30:31], v101 offset:6336
	ds_load_b64 v[46:47], v101 offset:4224
	;; [unrolled: 1-line block ×3, first 2 shown]
	ds_load_b128 v[8:11], v89 offset:256
	ds_load_b128 v[0:3], v89 offset:272
	ds_load_2addr_b64 v[12:15], v91 offset1:1
	ds_load_2addr_b64 v[4:7], v91 offset0:2 offset1:3
	s_wait_loadcnt_dscnt 0x0
	s_barrier_signal -1
	s_barrier_wait -1
	global_inv scope:SCOPE_SE
	v_mul_f32_e32 v32, v25, v27
	v_dual_mul_f32 v27, v24, v27 :: v_dual_mul_f32 v50, v21, v29
	v_mul_f32_e32 v29, v20, v29
	s_delay_alu instid0(VALU_DEP_3) | instskip(SKIP_1) | instid1(VALU_DEP_4)
	v_fma_f32 v24, v24, v26, -v32
	v_mul_f32_e32 v52, v49, v31
	v_dual_fmac_f32 v27, v25, v26 :: v_dual_mul_f32 v26, v48, v31
	v_fma_f32 v20, v20, v28, -v50
	v_fmac_f32_e32 v29, v21, v28
	v_add_f32_e32 v21, 0, v24
	v_mul_f32_e32 v51, v23, v47
	v_dual_mul_f32 v25, v22, v47 :: v_dual_fmac_f32 v26, v49, v30
	v_add_f32_e32 v24, 0, v27
	s_delay_alu instid0(VALU_DEP_4) | instskip(NEXT) | instid1(VALU_DEP_4)
	v_add_f32_e32 v20, v21, v20
	v_fma_f32 v22, v22, v46, -v51
	s_delay_alu instid0(VALU_DEP_3) | instskip(NEXT) | instid1(VALU_DEP_2)
	v_add_f32_e32 v21, v24, v29
	v_add_f32_e32 v20, v20, v22
	v_fmac_f32_e32 v25, v23, v46
	v_fma_f32 v23, v48, v30, -v52
	s_delay_alu instid0(VALU_DEP_1) | instskip(NEXT) | instid1(VALU_DEP_1)
	v_dual_add_f32 v20, v20, v23 :: v_dual_add_f32 v21, v21, v25
	v_add_f32_e32 v21, v21, v26
	ds_store_b64 v90, v[20:21]
	s_wait_loadcnt_dscnt 0x0
	s_barrier_signal -1
	s_barrier_wait -1
	global_inv scope:SCOPE_SE
	s_and_saveexec_b32 s84, s17
	s_cbranch_execz .LBB121_69
; %bb.68:                               ;   in Loop: Header=BB121_4 Depth=1
	ds_load_2addr_b64 v[20:23], v88 offset1:1
	ds_load_2addr_b64 v[24:27], v88 offset0:2 offset1:3
	ds_load_2addr_b64 v[28:31], v88 offset0:4 offset1:5
	s_wait_dscnt 0x2
	v_dual_add_f32 v20, v44, v20 :: v_dual_add_f32 v21, v45, v21
	s_delay_alu instid0(VALU_DEP_1) | instskip(SKIP_1) | instid1(VALU_DEP_1)
	v_add_f32_e32 v44, v21, v23
	s_wait_dscnt 0x1
	v_add_f32_e32 v25, v44, v25
	s_delay_alu instid0(VALU_DEP_3) | instskip(SKIP_3) | instid1(VALU_DEP_1)
	v_add_f32_e32 v32, v20, v22
	ds_load_2addr_b64 v[20:23], v88 offset0:6 offset1:7
	v_dual_add_f32 v25, v25, v27 :: v_dual_add_f32 v24, v32, v24
	s_wait_dscnt 0x1
	v_dual_add_f32 v25, v25, v29 :: v_dual_add_f32 v24, v24, v26
	s_delay_alu instid0(VALU_DEP_1) | instskip(SKIP_1) | instid1(VALU_DEP_1)
	v_dual_add_f32 v25, v25, v31 :: v_dual_add_f32 v24, v24, v28
	s_wait_dscnt 0x0
	v_dual_add_f32 v21, v25, v21 :: v_dual_add_f32 v24, v24, v30
	s_delay_alu instid0(VALU_DEP_1) | instskip(NEXT) | instid1(VALU_DEP_1)
	v_dual_add_f32 v45, v21, v23 :: v_dual_add_f32 v20, v24, v20
	v_add_f32_e32 v44, v20, v22
.LBB121_69:                             ;   in Loop: Header=BB121_4 Depth=1
	s_wait_alu 0xfffe
	s_or_b32 exec_lo, exec_lo, s84
	v_dual_mul_f32 v20, v9, v13 :: v_dual_mul_f32 v21, v11, v15
	v_mul_f32_e32 v13, v8, v13
	v_dual_mul_f32 v15, v10, v15 :: v_dual_mul_f32 v22, v1, v5
	s_delay_alu instid0(VALU_DEP_3) | instskip(NEXT) | instid1(VALU_DEP_4)
	v_fma_f32 v8, v8, v12, -v20
	v_fma_f32 v10, v10, v14, -v21
	v_mul_f32_e32 v5, v0, v5
	s_delay_alu instid0(VALU_DEP_4)
	v_fmac_f32_e32 v15, v11, v14
	v_fma_f32 v0, v0, v4, -v22
	v_add_f32_e32 v8, 0, v8
	v_fmac_f32_e32 v13, v9, v12
	v_fmac_f32_e32 v5, v1, v4
	s_wait_loadcnt 0x0
	s_barrier_signal -1
	v_dual_add_f32 v8, v8, v10 :: v_dual_mul_f32 v9, v3, v7
	v_mul_f32_e32 v7, v2, v7
	s_barrier_wait -1
	global_inv scope:SCOPE_SE
	v_add_f32_e32 v0, v8, v0
	v_fma_f32 v2, v2, v6, -v9
	v_add_f32_e32 v11, 0, v13
	v_fmac_f32_e32 v7, v3, v6
	s_delay_alu instid0(VALU_DEP_2) | instskip(NEXT) | instid1(VALU_DEP_1)
	v_dual_add_f32 v0, v0, v2 :: v_dual_add_f32 v1, v11, v15
	v_add_f32_e32 v1, v1, v5
	s_delay_alu instid0(VALU_DEP_1)
	v_add_f32_e32 v1, v1, v7
	ds_store_b64 v90, v[0:1]
	s_wait_loadcnt_dscnt 0x0
	s_barrier_signal -1
	s_barrier_wait -1
	global_inv scope:SCOPE_SE
	s_and_saveexec_b32 s84, s11
	s_cbranch_execz .LBB121_71
; %bb.70:                               ;   in Loop: Header=BB121_4 Depth=1
	ds_load_2addr_b64 v[0:3], v88 offset1:1
	ds_load_2addr_b64 v[4:7], v88 offset0:2 offset1:3
	ds_load_2addr_b64 v[8:11], v88 offset0:4 offset1:5
	s_wait_dscnt 0x2
	v_dual_add_f32 v0, v44, v0 :: v_dual_add_f32 v1, v45, v1
	s_delay_alu instid0(VALU_DEP_1) | instskip(SKIP_3) | instid1(VALU_DEP_1)
	v_dual_add_f32 v12, v0, v2 :: v_dual_add_f32 v13, v1, v3
	ds_load_2addr_b64 v[0:3], v88 offset0:6 offset1:7
	s_wait_dscnt 0x2
	v_dual_add_f32 v4, v12, v4 :: v_dual_add_f32 v5, v13, v5
	v_dual_add_f32 v4, v4, v6 :: v_dual_add_f32 v5, v5, v7
	s_wait_dscnt 0x1
	s_delay_alu instid0(VALU_DEP_1) | instskip(NEXT) | instid1(VALU_DEP_1)
	v_dual_add_f32 v4, v4, v8 :: v_dual_add_f32 v5, v5, v9
	v_dual_add_f32 v4, v4, v10 :: v_dual_add_f32 v5, v5, v11
	s_wait_dscnt 0x0
	s_delay_alu instid0(VALU_DEP_1) | instskip(NEXT) | instid1(VALU_DEP_1)
	v_dual_add_f32 v0, v4, v0 :: v_dual_add_f32 v1, v5, v1
	v_dual_add_f32 v44, v0, v2 :: v_dual_add_f32 v45, v1, v3
.LBB121_71:                             ;   in Loop: Header=BB121_4 Depth=1
	s_wait_alu 0xfffe
	s_or_b32 exec_lo, exec_lo, s84
	s_mul_u64 s[84:85], s[26:27], s[28:29]
	s_and_not1_b32 vcc_lo, exec_lo, s88
	s_wait_alu 0xfffe
	s_lshl_b64 s[84:85], s[84:85], 3
	s_wait_loadcnt 0x0
	s_wait_alu 0xfffe
	s_add_nc_u64 s[84:85], s[30:31], s[84:85]
	s_barrier_signal -1
	s_barrier_wait -1
	global_inv scope:SCOPE_SE
	s_cbranch_vccnz .LBB121_78
; %bb.72:                               ;   in Loop: Header=BB121_4 Depth=1
	v_add_co_u32 v0, vcc_lo, v18, s82
	s_wait_alu 0xfffd
	v_add_co_ci_u32_e64 v1, null, s83, v19, vcc_lo
	s_lshl_b64 s[86:87], s[22:23], 3
	v_add_co_u32 v0, vcc_lo, v0, v36
	s_wait_alu 0xfffd
	v_add_co_ci_u32_e64 v1, null, v1, v37, vcc_lo
	v_mov_b32_e32 v32, v80
	s_delay_alu instid0(VALU_DEP_3) | instskip(SKIP_1) | instid1(VALU_DEP_3)
	v_add_co_u32 v0, vcc_lo, v0, v38
	s_wait_alu 0xfffd
	v_add_co_ci_u32_e64 v1, null, v1, v39, vcc_lo
	s_mov_b32 s92, ttmp9
	v_add_co_u32 v2, vcc_lo, v0, v40
	s_wait_alu 0xfffd
	v_add_co_ci_u32_e64 v3, null, v1, v41, vcc_lo
	s_wait_alu 0xfffe
	s_delay_alu instid0(VALU_DEP_2) | instskip(SKIP_1) | instid1(VALU_DEP_2)
	v_add_co_u32 v2, vcc_lo, v2, s86
	s_wait_alu 0xfffd
	v_add_co_ci_u32_e64 v3, null, s87, v3, vcc_lo
	v_add_co_u32 v0, vcc_lo, 0xffffff00, v0
	s_wait_alu 0xfffd
	v_add_co_ci_u32_e64 v1, null, -1, v1, vcc_lo
	v_add_co_u32 v2, vcc_lo, 0xfffffef8, v2
	s_wait_alu 0xfffd
	v_add_co_ci_u32_e64 v3, null, -1, v3, vcc_lo
	v_add_co_u32 v107, vcc_lo, v16, s80
	s_wait_alu 0xfffd
	v_add_co_ci_u32_e64 v108, null, s81, v17, vcc_lo
	s_delay_alu instid0(VALU_DEP_3)
	v_cndmask_b32_e64 v47, v1, v3, s1
	v_cndmask_b32_e64 v46, v0, v2, s1
	s_mov_b32 s86, 0
	s_branch .LBB121_74
.LBB121_73:                             ;   in Loop: Header=BB121_74 Depth=2
	s_wait_alu 0xfffe
	s_or_b32 exec_lo, exec_lo, s87
	v_dual_mul_f32 v109, v5, v49 :: v_dual_mul_f32 v110, v7, v55
	v_mul_f32_e32 v7, v7, v54
	v_add_co_u32 v46, vcc_lo, v46, s46
	s_wait_alu 0xfffd
	v_add_co_ci_u32_e64 v47, null, s47, v47, vcc_lo
	v_fma_f32 v54, v6, v54, -v110
	v_mul_f32_e32 v5, v5, v48
	v_fma_f32 v48, v4, v48, -v109
	v_mul_f32_e32 v109, v3, v51
	v_dual_mul_f32 v3, v3, v50 :: v_dual_add_nc_u32 v32, 64, v32
	s_add_co_i32 s92, s92, -1
	s_delay_alu instid0(VALU_DEP_3) | instskip(NEXT) | instid1(VALU_DEP_3)
	v_dual_add_f32 v44, v44, v48 :: v_dual_fmac_f32 v7, v6, v55
	v_fma_f32 v6, v2, v50, -v109
	v_mul_f32_e32 v48, v13, v63
	s_delay_alu instid0(VALU_DEP_3)
	v_dual_fmac_f32 v3, v2, v51 :: v_dual_add_f32 v44, v44, v54
	v_mul_f32_e32 v111, v1, v53
	v_fmac_f32_e32 v5, v4, v49
	s_add_co_i32 s86, s86, s89
	s_cmp_eq_u32 s92, 0
	s_wait_loadcnt 0x0
	s_wait_storecnt 0x0
	v_fma_f32 v4, v0, v52, -v111
	s_barrier_signal -1
	s_barrier_wait -1
	global_inv scope:SCOPE_SE
	v_add_f32_e32 v4, v44, v4
	s_delay_alu instid0(VALU_DEP_1) | instskip(SKIP_3) | instid1(VALU_DEP_4)
	v_dual_mul_f32 v1, v1, v52 :: v_dual_add_f32 v4, v4, v6
	v_mul_f32_e32 v6, v9, v59
	v_add_f32_e32 v5, v45, v5
	v_mul_f32_e32 v49, v15, v61
	v_fmac_f32_e32 v1, v0, v53
	s_delay_alu instid0(VALU_DEP_3) | instskip(SKIP_1) | instid1(VALU_DEP_2)
	v_dual_mul_f32 v15, v15, v60 :: v_dual_add_f32 v0, v5, v7
	v_fma_f32 v5, v12, v62, -v48
	v_dual_mul_f32 v13, v13, v62 :: v_dual_add_f32 v0, v0, v1
	v_fma_f32 v1, v14, v60, -v49
	s_delay_alu instid0(VALU_DEP_3) | instskip(SKIP_1) | instid1(VALU_DEP_4)
	v_add_f32_e32 v2, v4, v5
	v_mul_f32_e32 v4, v11, v57
	v_dual_mul_f32 v5, v11, v56 :: v_dual_add_f32 v0, v0, v3
	v_fma_f32 v3, v8, v58, -v6
	s_delay_alu instid0(VALU_DEP_4) | instskip(SKIP_3) | instid1(VALU_DEP_4)
	v_dual_add_f32 v1, v2, v1 :: v_dual_mul_f32 v2, v9, v58
	v_fmac_f32_e32 v13, v12, v63
	v_fma_f32 v4, v10, v56, -v4
	v_dual_fmac_f32 v5, v10, v57 :: v_dual_mul_f32 v6, v31, v72
	v_fmac_f32_e32 v2, v8, v59
	v_add_f32_e32 v1, v1, v3
	v_fmac_f32_e32 v15, v14, v61
	s_delay_alu instid0(VALU_DEP_4) | instskip(NEXT) | instid1(VALU_DEP_3)
	v_dual_mul_f32 v3, v17, v71 :: v_dual_fmac_f32 v6, v30, v73
	v_dual_add_f32 v1, v1, v4 :: v_dual_mul_f32 v4, v19, v69
	v_add_f32_e32 v0, v0, v13
	s_delay_alu instid0(VALU_DEP_3) | instskip(NEXT) | instid1(VALU_DEP_2)
	v_fma_f32 v3, v16, v70, -v3
	v_add_f32_e32 v0, v0, v15
	s_delay_alu instid0(VALU_DEP_1) | instskip(SKIP_1) | instid1(VALU_DEP_2)
	v_add_f32_e32 v0, v0, v2
	v_mul_f32_e32 v2, v17, v70
	v_add_f32_e32 v0, v0, v5
	s_delay_alu instid0(VALU_DEP_2) | instskip(NEXT) | instid1(VALU_DEP_1)
	v_dual_fmac_f32 v2, v16, v71 :: v_dual_mul_f32 v5, v19, v68
	v_dual_add_f32 v0, v0, v2 :: v_dual_fmac_f32 v5, v18, v69
	v_mul_f32_e32 v2, v21, v66
	v_add_f32_e32 v1, v1, v3
	v_fma_f32 v3, v18, v68, -v4
	v_mul_f32_e32 v4, v21, v67
	v_add_f32_e32 v0, v0, v5
	v_dual_fmac_f32 v2, v20, v67 :: v_dual_mul_f32 v5, v23, v64
	s_delay_alu instid0(VALU_DEP_4) | instskip(NEXT) | instid1(VALU_DEP_4)
	v_add_f32_e32 v1, v1, v3
	v_fma_f32 v3, v20, v66, -v4
	v_mul_f32_e32 v4, v23, v65
	s_delay_alu instid0(VALU_DEP_4) | instskip(NEXT) | instid1(VALU_DEP_3)
	v_dual_add_f32 v0, v0, v2 :: v_dual_fmac_f32 v5, v22, v65
	v_add_f32_e32 v1, v1, v3
	s_delay_alu instid0(VALU_DEP_3) | instskip(SKIP_1) | instid1(VALU_DEP_4)
	v_fma_f32 v3, v22, v64, -v4
	v_mul_f32_e32 v4, v25, v79
	v_dual_add_f32 v0, v0, v5 :: v_dual_mul_f32 v5, v29, v75
	s_delay_alu instid0(VALU_DEP_3) | instskip(SKIP_1) | instid1(VALU_DEP_4)
	v_add_f32_e32 v1, v1, v3
	v_mul_f32_e32 v3, v27, v77
	v_fma_f32 v2, v24, v78, -v4
	v_mul_f32_e32 v4, v25, v78
	s_delay_alu instid0(VALU_DEP_1) | instskip(NEXT) | instid1(VALU_DEP_1)
	v_fmac_f32_e32 v4, v24, v79
	v_dual_add_f32 v0, v0, v4 :: v_dual_add_f32 v1, v1, v2
	v_fma_f32 v2, v26, v76, -v3
	v_mul_f32_e32 v3, v27, v76
	v_fma_f32 v4, v28, v74, -v5
	s_delay_alu instid0(VALU_DEP_3) | instskip(NEXT) | instid1(VALU_DEP_3)
	v_add_f32_e32 v1, v1, v2
	v_dual_mul_f32 v2, v29, v74 :: v_dual_fmac_f32 v3, v26, v77
	s_delay_alu instid0(VALU_DEP_1) | instskip(NEXT) | instid1(VALU_DEP_2)
	v_dual_fmac_f32 v2, v28, v75 :: v_dual_mul_f32 v5, v31, v73
	v_dual_add_f32 v0, v0, v3 :: v_dual_add_f32 v1, v1, v4
	s_delay_alu instid0(VALU_DEP_2) | instskip(NEXT) | instid1(VALU_DEP_2)
	v_fma_f32 v3, v30, v72, -v5
	v_add_f32_e32 v0, v0, v2
	s_delay_alu instid0(VALU_DEP_1)
	v_dual_add_f32 v44, v1, v3 :: v_dual_add_f32 v45, v0, v6
	s_cbranch_scc1 .LBB121_78
.LBB121_74:                             ;   Parent Loop BB121_4 Depth=1
                                        ; =>  This Inner Loop Header: Depth=2
	s_and_saveexec_b32 s93, s0
	s_cbranch_execz .LBB121_76
; %bb.75:                               ;   in Loop: Header=BB121_74 Depth=2
	s_wait_alu 0xfffe
	s_ashr_i32 s87, s86, 31
	s_wait_alu 0xfffe
	s_lshl_b64 s[94:95], s[86:87], 3
	s_wait_alu 0xfffe
	v_add_co_u32 v0, vcc_lo, v107, s94
	s_wait_alu 0xfffd
	v_add_co_ci_u32_e64 v1, null, s95, v108, vcc_lo
	global_load_b64 v[0:1], v[0:1], off
	s_wait_loadcnt 0x0
	ds_store_b64 v92, v[0:1]
.LBB121_76:                             ;   in Loop: Header=BB121_74 Depth=2
	s_or_b32 exec_lo, exec_lo, s93
	v_add_co_u32 v0, vcc_lo, v46, s44
	s_wait_alu 0xfffd
	v_add_co_ci_u32_e64 v1, null, s45, v47, vcc_lo
	v_add_co_u32 v2, vcc_lo, v46, s48
	s_wait_loadcnt_dscnt 0x0
	s_barrier_signal -1
	s_barrier_wait -1
	global_inv scope:SCOPE_SE
	global_load_b64 v[48:49], v[46:47], off
	s_wait_alu 0xfffd
	v_add_co_ci_u32_e64 v3, null, s49, v47, vcc_lo
	v_add_co_u32 v4, vcc_lo, v46, s50
	s_wait_alu 0xfffd
	v_add_co_ci_u32_e64 v5, null, s51, v47, vcc_lo
	s_clause 0x2
	global_load_b64 v[54:55], v[0:1], off
	global_load_b64 v[52:53], v[2:3], off
	;; [unrolled: 1-line block ×3, first 2 shown]
	ds_load_b64 v[8:9], v82
	ds_load_b128 v[4:7], v93
	ds_load_b128 v[0:3], v93 offset:16
	v_add_co_u32 v10, vcc_lo, v46, s74
	s_wait_alu 0xfffd
	v_add_co_ci_u32_e64 v11, null, s75, v47, vcc_lo
	v_add_co_u32 v14, vcc_lo, v46, s72
	s_wait_alu 0xfffd
	v_add_co_ci_u32_e64 v15, null, s73, v47, vcc_lo
	s_wait_loadcnt_dscnt 0x302
	v_mul_f32_e32 v13, v9, v48
	v_mul_f32_e32 v12, v9, v49
	s_wait_loadcnt 0x2
	s_delay_alu instid0(VALU_DEP_2)
	v_dual_fmac_f32 v13, v8, v49 :: v_dual_mul_f32 v16, v9, v55
	v_mul_f32_e32 v17, v9, v54
	s_wait_loadcnt 0x1
	v_mul_f32_e32 v18, v9, v53
	v_mul_f32_e32 v19, v9, v52
	s_wait_loadcnt 0x0
	v_mul_f32_e32 v20, v9, v51
	v_mul_f32_e32 v21, v8, v51
	v_fma_f32 v12, v8, v48, -v12
	v_fma_f32 v16, v8, v54, -v16
	v_fmac_f32_e32 v17, v8, v55
	v_fma_f32 v18, v8, v52, -v18
	v_fmac_f32_e32 v19, v8, v53
	;; [unrolled: 2-line block ×3, first 2 shown]
	v_add_co_u32 v8, vcc_lo, v46, s52
	s_wait_alu 0xfffd
	v_add_co_ci_u32_e64 v9, null, s53, v47, vcc_lo
	ds_store_2addr_b64 v94, v[12:13], v[16:17] offset1:67
	ds_store_2addr_b64 v94, v[18:19], v[20:21] offset0:134 offset1:201
	s_wait_dscnt 0x0
	s_barrier_signal -1
	s_barrier_wait -1
	global_inv scope:SCOPE_SE
	ds_load_2addr_b64 v[109:112], v95 offset1:1
	ds_load_2addr_b64 v[113:116], v95 offset0:2 offset1:3
	s_wait_loadcnt_dscnt 0x0
	s_barrier_signal -1
	s_barrier_wait -1
	global_inv scope:SCOPE_SE
	global_load_b64 v[62:63], v[10:11], off
	v_add_co_u32 v10, vcc_lo, v46, s54
	s_wait_alu 0xfffd
	v_add_co_ci_u32_e64 v11, null, s55, v47, vcc_lo
	s_clause 0x2
	global_load_b64 v[60:61], v[14:15], off
	global_load_b64 v[58:59], v[8:9], off
	;; [unrolled: 1-line block ×3, first 2 shown]
	ds_load_b64 v[8:9], v82
	ds_load_b128 v[12:15], v93 offset:128
	v_add_co_u32 v16, vcc_lo, v46, s70
	s_wait_alu 0xfffd
	v_add_co_ci_u32_e64 v17, null, s71, v47, vcc_lo
	v_add_co_u32 v18, vcc_lo, v46, s68
	s_wait_alu 0xfffd
	v_add_co_ci_u32_e64 v19, null, s69, v47, vcc_lo
	;; [unrolled: 3-line block ×3, first 2 shown]
	v_dual_add_f32 v110, 0, v110 :: v_dual_add_f32 v109, 0, v109
	s_delay_alu instid0(VALU_DEP_1) | instskip(NEXT) | instid1(VALU_DEP_1)
	v_dual_add_f32 v110, v110, v112 :: v_dual_add_f32 v109, v109, v111
	v_dual_add_f32 v114, v110, v114 :: v_dual_add_f32 v113, v109, v113
	s_delay_alu instid0(VALU_DEP_1)
	v_dual_add_f32 v114, v114, v116 :: v_dual_add_f32 v113, v113, v115
	s_wait_loadcnt_dscnt 0x301
	v_mul_f32_e32 v21, v9, v62
	v_mul_f32_e32 v10, v9, v63
	s_wait_loadcnt 0x2
	v_mul_f32_e32 v11, v9, v61
	v_mul_f32_e32 v23, v9, v60
	s_wait_loadcnt 0x1
	;; [unrolled: 3-line block ×3, first 2 shown]
	v_dual_mul_f32 v26, v9, v57 :: v_dual_fmac_f32 v21, v8, v63
	v_mul_f32_e32 v27, v8, v57
	v_fma_f32 v20, v8, v62, -v10
	v_fma_f32 v22, v8, v60, -v11
	v_fmac_f32_e32 v23, v8, v61
	v_fma_f32 v24, v8, v58, -v24
	v_fmac_f32_e32 v25, v8, v59
	;; [unrolled: 2-line block ×3, first 2 shown]
	ds_load_b128 v[8:11], v93 offset:144
	ds_store_2addr_b64 v94, v[20:21], v[22:23] offset1:67
	ds_store_2addr_b64 v94, v[24:25], v[26:27] offset0:134 offset1:201
	s_wait_dscnt 0x0
	s_barrier_signal -1
	s_barrier_wait -1
	global_inv scope:SCOPE_SE
	ds_load_2addr_b64 v[117:120], v95 offset1:1
	ds_load_2addr_b64 v[121:124], v95 offset0:2 offset1:3
	s_wait_loadcnt_dscnt 0x0
	s_barrier_signal -1
	s_barrier_wait -1
	global_inv scope:SCOPE_SE
	global_load_b64 v[70:71], v[16:17], off
	v_add_co_u32 v16, vcc_lo, v46, s58
	s_wait_alu 0xfffd
	v_add_co_ci_u32_e64 v17, null, s59, v47, vcc_lo
	s_clause 0x2
	global_load_b64 v[68:69], v[18:19], off
	global_load_b64 v[66:67], v[28:29], off
	;; [unrolled: 1-line block ×3, first 2 shown]
	ds_load_b64 v[20:21], v82
	ds_load_b128 v[16:19], v93 offset:256
	v_add_co_u32 v24, vcc_lo, v46, s66
	s_wait_alu 0xfffd
	v_add_co_ci_u32_e64 v25, null, s67, v47, vcc_lo
	v_add_co_u32 v26, vcc_lo, v46, s64
	v_add_f32_e32 v117, 0, v117
	s_wait_alu 0xfffd
	v_add_co_ci_u32_e64 v27, null, s65, v47, vcc_lo
	v_add_co_u32 v133, vcc_lo, v46, s60
	s_delay_alu instid0(VALU_DEP_3) | instskip(SKIP_3) | instid1(VALU_DEP_1)
	v_add_f32_e32 v117, v117, v119
	s_wait_alu 0xfffd
	v_add_co_ci_u32_e64 v134, null, s61, v47, vcc_lo
	v_add_f32_e32 v118, 0, v118
	v_dual_add_f32 v116, v117, v121 :: v_dual_add_f32 v115, v118, v120
	s_delay_alu instid0(VALU_DEP_1) | instskip(NEXT) | instid1(VALU_DEP_1)
	v_add_f32_e32 v119, v115, v122
	v_dual_add_f32 v115, v116, v123 :: v_dual_add_f32 v116, v119, v124
	s_wait_loadcnt_dscnt 0x301
	v_mul_f32_e32 v22, v21, v71
	v_mul_f32_e32 v29, v21, v70
	s_wait_loadcnt 0x2
	v_mul_f32_e32 v23, v21, v69
	v_mul_f32_e32 v31, v21, v68
	s_wait_loadcnt 0x1
	;; [unrolled: 3-line block ×3, first 2 shown]
	v_mul_f32_e32 v74, v21, v65
	v_mul_f32_e32 v75, v20, v65
	v_fma_f32 v28, v20, v70, -v22
	v_fmac_f32_e32 v29, v20, v71
	v_fma_f32 v30, v20, v68, -v23
	v_fmac_f32_e32 v31, v20, v69
	;; [unrolled: 2-line block ×4, first 2 shown]
	ds_load_b128 v[20:23], v93 offset:272
	ds_store_2addr_b64 v94, v[28:29], v[30:31] offset1:67
	ds_store_2addr_b64 v94, v[72:73], v[74:75] offset0:134 offset1:201
	s_wait_dscnt 0x0
	s_barrier_signal -1
	s_barrier_wait -1
	global_inv scope:SCOPE_SE
	ds_load_2addr_b64 v[125:128], v95 offset1:1
	ds_load_2addr_b64 v[129:132], v95 offset0:2 offset1:3
	s_wait_loadcnt_dscnt 0x0
	s_barrier_signal -1
	s_barrier_wait -1
	global_inv scope:SCOPE_SE
	global_load_b64 v[78:79], v[24:25], off
	v_add_co_u32 v24, vcc_lo, v46, s62
	s_wait_alu 0xfffd
	v_add_co_ci_u32_e64 v25, null, s63, v47, vcc_lo
	s_clause 0x2
	global_load_b64 v[76:77], v[26:27], off
	global_load_b64 v[74:75], v[133:134], off
	;; [unrolled: 1-line block ×3, first 2 shown]
	ds_load_b64 v[28:29], v82
	ds_load_b128 v[24:27], v93 offset:384
	v_dual_add_f32 v118, 0, v126 :: v_dual_add_f32 v117, 0, v125
	s_delay_alu instid0(VALU_DEP_1) | instskip(NEXT) | instid1(VALU_DEP_1)
	v_dual_add_f32 v118, v118, v128 :: v_dual_add_f32 v117, v117, v127
	v_dual_add_f32 v118, v118, v130 :: v_dual_add_f32 v117, v117, v129
	s_wait_loadcnt_dscnt 0x301
	v_mul_f32_e32 v30, v29, v79
	v_mul_f32_e32 v134, v29, v78
	s_wait_loadcnt 0x2
	v_mul_f32_e32 v31, v29, v77
	s_wait_loadcnt 0x1
	;; [unrolled: 2-line block ×3, first 2 shown]
	v_mul_f32_e32 v140, v28, v73
	v_mul_f32_e32 v136, v29, v76
	;; [unrolled: 1-line block ×4, first 2 shown]
	v_fma_f32 v133, v28, v78, -v30
	v_fmac_f32_e32 v140, v29, v72
	v_fma_f32 v135, v28, v76, -v31
	v_fmac_f32_e32 v134, v28, v79
	v_fmac_f32_e32 v136, v28, v77
	v_fma_f32 v137, v28, v74, -v137
	v_fmac_f32_e32 v138, v28, v75
	v_fma_f32 v139, v28, v72, -v139
	ds_load_b128 v[28:31], v93 offset:400
	ds_store_2addr_b64 v94, v[133:134], v[135:136] offset1:67
	ds_store_2addr_b64 v94, v[137:138], v[139:140] offset0:134 offset1:201
	s_wait_dscnt 0x0
	s_barrier_signal -1
	s_barrier_wait -1
	global_inv scope:SCOPE_SE
	ds_load_2addr_b64 v[133:136], v95 offset1:1
	ds_load_2addr_b64 v[109:112], v95 offset0:2 offset1:3
	s_wait_loadcnt_dscnt 0x0
	s_barrier_signal -1
	s_barrier_wait -1
	global_inv scope:SCOPE_SE
	v_dual_add_f32 v120, 0, v133 :: v_dual_add_f32 v121, 0, v134
	s_delay_alu instid0(VALU_DEP_1) | instskip(NEXT) | instid1(VALU_DEP_1)
	v_dual_add_f32 v120, v120, v135 :: v_dual_add_f32 v121, v121, v136
	v_dual_add_f32 v119, v120, v109 :: v_dual_add_f32 v120, v121, v110
	;; [unrolled: 1-line block ×3, first 2 shown]
	s_delay_alu instid0(VALU_DEP_2)
	v_dual_add_f32 v111, v119, v111 :: v_dual_add_f32 v112, v120, v112
	ds_store_2addr_b64 v105, v[113:114], v[115:116] offset1:16
	ds_store_2addr_b64 v105, v[109:110], v[111:112] offset0:32 offset1:48
	s_wait_loadcnt_dscnt 0x0
	s_barrier_signal -1
	s_barrier_wait -1
	global_inv scope:SCOPE_SE
	s_and_saveexec_b32 s87, s18
	s_cbranch_execz .LBB121_73
; %bb.77:                               ;   in Loop: Header=BB121_74 Depth=2
	ds_load_b64 v[121:122], v96
	ds_load_2addr_b64 v[109:112], v96 offset0:1 offset1:2
	ds_load_2addr_b64 v[113:116], v96 offset0:3 offset1:4
	;; [unrolled: 1-line block ×3, first 2 shown]
	s_wait_dscnt 0x2
	v_dual_add_f32 v109, v109, v121 :: v_dual_add_f32 v110, v110, v122
	s_delay_alu instid0(VALU_DEP_1) | instskip(SKIP_3) | instid1(VALU_DEP_1)
	v_dual_add_f32 v121, v111, v109 :: v_dual_add_f32 v122, v112, v110
	ds_load_2addr_b64 v[109:112], v96 offset0:7 offset1:8
	s_wait_dscnt 0x2
	v_dual_add_f32 v113, v121, v113 :: v_dual_add_f32 v114, v122, v114
	v_dual_add_f32 v121, v113, v115 :: v_dual_add_f32 v122, v114, v116
	ds_load_2addr_b64 v[113:116], v96 offset0:9 offset1:10
	s_wait_dscnt 0x2
	v_dual_add_f32 v117, v121, v117 :: v_dual_add_f32 v118, v122, v118
	s_delay_alu instid0(VALU_DEP_1) | instskip(SKIP_3) | instid1(VALU_DEP_1)
	v_dual_add_f32 v121, v117, v119 :: v_dual_add_f32 v122, v118, v120
	ds_load_2addr_b64 v[117:120], v96 offset0:11 offset1:12
	s_wait_dscnt 0x2
	v_dual_add_f32 v109, v121, v109 :: v_dual_add_f32 v110, v122, v110
	v_dual_add_f32 v121, v109, v111 :: v_dual_add_f32 v122, v110, v112
	ds_load_2addr_b64 v[109:112], v96 offset0:13 offset1:14
	s_wait_dscnt 0x2
	v_dual_add_f32 v113, v121, v113 :: v_dual_add_f32 v114, v122, v114
	s_delay_alu instid0(VALU_DEP_1) | instskip(SKIP_3) | instid1(VALU_DEP_1)
	v_dual_add_f32 v115, v113, v115 :: v_dual_add_f32 v116, v114, v116
	ds_load_b64 v[113:114], v97
	s_wait_dscnt 0x2
	v_dual_add_f32 v115, v115, v117 :: v_dual_add_f32 v116, v116, v118
	v_dual_add_f32 v115, v115, v119 :: v_dual_add_f32 v116, v116, v120
	s_wait_dscnt 0x1
	s_delay_alu instid0(VALU_DEP_1) | instskip(NEXT) | instid1(VALU_DEP_1)
	v_dual_add_f32 v109, v115, v109 :: v_dual_add_f32 v110, v116, v110
	v_dual_add_f32 v111, v109, v111 :: v_dual_add_f32 v112, v110, v112
	v_lshlrev_b64_e32 v[109:110], 3, v[32:33]
	s_wait_dscnt 0x0
	s_delay_alu instid0(VALU_DEP_2) | instskip(NEXT) | instid1(VALU_DEP_2)
	v_dual_add_f32 v111, v111, v113 :: v_dual_add_f32 v112, v112, v114
	v_add_co_u32 v109, vcc_lo, s84, v109
	s_wait_alu 0xfffd
	s_delay_alu instid0(VALU_DEP_3)
	v_add_co_ci_u32_e64 v110, null, s85, v110, vcc_lo
	global_store_b64 v[109:110], v[111:112], off
	s_branch .LBB121_73
.LBB121_78:                             ;   in Loop: Header=BB121_4 Depth=1
	ds_store_b64 v98, v[44:45]
	s_wait_loadcnt_dscnt 0x0
	s_barrier_signal -1
	s_barrier_wait -1
	global_inv scope:SCOPE_SE
	s_and_saveexec_b32 s86, s90
	s_cbranch_execz .LBB121_2
; %bb.79:                               ;   in Loop: Header=BB121_4 Depth=1
	ds_load_2addr_b64 v[0:3], v81 offset1:67
	ds_load_2addr_b64 v[4:7], v81 offset0:134 offset1:201
	s_wait_dscnt 0x1
	v_dual_add_f32 v0, v2, v0 :: v_dual_add_f32 v1, v3, v1
	s_wait_alu 0xfffe
	v_add_co_u32 v2, vcc_lo, s84, v42
	s_wait_alu 0xfffd
	v_add_co_ci_u32_e64 v3, null, s85, v43, vcc_lo
	s_wait_dscnt 0x0
	v_dual_add_f32 v0, v4, v0 :: v_dual_add_f32 v1, v5, v1
	s_delay_alu instid0(VALU_DEP_1)
	v_dual_add_f32 v0, v0, v6 :: v_dual_add_f32 v1, v1, v7
	global_store_b64 v[2:3], v[0:1], off
	s_branch .LBB121_2
.LBB121_80:                             ;   in Loop: Header=BB121_4 Depth=1
	ds_load_b64 v[2:3], v102
	s_wait_dscnt 0x0
	ds_store_b64 v87, v[2:3]
	s_wait_alu 0xfffe
	s_or_b32 exec_lo, exec_lo, s84
	s_and_saveexec_b32 s84, s8
	s_cbranch_execz .LBB121_27
.LBB121_81:                             ;   in Loop: Header=BB121_4 Depth=1
	ds_load_b64 v[2:3], v103
	s_wait_dscnt 0x0
	ds_store_b64 v87, v[2:3] offset:8
	s_wait_alu 0xfffe
	s_or_b32 exec_lo, exec_lo, s84
	s_and_saveexec_b32 s84, s9
	s_cbranch_execz .LBB121_28
.LBB121_82:                             ;   in Loop: Header=BB121_4 Depth=1
	ds_load_b64 v[2:3], v103 offset:264
	s_wait_dscnt 0x0
	ds_store_b64 v87, v[2:3] offset:16
	s_wait_alu 0xfffe
	s_or_b32 exec_lo, exec_lo, s84
	s_and_saveexec_b32 s84, s10
	s_cbranch_execnz .LBB121_29
	s_branch .LBB121_30
.LBB121_83:                             ;   in Loop: Header=BB121_4 Depth=1
	ds_load_b64 v[0:1], v102
	s_wait_dscnt 0x0
	ds_store_b64 v87, v[0:1]
	s_wait_alu 0xfffe
	s_or_b32 exec_lo, exec_lo, s84
	s_and_saveexec_b32 s84, s8
	s_cbranch_execz .LBB121_48
.LBB121_84:                             ;   in Loop: Header=BB121_4 Depth=1
	ds_load_b64 v[0:1], v103
	s_wait_dscnt 0x0
	ds_store_b64 v87, v[0:1] offset:8
	s_wait_alu 0xfffe
	s_or_b32 exec_lo, exec_lo, s84
	s_and_saveexec_b32 s84, s9
	s_cbranch_execz .LBB121_49
.LBB121_85:                             ;   in Loop: Header=BB121_4 Depth=1
	ds_load_b64 v[0:1], v103 offset:264
	s_wait_dscnt 0x0
	ds_store_b64 v87, v[0:1] offset:16
	s_wait_alu 0xfffe
	s_or_b32 exec_lo, exec_lo, s84
	s_and_saveexec_b32 s84, s10
	s_cbranch_execnz .LBB121_50
	s_branch .LBB121_51
.LBB121_86:                             ;   in Loop: Header=BB121_4 Depth=1
	global_load_b64 v[4:5], v[2:3], off
	s_wait_loadcnt 0x0
	ds_store_b64 v101, v[4:5]
	s_or_b32 exec_lo, exec_lo, s84
	s_and_saveexec_b32 s84, s4
	s_wait_alu 0xfffe
	s_xor_b32 s84, exec_lo, s84
	s_cbranch_execz .LBB121_18
.LBB121_87:                             ;   in Loop: Header=BB121_4 Depth=1
	v_mov_b32_e32 v32, v33
	ds_store_b64 v101, v[32:33] offset:2112
	s_wait_alu 0xfffe
	s_and_not1_saveexec_b32 s84, s84
	s_cbranch_execz .LBB121_19
.LBB121_88:                             ;   in Loop: Header=BB121_4 Depth=1
	s_lshl_b64 s[86:87], s[34:35], 3
	s_wait_alu 0xfffe
	v_add_co_u32 v4, vcc_lo, v2, s86
	s_wait_alu 0xfffd
	v_add_co_ci_u32_e64 v5, null, s87, v3, vcc_lo
	global_load_b64 v[4:5], v[4:5], off
	s_wait_loadcnt 0x0
	ds_store_b64 v101, v[4:5] offset:2112
	s_or_b32 exec_lo, exec_lo, s84
	s_and_saveexec_b32 s84, s5
	s_wait_alu 0xfffe
	s_xor_b32 s84, exec_lo, s84
	s_cbranch_execz .LBB121_20
.LBB121_89:                             ;   in Loop: Header=BB121_4 Depth=1
	v_mov_b32_e32 v32, v33
	ds_store_b64 v101, v[32:33] offset:4224
	s_wait_alu 0xfffe
	s_and_not1_saveexec_b32 s84, s84
	s_cbranch_execz .LBB121_21
.LBB121_90:                             ;   in Loop: Header=BB121_4 Depth=1
	s_lshl_b64 s[86:87], s[36:37], 3
	s_wait_alu 0xfffe
	v_add_co_u32 v4, vcc_lo, v2, s86
	s_wait_alu 0xfffd
	v_add_co_ci_u32_e64 v5, null, s87, v3, vcc_lo
	global_load_b64 v[4:5], v[4:5], off
	s_wait_loadcnt 0x0
	ds_store_b64 v101, v[4:5] offset:4224
	s_or_b32 exec_lo, exec_lo, s84
	s_and_saveexec_b32 s84, s6
	s_wait_alu 0xfffe
	s_xor_b32 s84, exec_lo, s84
	s_cbranch_execz .LBB121_22
.LBB121_91:                             ;   in Loop: Header=BB121_4 Depth=1
	v_mov_b32_e32 v32, v33
	ds_store_b64 v101, v[32:33] offset:6336
	s_wait_alu 0xfffe
	s_and_not1_saveexec_b32 s84, s84
	s_cbranch_execnz .LBB121_23
	s_branch .LBB121_24
.LBB121_92:                             ;   in Loop: Header=BB121_4 Depth=1
	global_load_b64 v[4:5], v[0:1], off
	s_wait_loadcnt 0x0
	ds_store_b64 v101, v[4:5]
	s_or_b32 exec_lo, exec_lo, s84
	s_and_saveexec_b32 s84, s14
	s_wait_alu 0xfffe
	s_xor_b32 s84, exec_lo, s84
	s_cbranch_execz .LBB121_39
.LBB121_93:                             ;   in Loop: Header=BB121_4 Depth=1
	v_mov_b32_e32 v32, v33
	ds_store_b64 v101, v[32:33] offset:2112
	s_wait_alu 0xfffe
	s_and_not1_saveexec_b32 s84, s84
	s_cbranch_execz .LBB121_40
.LBB121_94:                             ;   in Loop: Header=BB121_4 Depth=1
	s_lshl_b64 s[86:87], s[34:35], 3
	s_wait_alu 0xfffe
	v_add_co_u32 v4, vcc_lo, v0, s86
	s_wait_alu 0xfffd
	v_add_co_ci_u32_e64 v5, null, s87, v1, vcc_lo
	global_load_b64 v[4:5], v[4:5], off
	s_wait_loadcnt 0x0
	ds_store_b64 v101, v[4:5] offset:2112
	s_or_b32 exec_lo, exec_lo, s84
	s_and_saveexec_b32 s84, s15
	s_wait_alu 0xfffe
	s_xor_b32 s84, exec_lo, s84
	s_cbranch_execz .LBB121_41
.LBB121_95:                             ;   in Loop: Header=BB121_4 Depth=1
	v_mov_b32_e32 v32, v33
	ds_store_b64 v101, v[32:33] offset:4224
	s_wait_alu 0xfffe
	s_and_not1_saveexec_b32 s84, s84
	s_cbranch_execz .LBB121_42
.LBB121_96:                             ;   in Loop: Header=BB121_4 Depth=1
	s_lshl_b64 s[86:87], s[36:37], 3
	s_wait_alu 0xfffe
	v_add_co_u32 v4, vcc_lo, v0, s86
	s_wait_alu 0xfffd
	v_add_co_ci_u32_e64 v5, null, s87, v1, vcc_lo
	global_load_b64 v[4:5], v[4:5], off
	s_wait_loadcnt 0x0
	ds_store_b64 v101, v[4:5] offset:4224
	s_or_b32 exec_lo, exec_lo, s84
	s_and_saveexec_b32 s84, s16
	s_wait_alu 0xfffe
	s_xor_b32 s84, exec_lo, s84
	s_cbranch_execz .LBB121_43
.LBB121_97:                             ;   in Loop: Header=BB121_4 Depth=1
	v_mov_b32_e32 v32, v33
	ds_store_b64 v101, v[32:33] offset:6336
	s_wait_alu 0xfffe
	s_and_not1_saveexec_b32 s84, s84
	s_cbranch_execnz .LBB121_44
	s_branch .LBB121_45
.LBB121_98:                             ;   in Loop: Header=BB121_4 Depth=1
	global_load_b64 v[2:3], v[0:1], off
	s_wait_loadcnt 0x0
	ds_store_b64 v101, v[2:3]
	s_or_b32 exec_lo, exec_lo, s84
	s_and_saveexec_b32 s84, s4
	s_wait_alu 0xfffe
	s_xor_b32 s84, exec_lo, s84
	s_cbranch_execz .LBB121_60
.LBB121_99:                             ;   in Loop: Header=BB121_4 Depth=1
	v_mov_b32_e32 v32, v33
	ds_store_b64 v101, v[32:33] offset:2112
	s_wait_alu 0xfffe
	s_and_not1_saveexec_b32 s84, s84
	s_cbranch_execz .LBB121_61
.LBB121_100:                            ;   in Loop: Header=BB121_4 Depth=1
	s_lshl_b64 s[86:87], s[34:35], 3
	s_wait_alu 0xfffe
	v_add_co_u32 v2, vcc_lo, v0, s86
	s_wait_alu 0xfffd
	v_add_co_ci_u32_e64 v3, null, s87, v1, vcc_lo
	global_load_b64 v[2:3], v[2:3], off
	s_wait_loadcnt 0x0
	ds_store_b64 v101, v[2:3] offset:2112
	s_or_b32 exec_lo, exec_lo, s84
	s_and_saveexec_b32 s84, s5
	s_wait_alu 0xfffe
	s_xor_b32 s84, exec_lo, s84
	s_cbranch_execz .LBB121_62
.LBB121_101:                            ;   in Loop: Header=BB121_4 Depth=1
	v_mov_b32_e32 v32, v33
	ds_store_b64 v101, v[32:33] offset:4224
	s_wait_alu 0xfffe
	s_and_not1_saveexec_b32 s84, s84
	s_cbranch_execz .LBB121_63
.LBB121_102:                            ;   in Loop: Header=BB121_4 Depth=1
	s_lshl_b64 s[86:87], s[36:37], 3
	s_wait_alu 0xfffe
	v_add_co_u32 v2, vcc_lo, v0, s86
	s_wait_alu 0xfffd
	v_add_co_ci_u32_e64 v3, null, s87, v1, vcc_lo
	global_load_b64 v[2:3], v[2:3], off
	s_wait_loadcnt 0x0
	ds_store_b64 v101, v[2:3] offset:4224
	s_or_b32 exec_lo, exec_lo, s84
	s_and_saveexec_b32 s84, s6
	s_wait_alu 0xfffe
	s_xor_b32 s84, exec_lo, s84
	s_cbranch_execz .LBB121_64
.LBB121_103:                            ;   in Loop: Header=BB121_4 Depth=1
	v_mov_b32_e32 v32, v33
	ds_store_b64 v101, v[32:33] offset:6336
	s_wait_alu 0xfffe
	s_and_not1_saveexec_b32 s84, s84
	s_cbranch_execnz .LBB121_65
	s_branch .LBB121_66
.LBB121_104:
	s_nop 0
	s_sendmsg sendmsg(MSG_DEALLOC_VGPRS)
	s_endpgm
	.section	.rodata,"a",@progbits
	.p2align	6, 0x0
	.amdhsa_kernel _ZL26rocblas_hemvn_kernel_lowerILb0ELi64ELi4ELi33ELi32ELi16Ei19rocblas_complex_numIfEPKS1_PS1_EviT6_lT7_lT5_lS6_lS7_lS5_lT8_i
		.amdhsa_group_segment_fixed_size 9600
		.amdhsa_private_segment_fixed_size 0
		.amdhsa_kernarg_size 376
		.amdhsa_user_sgpr_count 2
		.amdhsa_user_sgpr_dispatch_ptr 0
		.amdhsa_user_sgpr_queue_ptr 0
		.amdhsa_user_sgpr_kernarg_segment_ptr 1
		.amdhsa_user_sgpr_dispatch_id 0
		.amdhsa_user_sgpr_private_segment_size 0
		.amdhsa_wavefront_size32 1
		.amdhsa_uses_dynamic_stack 0
		.amdhsa_enable_private_segment 0
		.amdhsa_system_sgpr_workgroup_id_x 1
		.amdhsa_system_sgpr_workgroup_id_y 0
		.amdhsa_system_sgpr_workgroup_id_z 1
		.amdhsa_system_sgpr_workgroup_info 0
		.amdhsa_system_vgpr_workitem_id 1
		.amdhsa_next_free_vgpr 141
		.amdhsa_next_free_sgpr 96
		.amdhsa_reserve_vcc 1
		.amdhsa_float_round_mode_32 0
		.amdhsa_float_round_mode_16_64 0
		.amdhsa_float_denorm_mode_32 3
		.amdhsa_float_denorm_mode_16_64 3
		.amdhsa_fp16_overflow 0
		.amdhsa_workgroup_processor_mode 1
		.amdhsa_memory_ordered 1
		.amdhsa_forward_progress 1
		.amdhsa_inst_pref_size 71
		.amdhsa_round_robin_scheduling 0
		.amdhsa_exception_fp_ieee_invalid_op 0
		.amdhsa_exception_fp_denorm_src 0
		.amdhsa_exception_fp_ieee_div_zero 0
		.amdhsa_exception_fp_ieee_overflow 0
		.amdhsa_exception_fp_ieee_underflow 0
		.amdhsa_exception_fp_ieee_inexact 0
		.amdhsa_exception_int_div_zero 0
	.end_amdhsa_kernel
	.section	.text._ZL26rocblas_hemvn_kernel_lowerILb0ELi64ELi4ELi33ELi32ELi16Ei19rocblas_complex_numIfEPKS1_PS1_EviT6_lT7_lT5_lS6_lS7_lS5_lT8_i,"axG",@progbits,_ZL26rocblas_hemvn_kernel_lowerILb0ELi64ELi4ELi33ELi32ELi16Ei19rocblas_complex_numIfEPKS1_PS1_EviT6_lT7_lT5_lS6_lS7_lS5_lT8_i,comdat
.Lfunc_end121:
	.size	_ZL26rocblas_hemvn_kernel_lowerILb0ELi64ELi4ELi33ELi32ELi16Ei19rocblas_complex_numIfEPKS1_PS1_EviT6_lT7_lT5_lS6_lS7_lS5_lT8_i, .Lfunc_end121-_ZL26rocblas_hemvn_kernel_lowerILb0ELi64ELi4ELi33ELi32ELi16Ei19rocblas_complex_numIfEPKS1_PS1_EviT6_lT7_lT5_lS6_lS7_lS5_lT8_i
                                        ; -- End function
	.set _ZL26rocblas_hemvn_kernel_lowerILb0ELi64ELi4ELi33ELi32ELi16Ei19rocblas_complex_numIfEPKS1_PS1_EviT6_lT7_lT5_lS6_lS7_lS5_lT8_i.num_vgpr, 141
	.set _ZL26rocblas_hemvn_kernel_lowerILb0ELi64ELi4ELi33ELi32ELi16Ei19rocblas_complex_numIfEPKS1_PS1_EviT6_lT7_lT5_lS6_lS7_lS5_lT8_i.num_agpr, 0
	.set _ZL26rocblas_hemvn_kernel_lowerILb0ELi64ELi4ELi33ELi32ELi16Ei19rocblas_complex_numIfEPKS1_PS1_EviT6_lT7_lT5_lS6_lS7_lS5_lT8_i.numbered_sgpr, 96
	.set _ZL26rocblas_hemvn_kernel_lowerILb0ELi64ELi4ELi33ELi32ELi16Ei19rocblas_complex_numIfEPKS1_PS1_EviT6_lT7_lT5_lS6_lS7_lS5_lT8_i.num_named_barrier, 0
	.set _ZL26rocblas_hemvn_kernel_lowerILb0ELi64ELi4ELi33ELi32ELi16Ei19rocblas_complex_numIfEPKS1_PS1_EviT6_lT7_lT5_lS6_lS7_lS5_lT8_i.private_seg_size, 0
	.set _ZL26rocblas_hemvn_kernel_lowerILb0ELi64ELi4ELi33ELi32ELi16Ei19rocblas_complex_numIfEPKS1_PS1_EviT6_lT7_lT5_lS6_lS7_lS5_lT8_i.uses_vcc, 1
	.set _ZL26rocblas_hemvn_kernel_lowerILb0ELi64ELi4ELi33ELi32ELi16Ei19rocblas_complex_numIfEPKS1_PS1_EviT6_lT7_lT5_lS6_lS7_lS5_lT8_i.uses_flat_scratch, 0
	.set _ZL26rocblas_hemvn_kernel_lowerILb0ELi64ELi4ELi33ELi32ELi16Ei19rocblas_complex_numIfEPKS1_PS1_EviT6_lT7_lT5_lS6_lS7_lS5_lT8_i.has_dyn_sized_stack, 0
	.set _ZL26rocblas_hemvn_kernel_lowerILb0ELi64ELi4ELi33ELi32ELi16Ei19rocblas_complex_numIfEPKS1_PS1_EviT6_lT7_lT5_lS6_lS7_lS5_lT8_i.has_recursion, 0
	.set _ZL26rocblas_hemvn_kernel_lowerILb0ELi64ELi4ELi33ELi32ELi16Ei19rocblas_complex_numIfEPKS1_PS1_EviT6_lT7_lT5_lS6_lS7_lS5_lT8_i.has_indirect_call, 0
	.section	.AMDGPU.csdata,"",@progbits
; Kernel info:
; codeLenInByte = 9044
; TotalNumSgprs: 98
; NumVgprs: 141
; ScratchSize: 0
; MemoryBound: 1
; FloatMode: 240
; IeeeMode: 1
; LDSByteSize: 9600 bytes/workgroup (compile time only)
; SGPRBlocks: 0
; VGPRBlocks: 17
; NumSGPRsForWavesPerEU: 98
; NumVGPRsForWavesPerEU: 141
; Occupancy: 10
; WaveLimiterHint : 1
; COMPUTE_PGM_RSRC2:SCRATCH_EN: 0
; COMPUTE_PGM_RSRC2:USER_SGPR: 2
; COMPUTE_PGM_RSRC2:TRAP_HANDLER: 0
; COMPUTE_PGM_RSRC2:TGID_X_EN: 1
; COMPUTE_PGM_RSRC2:TGID_Y_EN: 0
; COMPUTE_PGM_RSRC2:TGID_Z_EN: 1
; COMPUTE_PGM_RSRC2:TIDIG_COMP_CNT: 1
	.section	.text._ZL26rocblas_hemvn_kernel_upperILb0ELi64ELi4ELi33ELi32ELi16ElPK19rocblas_complex_numIdES3_PS1_EviT6_lT7_lT5_lS6_lS7_lS5_lT8_i,"axG",@progbits,_ZL26rocblas_hemvn_kernel_upperILb0ELi64ELi4ELi33ELi32ELi16ElPK19rocblas_complex_numIdES3_PS1_EviT6_lT7_lT5_lS6_lS7_lS5_lT8_i,comdat
	.globl	_ZL26rocblas_hemvn_kernel_upperILb0ELi64ELi4ELi33ELi32ELi16ElPK19rocblas_complex_numIdES3_PS1_EviT6_lT7_lT5_lS6_lS7_lS5_lT8_i ; -- Begin function _ZL26rocblas_hemvn_kernel_upperILb0ELi64ELi4ELi33ELi32ELi16ElPK19rocblas_complex_numIdES3_PS1_EviT6_lT7_lT5_lS6_lS7_lS5_lT8_i
	.p2align	8
	.type	_ZL26rocblas_hemvn_kernel_upperILb0ELi64ELi4ELi33ELi32ELi16ElPK19rocblas_complex_numIdES3_PS1_EviT6_lT7_lT5_lS6_lS7_lS5_lT8_i,@function
_ZL26rocblas_hemvn_kernel_upperILb0ELi64ELi4ELi33ELi32ELi16ElPK19rocblas_complex_numIdES3_PS1_EviT6_lT7_lT5_lS6_lS7_lS5_lT8_i: ; @_ZL26rocblas_hemvn_kernel_upperILb0ELi64ELi4ELi33ELi32ELi16ElPK19rocblas_complex_numIdES3_PS1_EviT6_lT7_lT5_lS6_lS7_lS5_lT8_i
; %bb.0:
	s_clause 0x1
	s_load_b64 s[2:3], s[0:1], 0x84
	s_load_b32 s33, s[0:1], 0x70
	s_lshr_b32 s28, ttmp7, 16
	s_wait_kmcnt 0x0
	s_lshr_b32 s4, s2, 16
	s_and_b32 s2, s2, 0xffff
	s_and_b32 s3, s3, 0xffff
	s_mul_i32 s2, s4, s2
	s_delay_alu instid0(SALU_CYCLE_1) | instskip(NEXT) | instid1(SALU_CYCLE_1)
	s_mul_i32 s2, s2, s3
	s_cmp_lg_u32 s2, 0x100
	s_cselect_b32 s2, -1, 0
	s_cmp_ge_u32 s28, s33
	s_cselect_b32 s3, -1, 0
	s_delay_alu instid0(SALU_CYCLE_1) | instskip(NEXT) | instid1(SALU_CYCLE_1)
	s_or_b32 s2, s2, s3
	s_and_b32 vcc_lo, exec_lo, s2
	s_cbranch_vccnz .LBB122_157
; %bb.1:
	s_clause 0x2
	s_load_b32 s2, s[0:1], 0x0
	s_load_b512 s[36:51], s[0:1], 0x8
	s_load_b256 s[20:27], s[0:1], 0x48
	v_and_b32_e32 v177, 0x3ff, v0
	s_lshl_b32 s18, ttmp9, 6
	v_bfe_u32 v11, v0, 10, 10
	s_add_nc_u64 s[6:7], s[0:1], 0x78
	s_delay_alu instid0(VALU_DEP_2) | instskip(SKIP_1) | instid1(VALU_DEP_3)
	v_dual_mov_b32 v1, 0 :: v_dual_add_nc_u32 v2, s18, v177
	v_and_b32_e32 v4, 31, v0
	v_lshlrev_b32_e32 v19, 6, v11
	s_load_b32 s30, s[6:7], 0x0
	s_load_b64 s[6:7], s[0:1], 0x68
	v_ashrrev_i32_e32 v3, 31, v2
	v_lshlrev_b32_e32 v180, 4, v177
	v_add_nc_u32_e32 v12, v19, v177
	v_lshlrev_b32_e32 v198, 2, v11
	s_mov_b32 s4, ttmp9
	s_mov_b32 s29, 0
	v_mad_u32_u24 v200, 0x10c0, v11, v180
	s_wait_kmcnt 0x0
	s_ashr_i32 s3, s2, 31
	s_lshl_b64 s[0:1], s[50:51], 4
	v_mul_lo_u32 v5, s20, v3
	v_mul_lo_u32 v8, s21, v2
	v_mad_co_u64_u32 v[6:7], null, s20, v2, 0
	s_add_nc_u64 s[0:1], s[48:49], s[0:1]
	s_lshr_b32 s5, s3, 26
	s_lshl_b64 s[8:9], s[42:43], 4
	s_add_co_i32 s5, s2, s5
	s_mov_b32 s31, s29
	s_and_not1_b32 s5, s5, 63
	v_add3_u32 v7, v7, v5, v8
	v_mov_b32_e32 v5, v1
	v_lshrrev_b32_e32 v10, 5, v12
	s_add_co_i32 s10, s30, -1
	s_sub_co_i32 s64, s2, s5
	v_lshlrev_b64_e32 v[6:7], 4, v[6:7]
	s_cmp_eq_u32 ttmp9, s10
	v_mad_co_u64_u32 v[8:9], null, s44, v10, v[4:5]
	s_cselect_b32 s34, s64, 0
	v_lshlrev_b32_e32 v16, 2, v10
	v_add_co_u32 v5, vcc_lo, s0, v6
	v_cmp_eq_u32_e64 s0, 0, v11
	v_mad_u32_u24 v11, 0x430, v11, v180
	s_cmp_lg_u32 s34, 0
	scratch_store_b32 off, v5, off          ; 4-byte Folded Spill
	v_add_co_ci_u32_e64 v5, null, s1, v7, vcc_lo
	s_cselect_b32 s65, -1, 0
	s_cmp_eq_u32 s34, 0
	v_or_b32_e32 v20, 1, v16
	scratch_store_b32 off, v5, off offset:4 ; 4-byte Folded Spill
	v_mov_b32_e32 v5, v9
	s_cselect_b32 s1, -1, 0
	s_ashr_i32 s5, ttmp9, 31
	s_ashr_i32 s19, s18, 31
	s_mul_u64 s[4:5], s[2:3], s[4:5]
	v_mad_co_u64_u32 v[5:6], null, s45, v10, v[5:6]
	v_cmp_gt_i32_e32 vcc_lo, s34, v177
	s_add_nc_u64 s[8:9], s[40:41], s[8:9]
	s_mul_u64 s[40:41], s[30:31], s[2:3]
	s_lshl_b64 s[2:3], s[4:5], 4
	s_wait_alu 0xfffe
	s_lshl_b64 s[4:5], s[18:19], 4
	s_add_nc_u64 s[42:43], s[6:7], s[2:3]
	v_mov_b32_e32 v9, v5
	s_add_nc_u64 s[2:3], s[8:9], s[4:5]
	s_or_b32 s60, s1, vcc_lo
	s_mul_u64 s[4:5], s[44:45], s[18:19]
	v_lshlrev_b32_e32 v18, 6, v10
	v_lshlrev_b64_e32 v[5:6], 4, v[8:9]
	v_lshlrev_b32_e32 v9, 4, v4
	v_add_nc_u32_e32 v13, 8, v10
	v_add_nc_u32_e32 v14, 16, v10
	v_cmp_gt_u32_e64 s6, v16, v4
	v_cmp_ge_u32_e64 s7, v16, v4
	v_mad_u32_u24 v184, 0x210, v10, v9
	v_lshl_or_b32 v17, v4, 9, v9
	v_mad_u32_u24 v189, 0x840, v10, v9
	v_mad_u32_u24 v190, 0x210, v20, v9
	v_mul_u32_u24_e32 v9, 33, v4
	v_add_co_u32 v7, vcc_lo, s2, v5
	s_wait_alu 0xfffd
	v_add_co_ci_u32_e64 v8, null, s3, v6, vcc_lo
	s_delay_alu instid0(VALU_DEP_3)
	v_lshlrev_b32_e32 v192, 4, v9
	v_or_b32_e32 v9, 32, v4
	s_lshl_b64 s[2:3], s[4:5], 4
	v_add_nc_u32_e32 v179, v17, v18
	s_wait_alu 0xfffe
	v_add_co_u32 v7, vcc_lo, v7, s2
	v_or_b32_e32 v17, 2, v16
	v_or_b32_e32 v16, 3, v16
	v_cmp_gt_i32_e64 s11, s34, v9
	v_and_b32_e32 v9, 48, v0
	scratch_store_b32 off, v7, off offset:8 ; 4-byte Folded Spill
	s_wait_alu 0xfffd
	v_add_co_ci_u32_e64 v7, null, s3, v8, vcc_lo
	s_sub_co_i32 s15, s34, 32
	v_cmp_le_i32_e64 s3, s34, v13
	v_cmp_le_i32_e64 s4, s34, v14
	v_add_nc_u32_e32 v15, 24, v10
	v_cmp_gt_u32_e64 s9, v16, v4
	v_cmp_le_i32_e64 s13, s15, v13
	v_cmp_le_i32_e64 s14, s15, v14
	v_lshrrev_b32_e32 v13, 4, v12
	v_and_b32_e32 v14, 15, v0
	v_lshlrev_b32_e32 v16, 4, v9
	scratch_store_b32 off, v7, off offset:12 ; 4-byte Folded Spill
	v_sub_co_u32 v7, s2, 0, v4
	s_wait_alu 0xf1ff
	v_sub_co_ci_u32_e64 v8, null, 0, 0, s2
	v_cmp_le_i32_e64 s2, s34, v10
	v_cmp_le_i32_e64 s5, s34, v15
	v_cmp_gt_u32_e64 s8, v17, v4
	v_lshlrev_b32_e32 v17, 4, v10
	v_cmp_le_i32_e64 s12, s15, v10
	v_cmp_le_i32_e64 s15, s15, v15
	v_cmp_eq_u32_e64 s16, 1, v10
	v_mul_i32_i24_e32 v20, 0xffffffd0, v10
	v_lshlrev_b32_e32 v10, 6, v13
	v_add_nc_u32_e32 v15, 0x200, v19
	v_mad_u32_u24 v202, 0x430, v14, v16
	v_add_nc_u32_e32 v16, 0x530, v19
	s_add_co_i32 s17, ttmp9, 1
	s_xor_b32 s66, s60, -1
	s_ashr_i32 s35, s34, 31
	s_lshl_b64 s[48:49], s[44:45], 7
	s_lshl_b64 s[50:51], s[44:45], 8
	;; [unrolled: 1-line block ×3, first 2 shown]
	v_cmp_gt_u32_e64 s10, 32, v12
	s_cmp_lt_u32 s17, s30
	v_mad_u32_u24 v201, 0x430, v14, v10
	v_mad_co_u64_u32 v[9:10], null, s44, v15, 0
	v_cmp_gt_u32_e64 s17, 64, v12
	scratch_store_b32 off, v11, off offset:16 ; 4-byte Folded Spill
	v_mad_co_u64_u32 v[11:12], null, s44, v16, 0
	v_add_nc_u32_e32 v195, v192, v17
	v_add_nc_u32_e32 v197, 0x4700, v17
	v_or_b32_e32 v17, 0xf0, v180
	v_mul_i32_i24_e32 v21, 0xffffffd0, v13
	v_add_nc_u32_e32 v194, 0x4700, v18
	v_add_nc_u32_e32 v196, v192, v18
	;; [unrolled: 1-line block ×3, first 2 shown]
	v_mad_u32_u24 v203, 0x430, v14, v17
	v_mad_co_u64_u32 v[13:14], null, s45, v15, v[10:11]
	v_sub_co_u32 v14, vcc_lo, v9, v5
	v_add_nc_u32_e32 v15, 0x220, v19
	v_add_nc_u32_e32 v22, 0x210, v19
	s_mul_u64 s[54:55], s[20:21], s[18:19]
	s_cselect_b32 s19, -1, 0
	s_wait_alu 0xfffd
	s_delay_alu instid0(VALU_DEP_4)
	v_sub_co_ci_u32_e64 v13, null, v13, v6, vcc_lo
	v_mad_co_u64_u32 v[9:10], null, s44, v15, 0
	s_add_co_i32 s68, s18, 64
	scratch_store_b32 off, v13, off offset:24 ; 4-byte Folded Spill
	v_or_b32_e32 v13, 8, v14
	v_lshlrev_b64_e32 v[182:183], 4, v[2:3]
	v_lshlrev_b64_e32 v[235:236], 4, v[7:8]
	v_cmp_gt_i32_e64 s1, s34, v4
	v_add_nc_u32_e32 v191, 0x210, v190
	scratch_store_b32 off, v13, off offset:28 ; 4-byte Folded Spill
	v_mad_co_u64_u32 v[12:13], null, s45, v16, v[12:13]
	v_mad_co_u64_u32 v[15:16], null, s45, v15, v[10:11]
	v_sub_co_u32 v10, vcc_lo, v11, v5
	v_mad_co_u64_u32 v[13:14], null, s44, v18, 0
	v_mad_co_u64_u32 v[16:17], null, s44, v22, 0
	scratch_store_b32 off, v10, off offset:32 ; 4-byte Folded Spill
	s_wait_alu 0xfffd
	v_sub_co_ci_u32_e64 v10, null, v12, v6, vcc_lo
	v_sub_co_u32 v9, vcc_lo, v9, v5
	v_add_nc_u32_e32 v193, 0x420, v190
	scratch_store_b32 off, v10, off offset:36 ; 4-byte Folded Spill
	v_mov_b32_e32 v10, v14
	scratch_store_b32 off, v9, off offset:40 ; 4-byte Folded Spill
	s_wait_alu 0xfffd
	v_sub_co_ci_u32_e64 v9, null, v15, v6, vcc_lo
	v_add_nc_u32_e32 v0, 0x4300, v180
	v_mad_co_u64_u32 v[10:11], null, s45, v18, v[10:11]
	scratch_store_b32 off, v9, off offset:44 ; 4-byte Folded Spill
	v_mov_b32_e32 v9, v17
	v_add_nc_u32_e32 v238, v201, v21
	v_lshlrev_b32_e32 v239, 4, v4
	s_sub_nc_u64 s[58:59], 0, s[54:55]
	s_mul_u64 s[52:53], s[44:45], 0x180
	v_mad_co_u64_u32 v[11:12], null, s45, v22, v[9:10]
	v_sub_co_u32 v9, s18, v13, v5
	v_add_nc_u32_e32 v22, 0x230, v19
	v_sub_co_u32 v12, vcc_lo, v16, v5
	scratch_store_b32 off, v9, off offset:48 ; 4-byte Folded Spill
	s_wait_alu 0xf1ff
	v_sub_co_ci_u32_e64 v9, null, v10, v6, s18
	s_wait_alu 0xfffd
	v_sub_co_ci_u32_e64 v10, null, v11, v6, vcc_lo
	v_mad_co_u64_u32 v[16:17], null, s44, v22, 0
	s_clause 0x1
	scratch_store_b32 off, v9, off offset:52
	scratch_store_b32 off, v10, off offset:56
	v_or_b32_e32 v10, 8, v12
	s_add_co_i32 s31, s30, -2
	s_and_b32 s67, s0, s60
	s_wait_alu 0xfffe
	s_sub_nc_u64 s[54:55], 0, s[34:35]
	s_lshl_b64 s[56:57], s[56:57], 4
	scratch_store_b32 off, v10, off offset:60 ; 4-byte Folded Spill
	v_mov_b32_e32 v10, v17
	v_add_nc_u32_e32 v18, 0x510, v19
	v_add_nc_u32_e32 v23, 0x300, v19
	;; [unrolled: 1-line block ×3, first 2 shown]
	s_lshl_b64 s[58:59], s[58:59], 4
	s_delay_alu instid0(VALU_DEP_3) | instskip(NEXT) | instid1(VALU_DEP_1)
	v_mad_co_u64_u32 v[14:15], null, s44, v18, 0
	v_dual_mov_b32 v9, v15 :: v_dual_add_nc_u32 v204, 0x1080, v184
	v_add_nc_u32_e32 v15, 0x500, v19
	s_delay_alu instid0(VALU_DEP_2) | instskip(NEXT) | instid1(VALU_DEP_2)
	v_mad_co_u64_u32 v[11:12], null, s45, v18, v[9:10]
	v_mad_co_u64_u32 v[12:13], null, s44, v15, 0
	v_add_nc_u32_e32 v181, 0x4700, v180
	v_mad_co_u64_u32 v[17:18], null, s44, v23, 0
	s_delay_alu instid0(VALU_DEP_4)
	v_mad_co_u64_u32 v[9:10], null, s45, v22, v[10:11]
	v_sub_co_u32 v10, vcc_lo, v14, v5
	scratch_store_b32 off, v10, off offset:64 ; 4-byte Folded Spill
	s_wait_alu 0xfffd
	v_sub_co_ci_u32_e64 v10, null, v11, v6, vcc_lo
	v_sub_co_u32 v11, vcc_lo, v16, v5
	s_wait_alu 0xfffd
	v_sub_co_ci_u32_e64 v9, null, v9, v6, vcc_lo
	scratch_store_b32 off, v10, off offset:68 ; 4-byte Folded Spill
	v_mov_b32_e32 v10, v13
	v_or_b32_e32 v11, 8, v11
	scratch_store_b32 off, v9, off offset:72 ; 4-byte Folded Spill
	v_dual_mov_b32 v9, v18 :: v_dual_add_nc_u32 v18, 0x310, v19
	v_sub_co_u32 v22, vcc_lo, v17, v5
	scratch_store_b32 off, v11, off offset:76 ; 4-byte Folded Spill
	v_mad_co_u64_u32 v[10:11], null, s45, v15, v[10:11]
	v_add_nc_u32_e32 v11, 0x430, v19
	v_mad_co_u64_u32 v[16:17], null, s44, v18, 0
	s_delay_alu instid0(VALU_DEP_3) | instskip(SKIP_1) | instid1(VALU_DEP_4)
	v_mad_co_u64_u32 v[13:14], null, s45, v23, v[9:10]
	v_sub_co_u32 v9, s18, v12, v5
	v_mad_co_u64_u32 v[14:15], null, s44, v11, 0
	scratch_store_b32 off, v9, off offset:80 ; 4-byte Folded Spill
	s_wait_alu 0xf1ff
	v_sub_co_ci_u32_e64 v9, null, v10, v6, s18
	v_or_b32_e32 v10, 8, v22
	v_add_nc_u32_e32 v22, 0x330, v19
	scratch_store_b32 off, v9, off offset:84 ; 4-byte Folded Spill
	s_wait_alu 0xfffd
	v_sub_co_ci_u32_e64 v9, null, v13, v6, vcc_lo
	scratch_store_b32 off, v10, off offset:92 ; 4-byte Folded Spill
	v_dual_mov_b32 v10, v17 :: v_dual_add_nc_u32 v17, 0x320, v19
	scratch_store_b32 off, v9, off offset:88 ; 4-byte Folded Spill
	v_mov_b32_e32 v9, v15
	v_add_nc_u32_e32 v15, 0x420, v19
	s_delay_alu instid0(VALU_DEP_2) | instskip(NEXT) | instid1(VALU_DEP_2)
	v_mad_co_u64_u32 v[11:12], null, s45, v11, v[9:10]
	v_mad_co_u64_u32 v[12:13], null, s44, v15, 0
	v_add_nc_u32_e32 v237, 0x2100, v184
	s_delay_alu instid0(VALU_DEP_3)
	v_mad_co_u64_u32 v[9:10], null, s45, v18, v[10:11]
	v_sub_co_u32 v10, vcc_lo, v14, v5
	v_add_nc_u32_e32 v18, 0x410, v19
	v_add_nc_u32_e32 v19, 0x400, v19
	scratch_store_b32 off, v10, off offset:96 ; 4-byte Folded Spill
	s_wait_alu 0xfffd
	v_sub_co_ci_u32_e64 v10, null, v11, v6, vcc_lo
	v_sub_co_u32 v11, vcc_lo, v16, v5
	s_wait_alu 0xfffd
	v_sub_co_ci_u32_e64 v9, null, v9, v6, vcc_lo
	scratch_store_b32 off, v10, off offset:100 ; 4-byte Folded Spill
	v_mov_b32_e32 v10, v13
	v_mad_co_u64_u32 v[13:14], null, s44, v17, 0
	scratch_store_b32 off, v9, off offset:104 ; 4-byte Folded Spill
	v_mad_co_u64_u32 v[9:10], null, s45, v15, v[10:11]
	v_or_b32_e32 v10, 8, v11
	v_sub_co_u32 v11, vcc_lo, v12, v5
	scratch_store_b32 off, v10, off offset:108 ; 4-byte Folded Spill
	v_mov_b32_e32 v10, v14
	s_wait_alu 0xfffd
	v_sub_co_ci_u32_e64 v9, null, v9, v6, vcc_lo
	scratch_store_b32 off, v11, off offset:112 ; 4-byte Folded Spill
	v_mad_co_u64_u32 v[14:15], null, s44, v18, 0
	scratch_store_b32 off, v9, off offset:116 ; 4-byte Folded Spill
	v_mad_co_u64_u32 v[9:10], null, s45, v17, v[10:11]
	v_sub_co_u32 v13, vcc_lo, v13, v5
	v_mad_co_u64_u32 v[11:12], null, s44, v22, 0
	v_mov_b32_e32 v10, v15
	v_mad_co_u64_u32 v[15:16], null, s44, v19, 0
	s_wait_alu 0xfffd
	v_sub_co_ci_u32_e64 v9, null, v9, v6, vcc_lo
	v_add_nc_u32_e32 v178, 0x3180, v184
	v_mad_co_u64_u32 v[17:18], null, s45, v18, v[10:11]
	scratch_store_b32 off, v9, off offset:120 ; 4-byte Folded Spill
	v_or_b32_e32 v9, 8, v13
	v_mov_b32_e32 v10, v16
	scratch_store_b32 off, v9, off offset:124 ; 4-byte Folded Spill
	v_mov_b32_e32 v9, v12
	v_sub_co_u32 v12, vcc_lo, v14, v5
	scratch_store_b32 off, v12, off offset:128 ; 4-byte Folded Spill
	s_wait_alu 0xfffd
	v_sub_co_ci_u32_e64 v12, null, v17, v6, vcc_lo
	scratch_store_b32 off, v12, off offset:132 ; 4-byte Folded Spill
	v_mad_co_u64_u32 v[12:13], null, s45, v22, v[9:10]
	v_mad_co_u64_u32 v[9:10], null, s45, v19, v[10:11]
	v_sub_co_u32 v10, vcc_lo, v11, v5
	v_sub_co_u32 v5, s18, v15, v5
	s_wait_alu 0xfffd
	s_delay_alu instid0(VALU_DEP_4) | instskip(NEXT) | instid1(VALU_DEP_3)
	v_sub_co_ci_u32_e64 v11, null, v12, v6, vcc_lo
	v_or_b32_e32 v10, 8, v10
	s_delay_alu instid0(VALU_DEP_3)
	v_or_b32_e32 v5, 8, v5
	s_wait_alu 0xf1ff
	v_sub_co_ci_u32_e64 v6, null, v9, v6, s18
	s_lshl_b64 s[44:45], s[44:45], 10
	s_clause 0x1
	scratch_store_b32 off, v10, off offset:140
	scratch_store_b32 off, v5, off offset:148
	v_add_nc_u32_e32 v5, v196, v20
	s_clause 0x2
	scratch_store_b32 off, v11, off offset:136
	scratch_store_b32 off, v6, off offset:144
	scratch_store_b32 off, v5, off offset:20
	s_branch .LBB122_4
.LBB122_2:                              ;   in Loop: Header=BB122_4 Depth=1
	s_wait_alu 0xfffe
	s_or_b32 exec_lo, exec_lo, s18
.LBB122_3:                              ;   in Loop: Header=BB122_4 Depth=1
	s_add_co_i32 s28, s28, 0x10000
	s_delay_alu instid0(SALU_CYCLE_1)
	s_cmp_lt_u32 s28, s33
	s_cbranch_scc0 .LBB122_157
.LBB122_4:                              ; =>This Loop Header: Depth=1
                                        ;     Child Loop BB122_79 Depth 2
	s_mul_u64 s[60:61], s[38:39], s[28:29]
	s_wait_alu 0xfffe
	s_lshl_b64 s[60:61], s[60:61], 4
	s_wait_alu 0xfffe
	s_add_nc_u64 s[60:61], s[36:37], s[60:61]
	global_load_b128 v[2:5], v1, s[60:61]
	s_wait_loadcnt 0x0
	v_cmp_neq_f64_e32 vcc_lo, 0, v[2:3]
	v_cmp_neq_f64_e64 s18, 0, v[4:5]
	s_or_b32 s60, vcc_lo, s18
	s_mov_b32 s18, -1
	s_wait_alu 0xfffe
	s_and_b32 vcc_lo, exec_lo, s60
	s_wait_alu 0xfffe
	s_cbranch_vccnz .LBB122_6
; %bb.5:                                ;   in Loop: Header=BB122_4 Depth=1
	s_mul_u64 s[62:63], s[26:27], s[28:29]
	s_wait_alu 0xfffe
	s_lshl_b64 s[62:63], s[62:63], 4
	s_wait_alu 0xfffe
	s_add_nc_u64 s[62:63], s[24:25], s[62:63]
	global_load_b128 v[2:5], v1, s[62:63]
	s_wait_loadcnt 0x0
	v_cmp_neq_f64_e32 vcc_lo, 1.0, v[2:3]
	v_cmp_neq_f64_e64 s18, 0, v[4:5]
	s_or_b32 s18, vcc_lo, s18
.LBB122_6:                              ;   in Loop: Header=BB122_4 Depth=1
	s_wait_alu 0xfffe
	s_and_not1_b32 vcc_lo, exec_lo, s18
	s_wait_alu 0xfffe
	s_cbranch_vccnz .LBB122_3
; %bb.7:                                ;   in Loop: Header=BB122_4 Depth=1
	s_and_not1_b32 vcc_lo, exec_lo, s60
	s_wait_alu 0xfffe
	s_cbranch_vccnz .LBB122_3
; %bb.8:                                ;   in Loop: Header=BB122_4 Depth=1
	scratch_load_b32 v2, off, off           ; 4-byte Folded Reload
	s_mul_u64 s[60:61], s[22:23], s[28:29]
	s_wait_alu 0xfffe
	s_lshl_b64 s[60:61], s[60:61], 4
	s_wait_loadcnt 0x0
	s_wait_alu 0xfffe
	v_add_co_u32 v41, vcc_lo, v2, s60
	scratch_load_b32 v2, off, off offset:4  ; 4-byte Folded Reload
	s_wait_loadcnt 0x0
	s_wait_alu 0xfffd
	v_add_co_ci_u32_e64 v42, null, s61, v2, vcc_lo
	s_and_saveexec_b32 s18, s0
	s_cbranch_execz .LBB122_13
; %bb.9:                                ;   in Loop: Header=BB122_4 Depth=1
	s_and_saveexec_b32 s60, s66
	s_wait_alu 0xfffe
	s_xor_b32 s60, exec_lo, s60
; %bb.10:                               ;   in Loop: Header=BB122_4 Depth=1
	v_dual_mov_b32 v2, v1 :: v_dual_mov_b32 v3, v1
	v_mov_b32_e32 v4, v1
	ds_store_b128 v181, v[1:4]
; %bb.11:                               ;   in Loop: Header=BB122_4 Depth=1
	s_wait_alu 0xfffe
	s_and_not1_saveexec_b32 s60, s60
	s_cbranch_execz .LBB122_13
; %bb.12:                               ;   in Loop: Header=BB122_4 Depth=1
	global_load_b128 v[2:5], v[41:42], off
	s_wait_loadcnt 0x0
	ds_store_2addr_b64 v181, v[2:3], v[4:5] offset1:1
.LBB122_13:                             ;   in Loop: Header=BB122_4 Depth=1
	s_wait_alu 0xfffe
	s_or_b32 exec_lo, exec_lo, s18
	scratch_load_b32 v2, off, off offset:8  ; 4-byte Folded Reload
	s_mul_u64 s[60:61], s[46:47], s[28:29]
	s_mov_b32 s18, -1
	s_wait_alu 0xfffe
	s_lshl_b64 s[60:61], s[60:61], 4
	s_wait_loadcnt 0x0
	s_wait_alu 0xfffe
	v_add_co_u32 v5, vcc_lo, v2, s60
	scratch_load_b32 v2, off, off offset:12 ; 4-byte Folded Reload
	s_wait_loadcnt 0x0
	s_wait_alu 0xfffd
	v_add_co_ci_u32_e64 v6, null, s61, v2, vcc_lo
	s_and_b32 vcc_lo, exec_lo, s65
                                        ; implicit-def: $vgpr2_vgpr3
	s_wait_alu 0xfffe
	s_cbranch_vccz .LBB122_25
; %bb.14:                               ;   in Loop: Header=BB122_4 Depth=1
	s_and_saveexec_b32 s18, s2
	s_wait_alu 0xfffe
	s_xor_b32 s18, exec_lo, s18
; %bb.15:                               ;   in Loop: Header=BB122_4 Depth=1
	v_dual_mov_b32 v2, v1 :: v_dual_mov_b32 v3, v1
	v_mov_b32_e32 v4, v1
	ds_store_b128 v184, v[1:4]
; %bb.16:                               ;   in Loop: Header=BB122_4 Depth=1
	s_wait_alu 0xfffe
	s_or_saveexec_b32 s18, s18
	v_add_co_u32 v2, vcc_lo, v5, v235
	s_wait_alu 0xfffd
	v_add_co_ci_u32_e64 v3, null, v6, v236, vcc_lo
	s_lshl_b64 s[60:61], s[34:35], 4
	s_wait_alu 0xfffe
	v_add_co_u32 v2, vcc_lo, v2, s60
	s_wait_alu 0xfffd
	v_add_co_ci_u32_e64 v3, null, s61, v3, vcc_lo
	s_delay_alu instid0(VALU_DEP_2) | instskip(SKIP_1) | instid1(VALU_DEP_2)
	v_add_co_u32 v2, vcc_lo, v2, -16
	s_wait_alu 0xfffd
	v_add_co_ci_u32_e64 v3, null, -1, v3, vcc_lo
	s_delay_alu instid0(VALU_DEP_2) | instskip(NEXT) | instid1(VALU_DEP_2)
	v_cndmask_b32_e64 v7, v2, v5, s1
	v_cndmask_b32_e64 v8, v3, v6, s1
	s_xor_b32 exec_lo, exec_lo, s18
	s_cbranch_execnz .LBB122_139
; %bb.17:                               ;   in Loop: Header=BB122_4 Depth=1
	s_or_b32 exec_lo, exec_lo, s18
	s_and_saveexec_b32 s18, s3
	s_wait_alu 0xfffe
	s_xor_b32 s18, exec_lo, s18
	s_cbranch_execnz .LBB122_140
.LBB122_18:                             ;   in Loop: Header=BB122_4 Depth=1
	s_wait_alu 0xfffe
	s_and_not1_saveexec_b32 s18, s18
	s_cbranch_execnz .LBB122_141
.LBB122_19:                             ;   in Loop: Header=BB122_4 Depth=1
	s_wait_alu 0xfffe
	s_or_b32 exec_lo, exec_lo, s18
	s_and_saveexec_b32 s18, s4
	s_wait_alu 0xfffe
	s_xor_b32 s18, exec_lo, s18
	s_cbranch_execnz .LBB122_142
.LBB122_20:                             ;   in Loop: Header=BB122_4 Depth=1
	s_wait_alu 0xfffe
	s_and_not1_saveexec_b32 s18, s18
	s_cbranch_execnz .LBB122_143
.LBB122_21:                             ;   in Loop: Header=BB122_4 Depth=1
	s_wait_alu 0xfffe
	s_or_b32 exec_lo, exec_lo, s18
	s_and_saveexec_b32 s18, s5
	s_wait_alu 0xfffe
	s_xor_b32 s18, exec_lo, s18
	s_cbranch_execnz .LBB122_144
.LBB122_22:                             ;   in Loop: Header=BB122_4 Depth=1
	s_wait_alu 0xfffe
	s_and_not1_saveexec_b32 s18, s18
	s_cbranch_execz .LBB122_24
.LBB122_23:                             ;   in Loop: Header=BB122_4 Depth=1
	v_add_co_u32 v2, vcc_lo, v7, s52
	s_wait_alu 0xfffd
	v_add_co_ci_u32_e64 v3, null, s53, v8, vcc_lo
	global_load_b128 v[9:12], v[2:3], off
	s_wait_loadcnt 0x0
	ds_store_2addr_b64 v178, v[9:10], v[11:12] offset1:1
.LBB122_24:                             ;   in Loop: Header=BB122_4 Depth=1
	s_wait_alu 0xfffe
	s_or_b32 exec_lo, exec_lo, s18
	v_add_co_u32 v2, vcc_lo, v7, v239
	s_wait_alu 0xfffd
	v_add_co_ci_u32_e64 v3, null, 0, v8, vcc_lo
	s_lshl_b64 s[60:61], s[54:55], 4
	s_mov_b32 s18, 0
	s_wait_alu 0xfffe
	v_add_co_u32 v2, vcc_lo, v2, s60
	s_wait_alu 0xfffd
	v_add_co_ci_u32_e64 v3, null, s61, v3, vcc_lo
	s_delay_alu instid0(VALU_DEP_2) | instskip(SKIP_1) | instid1(VALU_DEP_2)
	v_add_co_u32 v2, vcc_lo, v2, 16
	s_wait_alu 0xfffd
	v_add_co_ci_u32_e64 v3, null, 0, v3, vcc_lo
	s_delay_alu instid0(VALU_DEP_2) | instskip(NEXT) | instid1(VALU_DEP_2)
	v_cndmask_b32_e64 v2, v2, v5, s1
	v_cndmask_b32_e64 v3, v3, v6, s1
.LBB122_25:                             ;   in Loop: Header=BB122_4 Depth=1
	s_and_b32 vcc_lo, exec_lo, s18
	s_wait_alu 0xfffe
	s_cbranch_vccz .LBB122_27
; %bb.26:                               ;   in Loop: Header=BB122_4 Depth=1
	v_add_co_u32 v2, vcc_lo, v5, s48
	s_wait_alu 0xfffd
	v_add_co_ci_u32_e64 v3, null, s49, v6, vcc_lo
	s_delay_alu instid0(VALU_DEP_2) | instskip(SKIP_1) | instid1(VALU_DEP_2)
	v_add_co_u32 v15, vcc_lo, v2, s48
	s_wait_alu 0xfffd
	v_add_co_ci_u32_e64 v16, null, s49, v3, vcc_lo
	s_delay_alu instid0(VALU_DEP_2) | instskip(SKIP_1) | instid1(VALU_DEP_2)
	v_add_co_u32 v19, vcc_lo, v15, s48
	s_wait_alu 0xfffd
	v_add_co_ci_u32_e64 v20, null, s49, v16, vcc_lo
	s_clause 0x3
	global_load_b128 v[7:10], v[5:6], off
	global_load_b128 v[11:14], v[2:3], off
	;; [unrolled: 1-line block ×4, first 2 shown]
	v_dual_mov_b32 v2, v5 :: v_dual_mov_b32 v3, v6
	s_wait_loadcnt 0x3
	ds_store_2addr_b64 v184, v[7:8], v[9:10] offset1:1
	s_wait_loadcnt 0x2
	ds_store_2addr_b64 v204, v[11:12], v[13:14] offset1:1
	;; [unrolled: 2-line block ×4, first 2 shown]
.LBB122_27:                             ;   in Loop: Header=BB122_4 Depth=1
	s_wait_storecnt_dscnt 0x0
	s_barrier_signal -1
	s_barrier_wait -1
	global_inv scope:SCOPE_SE
	s_and_saveexec_b32 s18, s6
	s_cbranch_execnz .LBB122_133
; %bb.28:                               ;   in Loop: Header=BB122_4 Depth=1
	s_wait_alu 0xfffe
	s_or_b32 exec_lo, exec_lo, s18
	s_and_saveexec_b32 s18, s7
	s_cbranch_execnz .LBB122_134
.LBB122_29:                             ;   in Loop: Header=BB122_4 Depth=1
	s_wait_alu 0xfffe
	s_or_b32 exec_lo, exec_lo, s18
	s_and_saveexec_b32 s18, s8
	s_cbranch_execnz .LBB122_135
.LBB122_30:                             ;   in Loop: Header=BB122_4 Depth=1
	s_wait_alu 0xfffe
	s_or_b32 exec_lo, exec_lo, s18
	s_and_saveexec_b32 s18, s9
	s_cbranch_execz .LBB122_32
.LBB122_31:                             ;   in Loop: Header=BB122_4 Depth=1
	ds_load_b128 v[4:7], v193
	v_add_nc_u32_e32 v8, 48, v179
	s_wait_dscnt 0x0
	ds_store_b128 v8, v[4:7]
.LBB122_32:                             ;   in Loop: Header=BB122_4 Depth=1
	s_wait_alu 0xfffe
	s_or_b32 exec_lo, exec_lo, s18
	s_wait_loadcnt_dscnt 0x0
	s_barrier_signal -1
	s_barrier_wait -1
	global_inv scope:SCOPE_SE
	ds_load_b128 v[4:7], v189
	ds_load_b128 v[8:11], v194
	ds_load_b128 v[12:15], v194 offset:16
	ds_load_b128 v[16:19], v190
	s_wait_dscnt 0x2
	v_mul_f64_e32 v[20:21], v[10:11], v[6:7]
	v_mul_f64_e32 v[6:7], v[8:9], v[6:7]
	s_wait_dscnt 0x0
	v_mul_f64_e32 v[26:27], v[14:15], v[18:19]
	v_mul_f64_e32 v[28:29], v[12:13], v[18:19]
	s_delay_alu instid0(VALU_DEP_4) | instskip(NEXT) | instid1(VALU_DEP_4)
	v_fma_f64 v[30:31], v[8:9], v[4:5], -v[20:21]
	v_fma_f64 v[32:33], v[10:11], v[4:5], v[6:7]
	ds_load_b128 v[4:7], v191
	ds_load_b128 v[8:11], v194 offset:32
	ds_load_b128 v[18:21], v194 offset:48
	ds_load_b128 v[22:25], v193
	v_fma_f64 v[12:13], v[12:13], v[16:17], -v[26:27]
	v_fma_f64 v[14:15], v[14:15], v[16:17], v[28:29]
	s_wait_loadcnt_dscnt 0x0
	s_barrier_signal -1
	s_barrier_wait -1
	global_inv scope:SCOPE_SE
	v_mul_f64_e32 v[34:35], v[10:11], v[6:7]
	v_mul_f64_e32 v[6:7], v[8:9], v[6:7]
	;; [unrolled: 1-line block ×4, first 2 shown]
	v_add_f64_e32 v[16:17], 0, v[30:31]
	v_add_f64_e32 v[26:27], 0, v[32:33]
	v_fma_f64 v[8:9], v[8:9], v[4:5], -v[34:35]
	v_fma_f64 v[4:5], v[10:11], v[4:5], v[6:7]
	s_delay_alu instid0(VALU_DEP_4) | instskip(NEXT) | instid1(VALU_DEP_4)
	v_add_f64_e32 v[6:7], v[16:17], v[12:13]
	v_add_f64_e32 v[10:11], v[26:27], v[14:15]
	v_fma_f64 v[12:13], v[18:19], v[22:23], -v[28:29]
	v_fma_f64 v[14:15], v[20:21], v[22:23], v[24:25]
	s_delay_alu instid0(VALU_DEP_4) | instskip(NEXT) | instid1(VALU_DEP_4)
	v_add_f64_e32 v[6:7], v[6:7], v[8:9]
	v_add_f64_e32 v[4:5], v[10:11], v[4:5]
	s_delay_alu instid0(VALU_DEP_2) | instskip(NEXT) | instid1(VALU_DEP_2)
	v_add_f64_e32 v[9:10], v[6:7], v[12:13]
	v_add_f64_e32 v[11:12], v[4:5], v[14:15]
	v_mov_b32_e32 v5, 0
	v_dual_mov_b32 v6, 0 :: v_dual_mov_b32 v7, 0
	v_mov_b32_e32 v8, 0
	ds_store_b128 v195, v[9:12]
	s_wait_loadcnt_dscnt 0x0
	s_barrier_signal -1
	s_barrier_wait -1
	global_inv scope:SCOPE_SE
	s_and_saveexec_b32 s18, s10
	s_cbranch_execz .LBB122_34
; %bb.33:                               ;   in Loop: Header=BB122_4 Depth=1
	ds_load_b128 v[4:7], v192
	ds_load_b128 v[8:11], v192 offset:16
	s_wait_dscnt 0x0
	v_add_f64_e32 v[12:13], v[8:9], v[4:5]
	v_add_f64_e32 v[14:15], v[10:11], v[6:7]
	ds_load_b128 v[4:7], v192 offset:32
	ds_load_b128 v[8:11], v192 offset:48
	s_wait_dscnt 0x1
	v_add_f64_e32 v[4:5], v[12:13], v[4:5]
	v_add_f64_e32 v[6:7], v[14:15], v[6:7]
	s_wait_dscnt 0x0
	s_delay_alu instid0(VALU_DEP_2) | instskip(NEXT) | instid1(VALU_DEP_2)
	v_add_f64_e32 v[12:13], v[4:5], v[8:9]
	v_add_f64_e32 v[14:15], v[6:7], v[10:11]
	ds_load_b128 v[4:7], v192 offset:64
	ds_load_b128 v[8:11], v192 offset:80
	s_wait_dscnt 0x1
	v_add_f64_e32 v[4:5], v[12:13], v[4:5]
	v_add_f64_e32 v[6:7], v[14:15], v[6:7]
	s_wait_dscnt 0x0
	s_delay_alu instid0(VALU_DEP_2) | instskip(NEXT) | instid1(VALU_DEP_2)
	;; [unrolled: 9-line block ×3, first 2 shown]
	v_add_f64_e32 v[5:6], v[4:5], v[8:9]
	v_add_f64_e32 v[7:8], v[12:13], v[10:11]
.LBB122_34:                             ;   in Loop: Header=BB122_4 Depth=1
	s_wait_alu 0xfffe
	s_or_b32 exec_lo, exec_lo, s18
	v_add_co_u32 v13, vcc_lo, v2, s56
	s_wait_alu 0xfffd
	v_add_co_ci_u32_e64 v14, null, s57, v3, vcc_lo
	s_mov_b32 s18, -1
	v_add_co_u32 v11, vcc_lo, 0x200, v13
	s_wait_alu 0xfffd
	v_add_co_ci_u32_e64 v12, null, 0, v14, vcc_lo
	s_and_b32 vcc_lo, exec_lo, s65
	s_wait_loadcnt 0x0
	s_barrier_signal -1
	s_barrier_wait -1
	global_inv scope:SCOPE_SE
                                        ; implicit-def: $vgpr9_vgpr10
	s_wait_alu 0xfffe
	s_cbranch_vccz .LBB122_46
; %bb.35:                               ;   in Loop: Header=BB122_4 Depth=1
	s_and_saveexec_b32 s18, s12
	s_wait_alu 0xfffe
	s_xor_b32 s18, exec_lo, s18
; %bb.36:                               ;   in Loop: Header=BB122_4 Depth=1
	v_dual_mov_b32 v2, v1 :: v_dual_mov_b32 v3, v1
	v_mov_b32_e32 v4, v1
	ds_store_b128 v184, v[1:4]
; %bb.37:                               ;   in Loop: Header=BB122_4 Depth=1
	s_wait_alu 0xfffe
	s_or_saveexec_b32 s18, s18
	v_add_co_u32 v2, vcc_lo, v13, v235
	s_wait_alu 0xfffd
	v_add_co_ci_u32_e64 v3, null, v14, v236, vcc_lo
	s_lshl_b64 s[60:61], s[34:35], 4
	s_wait_alu 0xfffe
	v_add_co_u32 v2, vcc_lo, v2, s60
	s_wait_alu 0xfffd
	v_add_co_ci_u32_e64 v3, null, s61, v3, vcc_lo
	s_delay_alu instid0(VALU_DEP_2) | instskip(SKIP_1) | instid1(VALU_DEP_2)
	v_add_co_u32 v2, vcc_lo, v2, -16
	s_wait_alu 0xfffd
	v_add_co_ci_u32_e64 v3, null, -1, v3, vcc_lo
	s_delay_alu instid0(VALU_DEP_2) | instskip(NEXT) | instid1(VALU_DEP_2)
	v_cndmask_b32_e64 v9, v2, v11, s11
	v_cndmask_b32_e64 v10, v3, v12, s11
	s_xor_b32 exec_lo, exec_lo, s18
	s_cbranch_execnz .LBB122_145
; %bb.38:                               ;   in Loop: Header=BB122_4 Depth=1
	s_or_b32 exec_lo, exec_lo, s18
	s_and_saveexec_b32 s18, s13
	s_wait_alu 0xfffe
	s_xor_b32 s18, exec_lo, s18
	s_cbranch_execnz .LBB122_146
.LBB122_39:                             ;   in Loop: Header=BB122_4 Depth=1
	s_wait_alu 0xfffe
	s_and_not1_saveexec_b32 s18, s18
	s_cbranch_execnz .LBB122_147
.LBB122_40:                             ;   in Loop: Header=BB122_4 Depth=1
	s_wait_alu 0xfffe
	s_or_b32 exec_lo, exec_lo, s18
	s_and_saveexec_b32 s18, s14
	s_wait_alu 0xfffe
	s_xor_b32 s18, exec_lo, s18
	s_cbranch_execnz .LBB122_148
.LBB122_41:                             ;   in Loop: Header=BB122_4 Depth=1
	s_wait_alu 0xfffe
	s_and_not1_saveexec_b32 s18, s18
	s_cbranch_execnz .LBB122_149
.LBB122_42:                             ;   in Loop: Header=BB122_4 Depth=1
	s_wait_alu 0xfffe
	s_or_b32 exec_lo, exec_lo, s18
	s_and_saveexec_b32 s18, s15
	s_wait_alu 0xfffe
	s_xor_b32 s18, exec_lo, s18
	s_cbranch_execnz .LBB122_150
.LBB122_43:                             ;   in Loop: Header=BB122_4 Depth=1
	s_wait_alu 0xfffe
	s_and_not1_saveexec_b32 s18, s18
	s_cbranch_execz .LBB122_45
.LBB122_44:                             ;   in Loop: Header=BB122_4 Depth=1
	v_add_co_u32 v2, vcc_lo, v9, s52
	s_wait_alu 0xfffd
	v_add_co_ci_u32_e64 v3, null, s53, v10, vcc_lo
	global_load_b128 v[15:18], v[2:3], off
	s_wait_loadcnt 0x0
	ds_store_2addr_b64 v178, v[15:16], v[17:18] offset1:1
.LBB122_45:                             ;   in Loop: Header=BB122_4 Depth=1
	s_wait_alu 0xfffe
	s_or_b32 exec_lo, exec_lo, s18
	v_add_co_u32 v2, vcc_lo, v9, v239
	s_wait_alu 0xfffd
	v_add_co_ci_u32_e64 v3, null, 0, v10, vcc_lo
	s_lshl_b64 s[60:61], s[54:55], 4
	s_mov_b32 s18, 0
	s_wait_alu 0xfffe
	v_add_co_u32 v2, vcc_lo, v2, s60
	s_wait_alu 0xfffd
	v_add_co_ci_u32_e64 v3, null, s61, v3, vcc_lo
	s_delay_alu instid0(VALU_DEP_2) | instskip(SKIP_1) | instid1(VALU_DEP_2)
	v_add_co_u32 v2, vcc_lo, 0x210, v2
	s_wait_alu 0xfffd
	v_add_co_ci_u32_e64 v3, null, 0, v3, vcc_lo
	s_delay_alu instid0(VALU_DEP_2) | instskip(NEXT) | instid1(VALU_DEP_2)
	v_cndmask_b32_e64 v9, v2, v11, s11
	v_cndmask_b32_e64 v10, v3, v12, s11
.LBB122_46:                             ;   in Loop: Header=BB122_4 Depth=1
	s_and_b32 vcc_lo, exec_lo, s18
	s_wait_alu 0xfffe
	s_cbranch_vccz .LBB122_48
; %bb.47:                               ;   in Loop: Header=BB122_4 Depth=1
	v_add_co_u32 v2, vcc_lo, v13, s48
	s_wait_alu 0xfffd
	v_add_co_ci_u32_e64 v3, null, s49, v14, vcc_lo
	s_delay_alu instid0(VALU_DEP_2) | instskip(SKIP_1) | instid1(VALU_DEP_2)
	v_add_co_u32 v9, vcc_lo, v2, s48
	s_wait_alu 0xfffd
	v_add_co_ci_u32_e64 v10, null, s49, v3, vcc_lo
	s_delay_alu instid0(VALU_DEP_2) | instskip(SKIP_1) | instid1(VALU_DEP_2)
	v_add_co_u32 v25, vcc_lo, v9, s48
	s_wait_alu 0xfffd
	v_add_co_ci_u32_e64 v26, null, s49, v10, vcc_lo
	s_clause 0x3
	global_load_b128 v[13:16], v[11:12], off
	global_load_b128 v[17:20], v[2:3], off offset:512
	global_load_b128 v[21:24], v[9:10], off offset:512
	;; [unrolled: 1-line block ×3, first 2 shown]
	v_dual_mov_b32 v9, v11 :: v_dual_mov_b32 v10, v12
	s_wait_loadcnt 0x3
	ds_store_2addr_b64 v184, v[13:14], v[15:16] offset1:1
	s_wait_loadcnt 0x2
	ds_store_2addr_b64 v204, v[17:18], v[19:20] offset1:1
	;; [unrolled: 2-line block ×4, first 2 shown]
.LBB122_48:                             ;   in Loop: Header=BB122_4 Depth=1
	s_wait_loadcnt_dscnt 0x0
	s_barrier_signal -1
	s_barrier_wait -1
	global_inv scope:SCOPE_SE
	s_and_saveexec_b32 s18, s6
	s_cbranch_execnz .LBB122_136
; %bb.49:                               ;   in Loop: Header=BB122_4 Depth=1
	s_wait_alu 0xfffe
	s_or_b32 exec_lo, exec_lo, s18
	s_and_saveexec_b32 s18, s7
	s_cbranch_execnz .LBB122_137
.LBB122_50:                             ;   in Loop: Header=BB122_4 Depth=1
	s_wait_alu 0xfffe
	s_or_b32 exec_lo, exec_lo, s18
	s_and_saveexec_b32 s18, s8
	s_cbranch_execnz .LBB122_138
.LBB122_51:                             ;   in Loop: Header=BB122_4 Depth=1
	s_wait_alu 0xfffe
	s_or_b32 exec_lo, exec_lo, s18
	s_and_saveexec_b32 s18, s9
	s_cbranch_execz .LBB122_53
.LBB122_52:                             ;   in Loop: Header=BB122_4 Depth=1
	ds_load_b128 v[11:14], v193
	v_add_nc_u32_e32 v2, 48, v196
	s_wait_dscnt 0x0
	ds_store_b128 v2, v[11:14]
.LBB122_53:                             ;   in Loop: Header=BB122_4 Depth=1
	s_wait_alu 0xfffe
	s_or_b32 exec_lo, exec_lo, s18
	s_wait_loadcnt_dscnt 0x0
	s_barrier_signal -1
	s_barrier_wait -1
	global_inv scope:SCOPE_SE
	ds_load_b128 v[11:14], v189
	ds_load_b128 v[15:18], v194 offset:512
	ds_load_b128 v[19:22], v194 offset:528
	ds_load_b128 v[23:26], v190
	s_wait_dscnt 0x2
	v_mul_f64_e32 v[2:3], v[17:18], v[13:14]
	v_mul_f64_e32 v[13:14], v[15:16], v[13:14]
	s_wait_dscnt 0x0
	v_mul_f64_e32 v[33:34], v[21:22], v[25:26]
	v_mul_f64_e32 v[35:36], v[19:20], v[25:26]
	s_delay_alu instid0(VALU_DEP_4) | instskip(NEXT) | instid1(VALU_DEP_4)
	v_fma_f64 v[2:3], v[15:16], v[11:12], -v[2:3]
	v_fma_f64 v[37:38], v[17:18], v[11:12], v[13:14]
	ds_load_b128 v[11:14], v191
	ds_load_b128 v[15:18], v194 offset:544
	ds_load_b128 v[25:28], v194 offset:560
	ds_load_b128 v[29:32], v193
	v_fma_f64 v[19:20], v[19:20], v[23:24], -v[33:34]
	v_fma_f64 v[21:22], v[21:22], v[23:24], v[35:36]
	s_wait_loadcnt_dscnt 0x0
	s_barrier_signal -1
	s_barrier_wait -1
	global_inv scope:SCOPE_SE
	v_mul_f64_e32 v[39:40], v[17:18], v[13:14]
	v_mul_f64_e32 v[13:14], v[15:16], v[13:14]
	;; [unrolled: 1-line block ×4, first 2 shown]
	v_add_f64_e32 v[2:3], 0, v[2:3]
	v_add_f64_e32 v[23:24], 0, v[37:38]
	v_fma_f64 v[15:16], v[15:16], v[11:12], -v[39:40]
	v_fma_f64 v[11:12], v[17:18], v[11:12], v[13:14]
	v_fma_f64 v[17:18], v[25:26], v[29:30], -v[33:34]
	v_add_f64_e32 v[2:3], v[2:3], v[19:20]
	v_add_f64_e32 v[13:14], v[23:24], v[21:22]
	v_fma_f64 v[19:20], v[27:28], v[29:30], v[31:32]
	s_delay_alu instid0(VALU_DEP_3) | instskip(NEXT) | instid1(VALU_DEP_3)
	v_add_f64_e32 v[2:3], v[2:3], v[15:16]
	v_add_f64_e32 v[13:14], v[13:14], v[11:12]
	s_delay_alu instid0(VALU_DEP_2) | instskip(NEXT) | instid1(VALU_DEP_2)
	v_add_f64_e32 v[11:12], v[2:3], v[17:18]
	v_add_f64_e32 v[13:14], v[13:14], v[19:20]
	ds_store_b128 v195, v[11:14]
	s_wait_loadcnt_dscnt 0x0
	s_barrier_signal -1
	s_barrier_wait -1
	global_inv scope:SCOPE_SE
	s_and_saveexec_b32 s18, s16
	s_cbranch_execz .LBB122_55
; %bb.54:                               ;   in Loop: Header=BB122_4 Depth=1
	ds_load_b128 v[2:5], v192
	ds_load_b128 v[11:14], v192 offset:16
	s_wait_dscnt 0x0
	v_add_f64_e32 v[6:7], v[11:12], v[2:3]
	v_add_f64_e32 v[15:16], v[13:14], v[4:5]
	ds_load_b128 v[2:5], v192 offset:32
	ds_load_b128 v[11:14], v192 offset:48
	s_wait_dscnt 0x1
	v_add_f64_e32 v[2:3], v[6:7], v[2:3]
	v_add_f64_e32 v[4:5], v[15:16], v[4:5]
	s_wait_dscnt 0x0
	s_delay_alu instid0(VALU_DEP_2) | instskip(NEXT) | instid1(VALU_DEP_2)
	v_add_f64_e32 v[6:7], v[2:3], v[11:12]
	v_add_f64_e32 v[15:16], v[4:5], v[13:14]
	ds_load_b128 v[2:5], v192 offset:64
	ds_load_b128 v[11:14], v192 offset:80
	s_wait_dscnt 0x1
	v_add_f64_e32 v[2:3], v[6:7], v[2:3]
	v_add_f64_e32 v[4:5], v[15:16], v[4:5]
	s_wait_dscnt 0x0
	s_delay_alu instid0(VALU_DEP_2) | instskip(NEXT) | instid1(VALU_DEP_2)
	v_add_f64_e32 v[6:7], v[2:3], v[11:12]
	v_add_f64_e32 v[15:16], v[4:5], v[13:14]
	ds_load_b128 v[2:5], v192 offset:96
	ds_load_b128 v[11:14], v192 offset:112
	s_wait_dscnt 0x1
	v_add_f64_e32 v[2:3], v[6:7], v[2:3]
	v_add_f64_e32 v[7:8], v[15:16], v[4:5]
	s_wait_dscnt 0x0
	s_delay_alu instid0(VALU_DEP_2) | instskip(NEXT) | instid1(VALU_DEP_2)
	v_add_f64_e32 v[5:6], v[2:3], v[11:12]
	v_add_f64_e32 v[7:8], v[7:8], v[13:14]
.LBB122_55:                             ;   in Loop: Header=BB122_4 Depth=1
	s_wait_alu 0xfffe
	s_or_b32 exec_lo, exec_lo, s18
	v_add_co_u32 v11, vcc_lo, 0xfffffe00, v9
	s_wait_alu 0xfffd
	v_add_co_ci_u32_e64 v12, null, -1, v10, vcc_lo
	s_and_b32 vcc_lo, exec_lo, s65
	s_mov_b32 s18, -1
	s_wait_loadcnt 0x0
	s_barrier_signal -1
	s_barrier_wait -1
	global_inv scope:SCOPE_SE
                                        ; implicit-def: $vgpr2_vgpr3
	s_wait_alu 0xfffe
	s_cbranch_vccz .LBB122_67
; %bb.56:                               ;   in Loop: Header=BB122_4 Depth=1
	s_and_saveexec_b32 s18, s12
	s_wait_alu 0xfffe
	s_xor_b32 s18, exec_lo, s18
; %bb.57:                               ;   in Loop: Header=BB122_4 Depth=1
	v_dual_mov_b32 v2, v1 :: v_dual_mov_b32 v3, v1
	v_mov_b32_e32 v4, v1
	ds_store_b128 v184, v[1:4]
; %bb.58:                               ;   in Loop: Header=BB122_4 Depth=1
	s_wait_alu 0xfffe
	s_or_saveexec_b32 s18, s18
	v_add_co_u32 v2, vcc_lo, v9, v235
	s_wait_alu 0xfffd
	v_add_co_ci_u32_e64 v3, null, v10, v236, vcc_lo
	s_lshl_b64 s[60:61], s[34:35], 4
	s_wait_alu 0xfffe
	v_add_co_u32 v2, vcc_lo, v2, s60
	s_wait_alu 0xfffd
	v_add_co_ci_u32_e64 v3, null, s61, v3, vcc_lo
	s_delay_alu instid0(VALU_DEP_2) | instskip(SKIP_1) | instid1(VALU_DEP_2)
	v_add_co_u32 v2, vcc_lo, 0xfffffdf0, v2
	s_wait_alu 0xfffd
	v_add_co_ci_u32_e64 v3, null, -1, v3, vcc_lo
	s_delay_alu instid0(VALU_DEP_2) | instskip(NEXT) | instid1(VALU_DEP_2)
	v_cndmask_b32_e64 v13, v2, v11, s1
	v_cndmask_b32_e64 v14, v3, v12, s1
	s_xor_b32 exec_lo, exec_lo, s18
	s_cbranch_execnz .LBB122_151
; %bb.59:                               ;   in Loop: Header=BB122_4 Depth=1
	s_or_b32 exec_lo, exec_lo, s18
	s_and_saveexec_b32 s18, s13
	s_wait_alu 0xfffe
	s_xor_b32 s18, exec_lo, s18
	s_cbranch_execnz .LBB122_152
.LBB122_60:                             ;   in Loop: Header=BB122_4 Depth=1
	s_wait_alu 0xfffe
	s_and_not1_saveexec_b32 s18, s18
	s_cbranch_execnz .LBB122_153
.LBB122_61:                             ;   in Loop: Header=BB122_4 Depth=1
	s_wait_alu 0xfffe
	s_or_b32 exec_lo, exec_lo, s18
	s_and_saveexec_b32 s18, s14
	s_wait_alu 0xfffe
	s_xor_b32 s18, exec_lo, s18
	s_cbranch_execnz .LBB122_154
.LBB122_62:                             ;   in Loop: Header=BB122_4 Depth=1
	s_wait_alu 0xfffe
	s_and_not1_saveexec_b32 s18, s18
	s_cbranch_execnz .LBB122_155
.LBB122_63:                             ;   in Loop: Header=BB122_4 Depth=1
	s_wait_alu 0xfffe
	s_or_b32 exec_lo, exec_lo, s18
	s_and_saveexec_b32 s18, s15
	s_wait_alu 0xfffe
	s_xor_b32 s18, exec_lo, s18
	s_cbranch_execnz .LBB122_156
.LBB122_64:                             ;   in Loop: Header=BB122_4 Depth=1
	s_wait_alu 0xfffe
	s_and_not1_saveexec_b32 s18, s18
	s_cbranch_execz .LBB122_66
.LBB122_65:                             ;   in Loop: Header=BB122_4 Depth=1
	v_add_co_u32 v2, vcc_lo, v13, s52
	s_wait_alu 0xfffd
	v_add_co_ci_u32_e64 v3, null, s53, v14, vcc_lo
	global_load_b128 v[15:18], v[2:3], off
	s_wait_loadcnt 0x0
	ds_store_2addr_b64 v178, v[15:16], v[17:18] offset1:1
.LBB122_66:                             ;   in Loop: Header=BB122_4 Depth=1
	s_wait_alu 0xfffe
	s_or_b32 exec_lo, exec_lo, s18
	v_add_co_u32 v2, vcc_lo, v13, v239
	s_wait_alu 0xfffd
	v_add_co_ci_u32_e64 v3, null, 0, v14, vcc_lo
	s_lshl_b64 s[60:61], s[54:55], 4
	s_mov_b32 s18, 0
	s_wait_alu 0xfffe
	v_add_co_u32 v2, vcc_lo, v2, s60
	s_wait_alu 0xfffd
	v_add_co_ci_u32_e64 v3, null, s61, v3, vcc_lo
	s_delay_alu instid0(VALU_DEP_2) | instskip(SKIP_1) | instid1(VALU_DEP_2)
	v_add_co_u32 v2, vcc_lo, v2, 16
	s_wait_alu 0xfffd
	v_add_co_ci_u32_e64 v3, null, 0, v3, vcc_lo
	s_delay_alu instid0(VALU_DEP_2) | instskip(NEXT) | instid1(VALU_DEP_2)
	v_cndmask_b32_e64 v2, v2, v11, s1
	v_cndmask_b32_e64 v3, v3, v12, s1
.LBB122_67:                             ;   in Loop: Header=BB122_4 Depth=1
	s_and_b32 vcc_lo, exec_lo, s18
	s_wait_alu 0xfffe
	s_cbranch_vccz .LBB122_69
; %bb.68:                               ;   in Loop: Header=BB122_4 Depth=1
	v_add_co_u32 v2, vcc_lo, v9, s48
	s_wait_alu 0xfffd
	v_add_co_ci_u32_e64 v3, null, s49, v10, vcc_lo
	s_delay_alu instid0(VALU_DEP_2) | instskip(SKIP_1) | instid1(VALU_DEP_2)
	v_add_co_u32 v9, vcc_lo, v2, s48
	s_wait_alu 0xfffd
	v_add_co_ci_u32_e64 v10, null, s49, v3, vcc_lo
	s_delay_alu instid0(VALU_DEP_2) | instskip(SKIP_1) | instid1(VALU_DEP_2)
	v_add_co_u32 v25, vcc_lo, v9, s48
	s_wait_alu 0xfffd
	v_add_co_ci_u32_e64 v26, null, s49, v10, vcc_lo
	s_clause 0x3
	global_load_b128 v[13:16], v[11:12], off
	global_load_b128 v[17:20], v[2:3], off offset:-512
	global_load_b128 v[21:24], v[9:10], off offset:-512
	;; [unrolled: 1-line block ×3, first 2 shown]
	v_dual_mov_b32 v2, v11 :: v_dual_mov_b32 v3, v12
	s_wait_loadcnt 0x3
	ds_store_2addr_b64 v184, v[13:14], v[15:16] offset1:1
	s_wait_loadcnt 0x2
	ds_store_2addr_b64 v204, v[17:18], v[19:20] offset1:1
	;; [unrolled: 2-line block ×4, first 2 shown]
.LBB122_69:                             ;   in Loop: Header=BB122_4 Depth=1
	s_wait_loadcnt_dscnt 0x0
	s_barrier_signal -1
	s_barrier_wait -1
	global_inv scope:SCOPE_SE
	scratch_load_b32 v4, off, off offset:20 ; 4-byte Folded Reload
	s_wait_loadcnt 0x0
	ds_load_b128 v[9:12], v4
	ds_load_b128 v[13:16], v197
	ds_load_b128 v[17:20], v195 offset:384
	ds_load_b128 v[21:24], v197 offset:384
	;; [unrolled: 1-line block ×6, first 2 shown]
	s_wait_dscnt 0x6
	v_mul_f64_e32 v[43:44], v[11:12], v[15:16]
	v_mul_f64_e32 v[15:16], v[9:10], v[15:16]
	s_wait_dscnt 0x2
	v_mul_f64_e32 v[45:46], v[31:32], v[27:28]
	v_mul_f64_e32 v[27:28], v[29:30], v[27:28]
	s_delay_alu instid0(VALU_DEP_4) | instskip(NEXT) | instid1(VALU_DEP_4)
	v_fma_f64 v[9:10], v[9:10], v[13:14], -v[43:44]
	v_fma_f64 v[11:12], v[11:12], v[13:14], v[15:16]
	s_wait_dscnt 0x0
	v_mul_f64_e32 v[13:14], v[35:36], v[39:40]
	v_mul_f64_e32 v[15:16], v[33:34], v[39:40]
	v_fma_f64 v[29:30], v[29:30], v[25:26], -v[45:46]
	v_fma_f64 v[25:26], v[31:32], v[25:26], v[27:28]
	v_mul_f64_e32 v[27:28], v[19:20], v[23:24]
	v_mul_f64_e32 v[23:24], v[17:18], v[23:24]
	v_add_f64_e32 v[9:10], 0, v[9:10]
	v_add_f64_e32 v[11:12], 0, v[11:12]
	v_fma_f64 v[13:14], v[33:34], v[37:38], -v[13:14]
	v_fma_f64 v[15:16], v[35:36], v[37:38], v[15:16]
	v_fma_f64 v[17:18], v[17:18], v[21:22], -v[27:28]
	v_fma_f64 v[19:20], v[19:20], v[21:22], v[23:24]
	v_add_f64_e32 v[9:10], v[9:10], v[29:30]
	v_add_f64_e32 v[11:12], v[11:12], v[25:26]
	s_delay_alu instid0(VALU_DEP_2) | instskip(NEXT) | instid1(VALU_DEP_2)
	v_add_f64_e32 v[9:10], v[9:10], v[13:14]
	v_add_f64_e32 v[11:12], v[11:12], v[15:16]
	s_delay_alu instid0(VALU_DEP_2) | instskip(NEXT) | instid1(VALU_DEP_2)
	v_add_f64_e32 v[43:44], v[9:10], v[17:18]
	v_add_f64_e32 v[45:46], v[11:12], v[19:20]
	ds_load_b128 v[33:36], v194 offset:512
	ds_load_b128 v[25:28], v194 offset:528
	;; [unrolled: 1-line block ×4, first 2 shown]
	ds_load_b128 v[37:40], v189
	ds_load_b128 v[29:32], v190
	ds_load_b128 v[21:24], v191
	ds_load_b128 v[17:20], v193
	s_wait_dscnt 0x0
	s_barrier_signal -1
	s_barrier_wait -1
	global_inv scope:SCOPE_SE
	ds_store_b128 v195, v[43:46]
	s_wait_loadcnt_dscnt 0x0
	s_barrier_signal -1
	s_barrier_wait -1
	global_inv scope:SCOPE_SE
	s_and_saveexec_b32 s18, s16
	s_cbranch_execz .LBB122_71
; %bb.70:                               ;   in Loop: Header=BB122_4 Depth=1
	ds_load_b128 v[43:46], v192
	ds_load_b128 v[47:50], v192 offset:16
	s_wait_dscnt 0x1
	v_add_f64_e32 v[4:5], v[5:6], v[43:44]
	v_add_f64_e32 v[6:7], v[7:8], v[45:46]
	s_wait_dscnt 0x0
	s_delay_alu instid0(VALU_DEP_2) | instskip(NEXT) | instid1(VALU_DEP_2)
	v_add_f64_e32 v[47:48], v[4:5], v[47:48]
	v_add_f64_e32 v[49:50], v[6:7], v[49:50]
	ds_load_b128 v[4:7], v192 offset:32
	ds_load_b128 v[43:46], v192 offset:48
	s_wait_dscnt 0x1
	v_add_f64_e32 v[4:5], v[47:48], v[4:5]
	v_add_f64_e32 v[6:7], v[49:50], v[6:7]
	s_wait_dscnt 0x0
	s_delay_alu instid0(VALU_DEP_2) | instskip(NEXT) | instid1(VALU_DEP_2)
	v_add_f64_e32 v[47:48], v[4:5], v[43:44]
	v_add_f64_e32 v[49:50], v[6:7], v[45:46]
	ds_load_b128 v[4:7], v192 offset:64
	;; [unrolled: 9-line block ×3, first 2 shown]
	ds_load_b128 v[43:46], v192 offset:112
	s_wait_dscnt 0x1
	v_add_f64_e32 v[4:5], v[47:48], v[4:5]
	v_add_f64_e32 v[7:8], v[49:50], v[6:7]
	s_wait_dscnt 0x0
	s_delay_alu instid0(VALU_DEP_2) | instskip(NEXT) | instid1(VALU_DEP_2)
	v_add_f64_e32 v[5:6], v[4:5], v[43:44]
	v_add_f64_e32 v[7:8], v[7:8], v[45:46]
.LBB122_71:                             ;   in Loop: Header=BB122_4 Depth=1
	s_wait_alu 0xfffe
	s_or_b32 exec_lo, exec_lo, s18
	v_mul_f64_e32 v[43:44], v[35:36], v[39:40]
	v_mul_f64_e32 v[39:40], v[33:34], v[39:40]
	;; [unrolled: 1-line block ×4, first 2 shown]
	s_wait_loadcnt 0x0
	s_barrier_signal -1
	s_barrier_wait -1
	global_inv scope:SCOPE_SE
	v_fma_f64 v[33:34], v[33:34], v[37:38], -v[43:44]
	v_fma_f64 v[35:36], v[35:36], v[37:38], v[39:40]
	v_mul_f64_e32 v[37:38], v[15:16], v[23:24]
	v_mul_f64_e32 v[23:24], v[13:14], v[23:24]
	v_fma_f64 v[25:26], v[25:26], v[29:30], -v[45:46]
	v_fma_f64 v[27:28], v[27:28], v[29:30], v[31:32]
	v_add_f64_e32 v[29:30], 0, v[33:34]
	v_add_f64_e32 v[31:32], 0, v[35:36]
	v_mul_f64_e32 v[33:34], v[11:12], v[19:20]
	v_mul_f64_e32 v[19:20], v[9:10], v[19:20]
	v_fma_f64 v[13:14], v[13:14], v[21:22], -v[37:38]
	v_fma_f64 v[15:16], v[15:16], v[21:22], v[23:24]
	v_add_f64_e32 v[21:22], v[29:30], v[25:26]
	v_add_f64_e32 v[23:24], v[31:32], v[27:28]
	v_fma_f64 v[9:10], v[9:10], v[17:18], -v[33:34]
	v_fma_f64 v[11:12], v[11:12], v[17:18], v[19:20]
	s_delay_alu instid0(VALU_DEP_4) | instskip(NEXT) | instid1(VALU_DEP_4)
	v_add_f64_e32 v[13:14], v[21:22], v[13:14]
	v_add_f64_e32 v[15:16], v[23:24], v[15:16]
	s_delay_alu instid0(VALU_DEP_2) | instskip(NEXT) | instid1(VALU_DEP_2)
	v_add_f64_e32 v[9:10], v[13:14], v[9:10]
	v_add_f64_e32 v[11:12], v[15:16], v[11:12]
	ds_store_b128 v195, v[9:12]
	s_wait_loadcnt_dscnt 0x0
	s_barrier_signal -1
	s_barrier_wait -1
	global_inv scope:SCOPE_SE
	s_and_saveexec_b32 s18, s10
	s_cbranch_execz .LBB122_73
; %bb.72:                               ;   in Loop: Header=BB122_4 Depth=1
	ds_load_b128 v[9:12], v192
	ds_load_b128 v[13:16], v192 offset:16
	s_wait_dscnt 0x1
	v_add_f64_e32 v[4:5], v[5:6], v[9:10]
	v_add_f64_e32 v[6:7], v[7:8], v[11:12]
	s_wait_dscnt 0x0
	s_delay_alu instid0(VALU_DEP_2) | instskip(NEXT) | instid1(VALU_DEP_2)
	v_add_f64_e32 v[12:13], v[4:5], v[13:14]
	v_add_f64_e32 v[14:15], v[6:7], v[15:16]
	ds_load_b128 v[4:7], v192 offset:32
	ds_load_b128 v[8:11], v192 offset:48
	s_wait_dscnt 0x1
	v_add_f64_e32 v[4:5], v[12:13], v[4:5]
	v_add_f64_e32 v[6:7], v[14:15], v[6:7]
	s_wait_dscnt 0x0
	s_delay_alu instid0(VALU_DEP_2) | instskip(NEXT) | instid1(VALU_DEP_2)
	v_add_f64_e32 v[12:13], v[4:5], v[8:9]
	v_add_f64_e32 v[14:15], v[6:7], v[10:11]
	ds_load_b128 v[4:7], v192 offset:64
	;; [unrolled: 9-line block ×3, first 2 shown]
	ds_load_b128 v[8:11], v192 offset:112
	s_wait_dscnt 0x1
	v_add_f64_e32 v[4:5], v[12:13], v[4:5]
	v_add_f64_e32 v[12:13], v[14:15], v[6:7]
	s_wait_dscnt 0x0
	s_delay_alu instid0(VALU_DEP_2) | instskip(NEXT) | instid1(VALU_DEP_2)
	v_add_f64_e32 v[5:6], v[4:5], v[8:9]
	v_add_f64_e32 v[7:8], v[12:13], v[10:11]
.LBB122_73:                             ;   in Loop: Header=BB122_4 Depth=1
	s_wait_alu 0xfffe
	s_or_b32 exec_lo, exec_lo, s18
	s_mul_u64 s[60:61], s[40:41], s[28:29]
	s_and_not1_b32 vcc_lo, exec_lo, s19
	s_wait_alu 0xfffe
	s_lshl_b64 s[60:61], s[60:61], 4
	s_wait_loadcnt 0x0
	s_wait_alu 0xfffe
	s_add_nc_u64 s[60:61], s[42:43], s[60:61]
	s_barrier_signal -1
	s_barrier_wait -1
	global_inv scope:SCOPE_SE
	s_cbranch_vccnz .LBB122_131
; %bb.74:                               ;   in Loop: Header=BB122_4 Depth=1
	scratch_load_b32 v4, off, off offset:28 ; 4-byte Folded Reload
	v_add_co_u32 v240, vcc_lo, v41, s58
	s_wait_alu 0xfffd
	v_add_co_ci_u32_e64 v241, null, s59, v42, vcc_lo
	s_mov_b32 s69, ttmp9
	s_mov_b32 s62, s68
	s_wait_loadcnt 0x0
	v_add_co_u32 v242, vcc_lo, v2, v4
	scratch_load_b32 v4, off, off offset:24 ; 4-byte Folded Reload
	s_wait_loadcnt 0x0
	s_wait_alu 0xfffd
	v_add_co_ci_u32_e64 v243, null, v3, v4, vcc_lo
	scratch_load_b32 v4, off, off offset:32 ; 4-byte Folded Reload
	s_wait_loadcnt 0x0
	v_add_co_u32 v244, vcc_lo, v2, v4
	scratch_load_b32 v4, off, off offset:36 ; 4-byte Folded Reload
	s_wait_loadcnt 0x0
	s_wait_alu 0xfffd
	v_add_co_ci_u32_e64 v245, null, v3, v4, vcc_lo
	scratch_load_b32 v4, off, off offset:40 ; 4-byte Folded Reload
	;; [unrolled: 7-line block ×15, first 2 shown]
	s_wait_loadcnt 0x0
	v_add_co_u32 v221, vcc_lo, v2, v4
	scratch_load_b32 v2, off, off offset:144 ; 4-byte Folded Reload
	s_wait_loadcnt 0x0
	s_wait_alu 0xfffd
	v_add_co_ci_u32_e64 v222, null, v3, v2, vcc_lo
	s_cmp_eq_u32 s31, s69
	s_cselect_b32 s70, s64, 0
	s_and_saveexec_b32 s18, s0
	s_cbranch_execz .LBB122_79
.LBB122_75:                             ;   in Loop: Header=BB122_4 Depth=1
	s_wait_alu 0xfffe
	v_cmp_le_i32_e32 vcc_lo, s70, v177
	s_cmp_lg_u32 s70, 0
	s_cselect_b32 s63, -1, 0
	s_wait_alu 0xfffe
	s_and_b32 s63, s63, vcc_lo
	s_wait_alu 0xfffe
	s_and_saveexec_b32 s71, s63
	s_wait_alu 0xfffe
	s_xor_b32 s63, exec_lo, s71
; %bb.76:                               ;   in Loop: Header=BB122_4 Depth=1
	v_dual_mov_b32 v2, v1 :: v_dual_mov_b32 v3, v1
	v_mov_b32_e32 v4, v1
	ds_store_b128 v0, v[1:4]
; %bb.77:                               ;   in Loop: Header=BB122_4 Depth=1
	s_wait_alu 0xfffe
	s_and_not1_saveexec_b32 s63, s63
	s_cbranch_execz .LBB122_79
; %bb.78:                               ;   in Loop: Header=BB122_4 Depth=1
	s_ashr_i32 s63, s62, 31
	s_wait_alu 0xfffe
	s_mul_u64 s[72:73], s[20:21], s[62:63]
	s_wait_alu 0xfffe
	s_lshl_b64 s[72:73], s[72:73], 4
	s_wait_alu 0xfffe
	v_add_co_u32 v2, vcc_lo, v240, s72
	s_wait_alu 0xfffd
	v_add_co_ci_u32_e64 v3, null, s73, v241, vcc_lo
	global_load_b128 v[9:12], v[2:3], off
	s_wait_loadcnt 0x0
	ds_store_2addr_b64 v0, v[9:10], v[11:12] offset1:1
.LBB122_79:                             ;   Parent Loop BB122_4 Depth=1
                                        ; =>  This Inner Loop Header: Depth=2
	s_wait_alu 0xfffe
	s_or_b32 exec_lo, exec_lo, s18
	s_cmp_eq_u32 s70, 0
	v_add_co_u32 v2, vcc_lo, v242, v180
	s_cselect_b32 s63, -1, 0
	s_cmp_lg_u32 s70, 0
	s_wait_alu 0xfffd
	v_add_co_ci_u32_e64 v3, null, 0, v243, vcc_lo
	s_cselect_b32 s18, -1, 0
	s_wait_dscnt 0x0
	s_wait_alu 0xfffe
	s_and_b32 vcc_lo, exec_lo, s18
	s_barrier_signal -1
	s_barrier_wait -1
	global_inv scope:SCOPE_SE
	s_wait_alu 0xfffe
	s_cbranch_vccz .LBB122_87
; %bb.80:                               ;   in Loop: Header=BB122_79 Depth=2
	v_mov_b32_e32 v9, 0
	v_dual_mov_b32 v10, 0 :: v_dual_mov_b32 v13, 0
	v_dual_mov_b32 v15, 0 :: v_dual_mov_b32 v14, 0
	v_mov_b32_e32 v16, 0
	s_mov_b32 s71, exec_lo
	v_cmpx_gt_i32_e64 s70, v198
	s_cbranch_execz .LBB122_82
; %bb.81:                               ;   in Loop: Header=BB122_79 Depth=2
	global_load_b128 v[13:16], v[2:3], off offset:-8
.LBB122_82:                             ;   in Loop: Header=BB122_79 Depth=2
	s_wait_alu 0xfffe
	s_or_b32 exec_lo, exec_lo, s71
	v_mov_b32_e32 v11, 0
	v_or_b32_e32 v4, 1, v198
	v_mov_b32_e32 v12, 0
	s_mov_b32 s71, exec_lo
	s_delay_alu instid0(VALU_DEP_2)
	v_cmpx_gt_i32_e64 s70, v4
	s_cbranch_execz .LBB122_84
; %bb.83:                               ;   in Loop: Header=BB122_79 Depth=2
	v_add_co_u32 v9, vcc_lo, v250, v180
	s_wait_alu 0xfffd
	v_add_co_ci_u32_e64 v10, null, 0, v251, vcc_lo
	global_load_b128 v[9:12], v[9:10], off offset:-8
.LBB122_84:                             ;   in Loop: Header=BB122_79 Depth=2
	s_wait_alu 0xfffe
	s_or_b32 exec_lo, exec_lo, s71
	v_mov_b32_e32 v17, 0
	v_dual_mov_b32 v18, 0 :: v_dual_mov_b32 v19, 0
	v_or_b32_e32 v4, 2, v198
	v_mov_b32_e32 v20, 0
	s_mov_b32 s71, exec_lo
	s_delay_alu instid0(VALU_DEP_2)
	v_cmpx_gt_i32_e64 s70, v4
	s_cbranch_execz .LBB122_86
; %bb.85:                               ;   in Loop: Header=BB122_79 Depth=2
	v_add_co_u32 v17, vcc_lo, v246, v180
	s_wait_alu 0xfffd
	v_add_co_ci_u32_e64 v18, null, 0, v247, vcc_lo
	global_load_b128 v[17:20], v[17:18], off
.LBB122_86:                             ;   in Loop: Header=BB122_79 Depth=2
	s_wait_alu 0xfffe
	s_or_b32 exec_lo, exec_lo, s71
	v_or_b32_e32 v4, 3, v198
	s_delay_alu instid0(VALU_DEP_1)
	v_cmp_gt_i32_e64 s71, s70, v4
	s_branch .LBB122_89
.LBB122_87:                             ;   in Loop: Header=BB122_79 Depth=2
	s_mov_b32 s71, 0
                                        ; implicit-def: $vgpr19_vgpr20
                                        ; implicit-def: $vgpr11_vgpr12
                                        ; implicit-def: $vgpr15_vgpr16
	s_cbranch_execz .LBB122_89
; %bb.88:                               ;   in Loop: Header=BB122_79 Depth=2
	s_wait_loadcnt 0x0
	v_add_co_u32 v9, vcc_lo, v250, v180
	s_wait_alu 0xfffd
	v_add_co_ci_u32_e64 v10, null, 0, v251, vcc_lo
	v_add_co_u32 v17, vcc_lo, v246, v180
	s_wait_alu 0xfffd
	v_add_co_ci_u32_e64 v18, null, 0, v247, vcc_lo
	global_load_b128 v[13:16], v[2:3], off offset:-8
	global_load_b128 v[9:12], v[9:10], off offset:-8
	global_load_b128 v[17:20], v[17:18], off
	s_wait_alu 0xfffe
	s_or_b32 s71, s71, exec_lo
.LBB122_89:                             ;   in Loop: Header=BB122_79 Depth=2
	v_mov_b32_e32 v21, 0
	v_dual_mov_b32 v22, 0 :: v_dual_mov_b32 v23, 0
	v_mov_b32_e32 v24, 0
	s_wait_alu 0xfffe
	s_and_saveexec_b32 s72, s71
	s_cbranch_execz .LBB122_91
; %bb.90:                               ;   in Loop: Header=BB122_79 Depth=2
	v_add_co_u32 v2, vcc_lo, v254, v180
	s_wait_alu 0xfffd
	v_add_co_ci_u32_e64 v3, null, 0, v255, vcc_lo
	global_load_b128 v[21:24], v[2:3], off offset:-8
.LBB122_91:                             ;   in Loop: Header=BB122_79 Depth=2
	s_wait_alu 0xfffe
	s_or_b32 exec_lo, exec_lo, s72
	ds_load_b128 v[29:32], v181
	ds_load_b128 v[25:28], v199
	v_cndmask_b32_e64 v4, 0, 1, s18
	s_wait_loadcnt_dscnt 0x1
	v_mul_f64_e32 v[2:3], v[15:16], v[31:32]
	v_mul_f64_e32 v[33:34], v[13:14], v[31:32]
	;; [unrolled: 1-line block ×8, first 2 shown]
	v_fma_f64 v[41:42], v[13:14], v[29:30], -v[2:3]
	v_fma_f64 v[43:44], v[15:16], v[29:30], v[33:34]
	v_fma_f64 v[45:46], v[9:10], v[29:30], -v[35:36]
	v_fma_f64 v[47:48], v[11:12], v[29:30], v[37:38]
	;; [unrolled: 2-line block ×4, first 2 shown]
	ds_load_b128 v[37:40], v199 offset:16
	ds_load_b128 v[33:36], v199 offset:32
	;; [unrolled: 1-line block ×3, first 2 shown]
	v_add_co_u32 v2, vcc_lo, v207, v180
	s_wait_alu 0xfffd
	v_add_co_ci_u32_e64 v3, null, 0, v208, vcc_lo
	s_and_not1_b32 vcc_lo, exec_lo, s18
	ds_store_b128 v200, v[41:44]
	ds_store_b128 v200, v[45:48] offset:1072
	ds_store_b128 v200, v[49:52] offset:2144
	;; [unrolled: 1-line block ×3, first 2 shown]
	s_wait_dscnt 0x0
	s_barrier_signal -1
	s_barrier_wait -1
	global_inv scope:SCOPE_SE
	ds_load_b128 v[97:100], v201
	ds_load_b128 v[93:96], v201 offset:16
	ds_load_b128 v[89:92], v201 offset:32
	;; [unrolled: 1-line block ×3, first 2 shown]
	s_wait_loadcnt_dscnt 0x0
	s_barrier_signal -1
	s_barrier_wait -1
	global_inv scope:SCOPE_SE
	s_wait_alu 0xfffe
	s_cbranch_vccnz .LBB122_99
; %bb.92:                               ;   in Loop: Header=BB122_79 Depth=2
	v_mov_b32_e32 v41, 0
	v_mov_b32_e32 v45, 0
	;; [unrolled: 1-line block ×3, first 2 shown]
	v_dual_mov_b32 v42, 0 :: v_dual_add_nc_u32 v43, 16, v198
	v_mov_b32_e32 v46, 0
	v_mov_b32_e32 v48, 0
	s_mov_b32 s18, exec_lo
	s_delay_alu instid0(VALU_DEP_3)
	v_cmpx_gt_i32_e64 s70, v43
	s_cbranch_execz .LBB122_94
; %bb.93:                               ;   in Loop: Header=BB122_79 Depth=2
	global_load_b128 v[45:48], v[2:3], off offset:-8
.LBB122_94:                             ;   in Loop: Header=BB122_79 Depth=2
	s_wait_alu 0xfffe
	s_or_b32 exec_lo, exec_lo, s18
	v_mov_b32_e32 v43, 0
	v_dual_mov_b32 v44, 0 :: v_dual_add_nc_u32 v49, 17, v198
	s_mov_b32 s18, exec_lo
	s_delay_alu instid0(VALU_DEP_1)
	v_cmpx_gt_i32_e64 s70, v49
	s_cbranch_execz .LBB122_96
; %bb.95:                               ;   in Loop: Header=BB122_79 Depth=2
	v_add_co_u32 v41, vcc_lo, v211, v180
	s_wait_alu 0xfffd
	v_add_co_ci_u32_e64 v42, null, 0, v212, vcc_lo
	global_load_b128 v[41:44], v[41:42], off offset:-8
.LBB122_96:                             ;   in Loop: Header=BB122_79 Depth=2
	s_wait_alu 0xfffe
	s_or_b32 exec_lo, exec_lo, s18
	v_mov_b32_e32 v49, 0
	v_mov_b32_e32 v51, 0
	v_dual_mov_b32 v50, 0 :: v_dual_add_nc_u32 v53, 18, v198
	v_mov_b32_e32 v52, 0
	s_mov_b32 s18, exec_lo
	s_delay_alu instid0(VALU_DEP_2)
	v_cmpx_gt_i32_e64 s70, v53
	s_cbranch_execz .LBB122_98
; %bb.97:                               ;   in Loop: Header=BB122_79 Depth=2
	v_add_co_u32 v49, vcc_lo, v215, v180
	s_wait_alu 0xfffd
	v_add_co_ci_u32_e64 v50, null, 0, v216, vcc_lo
	global_load_b128 v[49:52], v[49:50], off offset:-8
.LBB122_98:                             ;   in Loop: Header=BB122_79 Depth=2
	s_wait_alu 0xfffe
	s_or_b32 exec_lo, exec_lo, s18
	v_add_nc_u32_e32 v53, 19, v198
	s_delay_alu instid0(VALU_DEP_1)
	v_cmp_gt_i32_e64 s18, s70, v53
	s_branch .LBB122_101
.LBB122_99:                             ;   in Loop: Header=BB122_79 Depth=2
	s_mov_b32 s18, 0
                                        ; implicit-def: $vgpr51_vgpr52
                                        ; implicit-def: $vgpr43_vgpr44
                                        ; implicit-def: $vgpr47_vgpr48
	s_cbranch_execz .LBB122_101
; %bb.100:                              ;   in Loop: Header=BB122_79 Depth=2
	s_wait_loadcnt 0x0
	v_add_co_u32 v41, vcc_lo, v211, v180
	s_wait_alu 0xfffd
	v_add_co_ci_u32_e64 v42, null, 0, v212, vcc_lo
	v_add_co_u32 v49, vcc_lo, v215, v180
	s_wait_alu 0xfffd
	v_add_co_ci_u32_e64 v50, null, 0, v216, vcc_lo
	global_load_b128 v[45:48], v[2:3], off offset:-8
	global_load_b128 v[41:44], v[41:42], off offset:-8
	;; [unrolled: 1-line block ×3, first 2 shown]
	s_wait_alu 0xfffe
	s_or_b32 s18, s18, exec_lo
.LBB122_101:                            ;   in Loop: Header=BB122_79 Depth=2
	v_mov_b32_e32 v53, 0
	v_dual_mov_b32 v54, 0 :: v_dual_mov_b32 v55, 0
	v_mov_b32_e32 v56, 0
	s_wait_alu 0xfffe
	s_and_saveexec_b32 s71, s18
	s_cbranch_execz .LBB122_103
; %bb.102:                              ;   in Loop: Header=BB122_79 Depth=2
	v_add_co_u32 v2, vcc_lo, v219, v180
	s_wait_alu 0xfffd
	v_add_co_ci_u32_e64 v3, null, 0, v220, vcc_lo
	global_load_b128 v[53:56], v[2:3], off offset:-8
.LBB122_103:                            ;   in Loop: Header=BB122_79 Depth=2
	s_wait_alu 0xfffe
	s_or_b32 exec_lo, exec_lo, s71
	ds_load_b128 v[61:64], v181
	ds_load_b128 v[57:60], v199 offset:256
	v_cmp_ne_u32_e32 vcc_lo, 1, v4
	s_and_b32 vcc_lo, exec_lo, vcc_lo
	s_wait_loadcnt_dscnt 0x1
	v_mul_f64_e32 v[2:3], v[47:48], v[63:64]
	v_mul_f64_e32 v[65:66], v[45:46], v[63:64]
	;; [unrolled: 1-line block ×8, first 2 shown]
	v_fma_f64 v[73:74], v[45:46], v[61:62], -v[2:3]
	v_fma_f64 v[75:76], v[47:48], v[61:62], v[65:66]
	v_fma_f64 v[77:78], v[41:42], v[61:62], -v[67:68]
	v_fma_f64 v[79:80], v[43:44], v[61:62], v[69:70]
	;; [unrolled: 2-line block ×4, first 2 shown]
	ds_load_b128 v[69:72], v199 offset:272
	ds_load_b128 v[65:68], v199 offset:288
	;; [unrolled: 1-line block ×3, first 2 shown]
	v_add_co_u32 v2, s18, v221, v180
	s_wait_alu 0xf1ff
	v_add_co_ci_u32_e64 v3, null, 0, v222, s18
	ds_store_b128 v200, v[73:76]
	ds_store_b128 v200, v[77:80] offset:1072
	ds_store_b128 v200, v[81:84] offset:2144
	;; [unrolled: 1-line block ×3, first 2 shown]
	s_wait_dscnt 0x0
	s_barrier_signal -1
	s_barrier_wait -1
	global_inv scope:SCOPE_SE
	ds_load_b128 v[145:148], v201
	ds_load_b128 v[141:144], v201 offset:16
	ds_load_b128 v[137:140], v201 offset:32
	ds_load_b128 v[133:136], v201 offset:48
	s_wait_loadcnt_dscnt 0x0
	s_barrier_signal -1
	s_barrier_wait -1
	global_inv scope:SCOPE_SE
	s_wait_alu 0xfffe
	s_cbranch_vccnz .LBB122_111
; %bb.104:                              ;   in Loop: Header=BB122_79 Depth=2
	v_mov_b32_e32 v73, 0
	v_mov_b32_e32 v77, 0
	;; [unrolled: 1-line block ×3, first 2 shown]
	v_dual_mov_b32 v74, 0 :: v_dual_add_nc_u32 v75, 32, v198
	v_mov_b32_e32 v78, 0
	v_mov_b32_e32 v80, 0
	s_mov_b32 s18, exec_lo
	s_delay_alu instid0(VALU_DEP_3)
	v_cmpx_gt_i32_e64 s70, v75
	s_cbranch_execz .LBB122_106
; %bb.105:                              ;   in Loop: Header=BB122_79 Depth=2
	global_load_b128 v[77:80], v[2:3], off offset:-8
.LBB122_106:                            ;   in Loop: Header=BB122_79 Depth=2
	s_wait_alu 0xfffe
	s_or_b32 exec_lo, exec_lo, s18
	v_mov_b32_e32 v75, 0
	v_dual_mov_b32 v76, 0 :: v_dual_add_nc_u32 v81, 33, v198
	s_mov_b32 s18, exec_lo
	s_delay_alu instid0(VALU_DEP_1)
	v_cmpx_gt_i32_e64 s70, v81
	s_cbranch_execz .LBB122_108
; %bb.107:                              ;   in Loop: Header=BB122_79 Depth=2
	v_add_co_u32 v73, vcc_lo, v217, v180
	s_wait_alu 0xfffd
	v_add_co_ci_u32_e64 v74, null, 0, v218, vcc_lo
	global_load_b128 v[73:76], v[73:74], off
.LBB122_108:                            ;   in Loop: Header=BB122_79 Depth=2
	s_wait_alu 0xfffe
	s_or_b32 exec_lo, exec_lo, s18
	v_mov_b32_e32 v81, 0
	v_mov_b32_e32 v83, 0
	v_dual_mov_b32 v82, 0 :: v_dual_add_nc_u32 v101, 34, v198
	v_mov_b32_e32 v84, 0
	s_mov_b32 s18, exec_lo
	s_delay_alu instid0(VALU_DEP_2)
	v_cmpx_gt_i32_e64 s70, v101
	s_cbranch_execz .LBB122_110
; %bb.109:                              ;   in Loop: Header=BB122_79 Depth=2
	v_add_co_u32 v81, vcc_lo, v213, v180
	s_wait_alu 0xfffd
	v_add_co_ci_u32_e64 v82, null, 0, v214, vcc_lo
	global_load_b128 v[81:84], v[81:82], off
.LBB122_110:                            ;   in Loop: Header=BB122_79 Depth=2
	s_wait_alu 0xfffe
	s_or_b32 exec_lo, exec_lo, s18
	v_add_nc_u32_e32 v101, 35, v198
	s_delay_alu instid0(VALU_DEP_1)
	v_cmp_gt_i32_e64 s18, s70, v101
	s_branch .LBB122_113
.LBB122_111:                            ;   in Loop: Header=BB122_79 Depth=2
	s_mov_b32 s18, 0
                                        ; implicit-def: $vgpr83_vgpr84
                                        ; implicit-def: $vgpr75_vgpr76
                                        ; implicit-def: $vgpr79_vgpr80
	s_cbranch_execz .LBB122_113
; %bb.112:                              ;   in Loop: Header=BB122_79 Depth=2
	s_wait_loadcnt 0x0
	v_add_co_u32 v73, vcc_lo, v217, v180
	s_wait_alu 0xfffd
	v_add_co_ci_u32_e64 v74, null, 0, v218, vcc_lo
	v_add_co_u32 v81, vcc_lo, v213, v180
	s_wait_alu 0xfffd
	v_add_co_ci_u32_e64 v82, null, 0, v214, vcc_lo
	global_load_b128 v[77:80], v[2:3], off offset:-8
	global_load_b128 v[73:76], v[73:74], off
	global_load_b128 v[81:84], v[81:82], off
	s_wait_alu 0xfffe
	s_or_b32 s18, s18, exec_lo
.LBB122_113:                            ;   in Loop: Header=BB122_79 Depth=2
	v_mov_b32_e32 v101, 0
	v_dual_mov_b32 v102, 0 :: v_dual_mov_b32 v103, 0
	v_mov_b32_e32 v104, 0
	s_wait_alu 0xfffe
	s_and_saveexec_b32 s71, s18
	s_cbranch_execz .LBB122_115
; %bb.114:                              ;   in Loop: Header=BB122_79 Depth=2
	v_add_co_u32 v2, vcc_lo, v209, v180
	s_wait_alu 0xfffd
	v_add_co_ci_u32_e64 v3, null, 0, v210, vcc_lo
	global_load_b128 v[101:104], v[2:3], off
.LBB122_115:                            ;   in Loop: Header=BB122_79 Depth=2
	s_wait_alu 0xfffe
	s_or_b32 exec_lo, exec_lo, s71
	ds_load_b128 v[109:112], v181
	ds_load_b128 v[105:108], v199 offset:512
	v_cmp_ne_u32_e32 vcc_lo, 1, v4
	s_and_b32 vcc_lo, exec_lo, vcc_lo
	s_wait_loadcnt_dscnt 0x1
	v_mul_f64_e32 v[2:3], v[79:80], v[111:112]
	v_mul_f64_e32 v[115:116], v[77:78], v[111:112]
	;; [unrolled: 1-line block ×5, first 2 shown]
	v_fma_f64 v[113:114], v[77:78], v[109:110], -v[2:3]
	v_mul_f64_e32 v[2:3], v[81:82], v[111:112]
	v_fma_f64 v[115:116], v[79:80], v[109:110], v[115:116]
	v_fma_f64 v[117:118], v[73:74], v[109:110], -v[117:118]
	v_fma_f64 v[119:120], v[75:76], v[109:110], v[119:120]
	v_fma_f64 v[121:122], v[81:82], v[109:110], -v[121:122]
	ds_store_b128 v200, v[113:116]
	ds_store_b128 v200, v[117:120] offset:1072
	v_fma_f64 v[123:124], v[83:84], v[109:110], v[2:3]
	v_mul_f64_e32 v[2:3], v[103:104], v[111:112]
	v_mul_f64_e32 v[111:112], v[101:102], v[111:112]
	s_delay_alu instid0(VALU_DEP_2) | instskip(NEXT) | instid1(VALU_DEP_2)
	v_fma_f64 v[125:126], v[101:102], v[109:110], -v[2:3]
	v_fma_f64 v[127:128], v[103:104], v[109:110], v[111:112]
	ds_load_b128 v[113:116], v199 offset:528
	ds_load_b128 v[109:112], v199 offset:544
	ds_store_b128 v200, v[121:124] offset:2144
	ds_load_b128 v[117:120], v199 offset:560
	v_add_co_u32 v2, s18, v205, v180
	s_wait_alu 0xf1ff
	v_add_co_ci_u32_e64 v3, null, 0, v206, s18
	ds_store_b128 v200, v[125:128] offset:3216
	s_wait_dscnt 0x0
	s_barrier_signal -1
	s_barrier_wait -1
	global_inv scope:SCOPE_SE
	ds_load_b128 v[169:172], v201
	ds_load_b128 v[165:168], v201 offset:16
	ds_load_b128 v[161:164], v201 offset:32
	;; [unrolled: 1-line block ×3, first 2 shown]
	s_wait_loadcnt_dscnt 0x0
	s_barrier_signal -1
	s_barrier_wait -1
	global_inv scope:SCOPE_SE
	s_wait_alu 0xfffe
	s_cbranch_vccnz .LBB122_123
; %bb.116:                              ;   in Loop: Header=BB122_79 Depth=2
	v_dual_mov_b32 v121, 0 :: v_dual_add_nc_u32 v4, 48, v198
	v_dual_mov_b32 v122, 0 :: v_dual_mov_b32 v125, 0
	v_dual_mov_b32 v126, 0 :: v_dual_mov_b32 v127, 0
	v_mov_b32_e32 v128, 0
	s_mov_b32 s18, exec_lo
	v_cmpx_gt_i32_e64 s70, v4
	s_cbranch_execz .LBB122_118
; %bb.117:                              ;   in Loop: Header=BB122_79 Depth=2
	global_load_b128 v[125:128], v[2:3], off
.LBB122_118:                            ;   in Loop: Header=BB122_79 Depth=2
	s_wait_alu 0xfffe
	s_or_b32 exec_lo, exec_lo, s18
	v_dual_mov_b32 v123, 0 :: v_dual_add_nc_u32 v4, 49, v198
	v_mov_b32_e32 v124, 0
	s_mov_b32 s18, exec_lo
	s_delay_alu instid0(VALU_DEP_2)
	v_cmpx_gt_i32_e64 s70, v4
	s_cbranch_execz .LBB122_120
; %bb.119:                              ;   in Loop: Header=BB122_79 Depth=2
	v_add_co_u32 v121, vcc_lo, v252, v180
	s_wait_alu 0xfffd
	v_add_co_ci_u32_e64 v122, null, 0, v253, vcc_lo
	global_load_b128 v[121:124], v[121:122], off
.LBB122_120:                            ;   in Loop: Header=BB122_79 Depth=2
	s_wait_alu 0xfffe
	s_or_b32 exec_lo, exec_lo, s18
	v_dual_mov_b32 v129, 0 :: v_dual_add_nc_u32 v4, 50, v198
	v_dual_mov_b32 v130, 0 :: v_dual_mov_b32 v131, 0
	v_mov_b32_e32 v132, 0
	s_mov_b32 s18, exec_lo
	s_delay_alu instid0(VALU_DEP_3)
	v_cmpx_gt_i32_e64 s70, v4
	s_cbranch_execz .LBB122_122
; %bb.121:                              ;   in Loop: Header=BB122_79 Depth=2
	v_add_co_u32 v129, vcc_lo, v248, v180
	s_wait_alu 0xfffd
	v_add_co_ci_u32_e64 v130, null, 0, v249, vcc_lo
	global_load_b128 v[129:132], v[129:130], off
.LBB122_122:                            ;   in Loop: Header=BB122_79 Depth=2
	s_wait_alu 0xfffe
	s_or_b32 exec_lo, exec_lo, s18
	v_add_nc_u32_e32 v4, 51, v198
	s_delay_alu instid0(VALU_DEP_1)
	v_cmp_gt_i32_e64 s18, s70, v4
	s_branch .LBB122_125
.LBB122_123:                            ;   in Loop: Header=BB122_79 Depth=2
	s_mov_b32 s18, 0
                                        ; implicit-def: $vgpr131_vgpr132
                                        ; implicit-def: $vgpr123_vgpr124
                                        ; implicit-def: $vgpr127_vgpr128
	s_cbranch_execz .LBB122_125
; %bb.124:                              ;   in Loop: Header=BB122_79 Depth=2
	s_wait_loadcnt 0x0
	v_add_co_u32 v121, vcc_lo, v252, v180
	s_wait_alu 0xfffd
	v_add_co_ci_u32_e64 v122, null, 0, v253, vcc_lo
	v_add_co_u32 v129, vcc_lo, v248, v180
	s_wait_alu 0xfffd
	v_add_co_ci_u32_e64 v130, null, 0, v249, vcc_lo
	global_load_b128 v[125:128], v[2:3], off
	global_load_b128 v[121:124], v[121:122], off
	;; [unrolled: 1-line block ×3, first 2 shown]
	s_wait_alu 0xfffe
	s_or_b32 s18, s18, exec_lo
.LBB122_125:                            ;   in Loop: Header=BB122_79 Depth=2
	v_mov_b32_e32 v149, 0
	v_dual_mov_b32 v150, 0 :: v_dual_mov_b32 v151, 0
	v_mov_b32_e32 v152, 0
	s_wait_alu 0xfffe
	s_and_saveexec_b32 s71, s18
	s_cbranch_execz .LBB122_127
; %bb.126:                              ;   in Loop: Header=BB122_79 Depth=2
	v_add_co_u32 v2, vcc_lo, v244, v180
	s_wait_alu 0xfffd
	v_add_co_ci_u32_e64 v3, null, 0, v245, vcc_lo
	global_load_b128 v[149:152], v[2:3], off
.LBB122_127:                            ;   in Loop: Header=BB122_79 Depth=2
	s_wait_alu 0xfffe
	s_or_b32 exec_lo, exec_lo, s71
	ds_load_b128 v[223:226], v181
	ds_load_b128 v[153:156], v199 offset:768
	v_cmp_gt_i32_e32 vcc_lo, s70, v177
	s_or_b32 s18, s63, vcc_lo
	s_wait_alu 0xfffe
	s_and_b32 s63, s17, s18
	s_wait_loadcnt_dscnt 0x1
	v_mul_f64_e32 v[2:3], v[127:128], v[225:226]
	v_mul_f64_e32 v[173:174], v[125:126], v[225:226]
	;; [unrolled: 1-line block ×3, first 2 shown]
	s_delay_alu instid0(VALU_DEP_3) | instskip(SKIP_1) | instid1(VALU_DEP_4)
	v_fma_f64 v[227:228], v[125:126], v[223:224], -v[2:3]
	v_mul_f64_e32 v[2:3], v[123:124], v[225:226]
	v_fma_f64 v[229:230], v[127:128], v[223:224], v[173:174]
	v_mul_f64_e32 v[173:174], v[121:122], v[225:226]
	v_fma_f64 v[175:176], v[151:152], v[223:224], v[175:176]
	s_delay_alu instid0(VALU_DEP_4) | instskip(SKIP_1) | instid1(VALU_DEP_4)
	v_fma_f64 v[231:232], v[121:122], v[223:224], -v[2:3]
	v_mul_f64_e32 v[2:3], v[131:132], v[225:226]
	v_fma_f64 v[233:234], v[123:124], v[223:224], v[173:174]
	v_mul_f64_e32 v[173:174], v[129:130], v[225:226]
	s_delay_alu instid0(VALU_DEP_3) | instskip(SKIP_1) | instid1(VALU_DEP_3)
	v_fma_f64 v[185:186], v[129:130], v[223:224], -v[2:3]
	v_mul_f64_e32 v[2:3], v[151:152], v[225:226]
	v_fma_f64 v[187:188], v[131:132], v[223:224], v[173:174]
	s_delay_alu instid0(VALU_DEP_2)
	v_fma_f64 v[173:174], v[149:150], v[223:224], -v[2:3]
	v_add_f64_e32 v[2:3], 0, v[169:170]
	v_add_f64_e32 v[169:170], 0, v[171:172]
	ds_store_b128 v200, v[227:230]
	ds_store_b128 v200, v[231:234] offset:1072
	ds_store_b128 v200, v[185:188] offset:2144
	;; [unrolled: 1-line block ×3, first 2 shown]
	v_add_f64_e32 v[2:3], v[2:3], v[165:166]
	v_add_f64_e32 v[165:166], v[169:170], v[167:168]
	s_delay_alu instid0(VALU_DEP_2) | instskip(NEXT) | instid1(VALU_DEP_2)
	v_add_f64_e32 v[2:3], v[2:3], v[161:162]
	v_add_f64_e32 v[161:162], v[165:166], v[163:164]
	s_delay_alu instid0(VALU_DEP_2) | instskip(SKIP_2) | instid1(VALU_DEP_4)
	v_add_f64_e32 v[157:158], v[2:3], v[157:158]
	v_add_f64_e32 v[2:3], 0, v[97:98]
	;; [unrolled: 1-line block ×4, first 2 shown]
	s_delay_alu instid0(VALU_DEP_3) | instskip(NEXT) | instid1(VALU_DEP_3)
	v_add_f64_e32 v[2:3], v[2:3], v[93:94]
	v_add_f64_e32 v[93:94], v[97:98], v[95:96]
	s_delay_alu instid0(VALU_DEP_2) | instskip(NEXT) | instid1(VALU_DEP_2)
	v_add_f64_e32 v[2:3], v[2:3], v[89:90]
	v_add_f64_e32 v[89:90], v[93:94], v[91:92]
	s_delay_alu instid0(VALU_DEP_2) | instskip(SKIP_2) | instid1(VALU_DEP_4)
	v_add_f64_e32 v[97:98], v[2:3], v[85:86]
	v_add_f64_e32 v[85:86], 0, v[147:148]
	;; [unrolled: 1-line block ×4, first 2 shown]
	s_delay_alu instid0(VALU_DEP_3) | instskip(NEXT) | instid1(VALU_DEP_3)
	v_add_f64_e32 v[85:86], v[85:86], v[143:144]
	v_add_f64_e32 v[2:3], v[2:3], v[141:142]
	s_delay_alu instid0(VALU_DEP_2) | instskip(NEXT) | instid1(VALU_DEP_2)
	v_add_f64_e32 v[85:86], v[85:86], v[139:140]
	v_add_f64_e32 v[2:3], v[2:3], v[137:138]
	s_delay_alu instid0(VALU_DEP_2)
	v_add_f64_e32 v[135:136], v[85:86], v[135:136]
	ds_load_b128 v[93:96], v199 offset:784
	ds_load_b128 v[89:92], v199 offset:800
	ds_load_b128 v[85:88], v199 offset:816
	s_wait_dscnt 0x0
	s_barrier_signal -1
	s_barrier_wait -1
	global_inv scope:SCOPE_SE
	ds_load_b128 v[137:140], v201
	ds_load_b128 v[141:144], v201 offset:16
	v_add_f64_e32 v[133:134], v[2:3], v[133:134]
	s_wait_dscnt 0x1
	v_add_f64_e32 v[2:3], 0, v[137:138]
	v_add_f64_e32 v[137:138], 0, v[139:140]
	s_wait_dscnt 0x0
	s_delay_alu instid0(VALU_DEP_2) | instskip(NEXT) | instid1(VALU_DEP_2)
	v_add_f64_e32 v[2:3], v[2:3], v[141:142]
	v_add_f64_e32 v[145:146], v[137:138], v[143:144]
	ds_load_b128 v[137:140], v201 offset:32
	ds_load_b128 v[141:144], v201 offset:48
	s_wait_loadcnt_dscnt 0x0
	s_barrier_signal -1
	s_barrier_wait -1
	global_inv scope:SCOPE_SE
	ds_store_b128 v238, v[97:100]
	ds_store_b128 v238, v[133:136] offset:256
	ds_store_b128 v238, v[157:160] offset:512
	v_add_f64_e32 v[2:3], v[2:3], v[137:138]
	v_add_f64_e32 v[139:140], v[145:146], v[139:140]
	s_delay_alu instid0(VALU_DEP_2) | instskip(NEXT) | instid1(VALU_DEP_2)
	v_add_f64_e32 v[137:138], v[2:3], v[141:142]
	v_add_f64_e32 v[139:140], v[139:140], v[143:144]
	ds_store_b128 v238, v[137:140] offset:768
	s_wait_loadcnt_dscnt 0x0
	s_barrier_signal -1
	s_barrier_wait -1
	global_inv scope:SCOPE_SE
	s_wait_alu 0xfffe
	s_and_saveexec_b32 s18, s63
	s_cbranch_execz .LBB122_129
; %bb.128:                              ;   in Loop: Header=BB122_79 Depth=2
	ds_load_b128 v[97:100], v202
	ds_load_b128 v[133:136], v202 offset:16
	s_wait_dscnt 0x0
	v_add_f64_e32 v[2:3], v[133:134], v[97:98]
	v_add_f64_e32 v[137:138], v[135:136], v[99:100]
	ds_load_b128 v[97:100], v202 offset:32
	ds_load_b128 v[133:136], v202 offset:48
	s_wait_dscnt 0x1
	v_add_f64_e32 v[2:3], v[2:3], v[97:98]
	v_add_f64_e32 v[97:98], v[137:138], v[99:100]
	s_wait_dscnt 0x0
	s_delay_alu instid0(VALU_DEP_2) | instskip(NEXT) | instid1(VALU_DEP_2)
	v_add_f64_e32 v[2:3], v[2:3], v[133:134]
	v_add_f64_e32 v[137:138], v[97:98], v[135:136]
	ds_load_b128 v[97:100], v202 offset:64
	ds_load_b128 v[133:136], v202 offset:80
	s_wait_dscnt 0x1
	v_add_f64_e32 v[2:3], v[2:3], v[97:98]
	v_add_f64_e32 v[97:98], v[137:138], v[99:100]
	s_wait_dscnt 0x0
	s_delay_alu instid0(VALU_DEP_2) | instskip(NEXT) | instid1(VALU_DEP_2)
	;; [unrolled: 9-line block ×6, first 2 shown]
	v_add_f64_e32 v[2:3], v[2:3], v[133:134]
	v_add_f64_e32 v[137:138], v[97:98], v[135:136]
	ds_load_b128 v[97:100], v202 offset:224
	ds_load_b128 v[133:136], v203
	s_wait_dscnt 0x1
	v_add_f64_e32 v[2:3], v[2:3], v[97:98]
	v_add_f64_e32 v[99:100], v[137:138], v[99:100]
	s_wait_dscnt 0x0
	s_delay_alu instid0(VALU_DEP_2) | instskip(NEXT) | instid1(VALU_DEP_2)
	v_add_f64_e32 v[97:98], v[2:3], v[133:134]
	v_add_f64_e32 v[99:100], v[99:100], v[135:136]
	v_add_nc_u32_e32 v2, s62, v177
	s_delay_alu instid0(VALU_DEP_1) | instskip(NEXT) | instid1(VALU_DEP_1)
	v_ashrrev_i32_e32 v3, 31, v2
	v_lshlrev_b64_e32 v[2:3], 4, v[2:3]
	s_delay_alu instid0(VALU_DEP_1) | instskip(SKIP_1) | instid1(VALU_DEP_2)
	v_add_co_u32 v2, vcc_lo, s60, v2
	s_wait_alu 0xfffd
	v_add_co_ci_u32_e64 v3, null, s61, v3, vcc_lo
	global_store_b128 v[2:3], v[97:100], off
.LBB122_129:                            ;   in Loop: Header=BB122_79 Depth=2
	s_wait_alu 0xfffe
	s_or_b32 exec_lo, exec_lo, s18
	v_mul_f64_e32 v[2:3], v[15:16], v[27:28]
	v_add_co_u32 v242, vcc_lo, v242, s44
	s_wait_alu 0xfffd
	v_add_co_ci_u32_e64 v243, null, s45, v243, vcc_lo
	v_add_co_u32 v244, vcc_lo, v244, s44
	s_wait_alu 0xfffd
	v_add_co_ci_u32_e64 v245, null, s45, v245, vcc_lo
	;; [unrolled: 3-line block ×9, first 2 shown]
	v_add_co_u32 v209, vcc_lo, v209, s44
	v_fma_f64 v[2:3], v[13:14], v[25:26], -v[2:3]
	v_mul_f64_e32 v[13:14], v[13:14], v[27:28]
	v_mul_f64_e32 v[27:28], v[43:44], v[71:72]
	s_wait_alu 0xfffd
	v_add_co_ci_u32_e64 v210, null, s45, v210, vcc_lo
	v_add_co_u32 v211, vcc_lo, v211, s44
	s_wait_alu 0xfffd
	v_add_co_ci_u32_e64 v212, null, s45, v212, vcc_lo
	v_add_co_u32 v213, vcc_lo, v213, s44
	;; [unrolled: 3-line block ×6, first 2 shown]
	s_wait_alu 0xfffd
	v_add_co_ci_u32_e64 v222, null, s45, v222, vcc_lo
	s_add_co_i32 s63, s69, 2
	s_add_co_i32 s18, s69, 1
	s_add_co_i32 s62, s62, 64
	s_wait_alu 0xfffe
	s_cmp_ge_u32 s63, s30
	s_wait_loadcnt 0x0
	s_wait_storecnt 0x0
	s_barrier_signal -1
	s_barrier_wait -1
	global_inv scope:SCOPE_SE
	v_add_f64_e32 v[2:3], v[5:6], v[2:3]
	v_fma_f64 v[13:14], v[15:16], v[25:26], v[13:14]
	v_mul_f64_e32 v[15:16], v[11:12], v[39:40]
	v_mul_f64_e32 v[25:26], v[45:46], v[59:60]
	v_fma_f64 v[27:28], v[41:42], v[69:70], -v[27:28]
	s_delay_alu instid0(VALU_DEP_4) | instskip(NEXT) | instid1(VALU_DEP_4)
	v_add_f64_e32 v[4:5], v[7:8], v[13:14]
	v_fma_f64 v[15:16], v[9:10], v[37:38], -v[15:16]
	v_mul_f64_e32 v[9:10], v[9:10], v[39:40]
	v_fma_f64 v[25:26], v[47:48], v[57:58], v[25:26]
	v_mul_f64_e32 v[39:40], v[79:80], v[107:108]
	s_delay_alu instid0(VALU_DEP_4) | instskip(NEXT) | instid1(VALU_DEP_4)
	v_add_f64_e32 v[2:3], v[2:3], v[15:16]
	v_fma_f64 v[9:10], v[11:12], v[37:38], v[9:10]
	v_mul_f64_e32 v[11:12], v[19:20], v[35:36]
	v_mul_f64_e32 v[37:38], v[53:54], v[63:64]
	v_fma_f64 v[39:40], v[77:78], v[105:106], -v[39:40]
	s_delay_alu instid0(VALU_DEP_4) | instskip(NEXT) | instid1(VALU_DEP_4)
	v_add_f64_e32 v[4:5], v[4:5], v[9:10]
	v_fma_f64 v[11:12], v[17:18], v[33:34], -v[11:12]
	v_mul_f64_e32 v[17:18], v[17:18], v[35:36]
	v_mul_f64_e32 v[35:36], v[55:56], v[63:64]
	v_fma_f64 v[37:38], v[55:56], v[61:62], v[37:38]
	v_mul_f64_e32 v[55:56], v[127:128], v[155:156]
	v_mul_f64_e32 v[63:64], v[131:132], v[91:92]
	v_add_f64_e32 v[2:3], v[2:3], v[11:12]
	v_fma_f64 v[17:18], v[19:20], v[33:34], v[17:18]
	v_mul_f64_e32 v[19:20], v[23:24], v[31:32]
	v_mul_f64_e32 v[33:34], v[49:50], v[67:68]
	v_fma_f64 v[35:36], v[53:54], v[61:62], -v[35:36]
	v_mul_f64_e32 v[53:54], v[101:102], v[119:120]
	v_fma_f64 v[55:56], v[125:126], v[153:154], -v[55:56]
	v_mul_f64_e32 v[61:62], v[121:122], v[95:96]
	v_fma_f64 v[63:64], v[129:130], v[89:90], -v[63:64]
	v_add_f64_e32 v[4:5], v[4:5], v[17:18]
	v_fma_f64 v[19:20], v[21:22], v[29:30], -v[19:20]
	v_mul_f64_e32 v[21:22], v[21:22], v[31:32]
	v_mul_f64_e32 v[31:32], v[51:52], v[67:68]
	v_fma_f64 v[33:34], v[51:52], v[65:66], v[33:34]
	v_mul_f64_e32 v[51:52], v[103:104], v[119:120]
	v_fma_f64 v[53:54], v[103:104], v[117:118], v[53:54]
	v_fma_f64 v[61:62], v[123:124], v[93:94], v[61:62]
	v_mul_f64_e32 v[67:68], v[151:152], v[87:88]
	v_add_f64_e32 v[2:3], v[2:3], v[19:20]
	v_fma_f64 v[21:22], v[23:24], v[29:30], v[21:22]
	v_mul_f64_e32 v[23:24], v[47:48], v[59:60]
	v_mul_f64_e32 v[29:30], v[41:42], v[71:72]
	v_fma_f64 v[31:32], v[49:50], v[65:66], -v[31:32]
	v_mul_f64_e32 v[41:42], v[77:78], v[107:108]
	v_mul_f64_e32 v[47:48], v[83:84], v[111:112]
	;; [unrolled: 1-line block ×3, first 2 shown]
	v_fma_f64 v[51:52], v[101:102], v[117:118], -v[51:52]
	v_mul_f64_e32 v[59:60], v[123:124], v[95:96]
	v_mul_f64_e32 v[65:66], v[129:130], v[91:92]
	v_fma_f64 v[67:68], v[149:150], v[85:86], -v[67:68]
	v_add_f64_e32 v[4:5], v[4:5], v[21:22]
	v_fma_f64 v[23:24], v[45:46], v[57:58], -v[23:24]
	v_fma_f64 v[29:30], v[43:44], v[69:70], v[29:30]
	v_mul_f64_e32 v[43:44], v[75:76], v[115:116]
	v_fma_f64 v[41:42], v[79:80], v[105:106], v[41:42]
	v_mul_f64_e32 v[45:46], v[73:74], v[115:116]
	v_fma_f64 v[47:48], v[81:82], v[109:110], -v[47:48]
	v_fma_f64 v[49:50], v[83:84], v[109:110], v[49:50]
	v_mul_f64_e32 v[57:58], v[125:126], v[155:156]
	v_fma_f64 v[59:60], v[121:122], v[93:94], -v[59:60]
	v_fma_f64 v[65:66], v[131:132], v[89:90], v[65:66]
	v_mul_f64_e32 v[69:70], v[149:150], v[87:88]
	v_add_f64_e32 v[4:5], v[4:5], v[25:26]
	v_add_f64_e32 v[2:3], v[2:3], v[23:24]
	v_fma_f64 v[43:44], v[73:74], v[113:114], -v[43:44]
	v_fma_f64 v[45:46], v[75:76], v[113:114], v[45:46]
	v_fma_f64 v[57:58], v[127:128], v[153:154], v[57:58]
	;; [unrolled: 1-line block ×3, first 2 shown]
	v_add_f64_e32 v[4:5], v[4:5], v[29:30]
	v_add_f64_e32 v[2:3], v[2:3], v[27:28]
	s_delay_alu instid0(VALU_DEP_2) | instskip(NEXT) | instid1(VALU_DEP_2)
	v_add_f64_e32 v[4:5], v[4:5], v[33:34]
	v_add_f64_e32 v[2:3], v[2:3], v[31:32]
	s_delay_alu instid0(VALU_DEP_2) | instskip(NEXT) | instid1(VALU_DEP_2)
	;; [unrolled: 3-line block ×10, first 2 shown]
	v_add_f64_e32 v[7:8], v[7:8], v[69:70]
	v_add_f64_e32 v[5:6], v[2:3], v[67:68]
	s_cbranch_scc1 .LBB122_131
; %bb.130:                              ;   in Loop: Header=BB122_79 Depth=2
	s_mov_b32 s69, s18
	s_delay_alu instid0(SALU_CYCLE_1)
	s_cmp_eq_u32 s31, s69
	s_cselect_b32 s70, s64, 0
	s_and_saveexec_b32 s18, s0
	s_cbranch_execnz .LBB122_75
	s_branch .LBB122_79
.LBB122_131:                            ;   in Loop: Header=BB122_4 Depth=1
	scratch_load_b32 v2, off, off offset:16 ; 4-byte Folded Reload
	s_wait_loadcnt 0x0
	ds_store_b128 v2, v[5:8]
	s_wait_dscnt 0x0
	s_barrier_signal -1
	s_barrier_wait -1
	global_inv scope:SCOPE_SE
	s_and_saveexec_b32 s18, s67
	s_cbranch_execz .LBB122_2
; %bb.132:                              ;   in Loop: Header=BB122_4 Depth=1
	ds_load_b128 v[2:5], v180 offset:1072
	ds_load_b128 v[6:9], v180
	s_wait_dscnt 0x0
	v_add_f64_e32 v[10:11], v[2:3], v[6:7]
	v_add_f64_e32 v[12:13], v[4:5], v[8:9]
	ds_load_b128 v[2:5], v180 offset:2144
	ds_load_b128 v[6:9], v180 offset:3216
	s_wait_dscnt 0x1
	v_add_f64_e32 v[2:3], v[10:11], v[2:3]
	v_add_f64_e32 v[4:5], v[12:13], v[4:5]
	s_wait_dscnt 0x0
	s_delay_alu instid0(VALU_DEP_2) | instskip(NEXT) | instid1(VALU_DEP_2)
	v_add_f64_e32 v[2:3], v[2:3], v[6:7]
	v_add_f64_e32 v[4:5], v[4:5], v[8:9]
	s_wait_alu 0xfffe
	v_add_co_u32 v6, vcc_lo, s60, v182
	s_wait_alu 0xfffd
	v_add_co_ci_u32_e64 v7, null, s61, v183, vcc_lo
	global_store_b128 v[6:7], v[2:5], off
	s_branch .LBB122_2
.LBB122_133:                            ;   in Loop: Header=BB122_4 Depth=1
	ds_load_b128 v[4:7], v189
	s_wait_dscnt 0x0
	ds_store_b128 v179, v[4:7]
	s_wait_alu 0xfffe
	s_or_b32 exec_lo, exec_lo, s18
	s_and_saveexec_b32 s18, s7
	s_cbranch_execz .LBB122_29
.LBB122_134:                            ;   in Loop: Header=BB122_4 Depth=1
	ds_load_b128 v[4:7], v190
	v_add_nc_u32_e32 v8, 16, v179
	s_wait_dscnt 0x0
	ds_store_b128 v8, v[4:7]
	s_wait_alu 0xfffe
	s_or_b32 exec_lo, exec_lo, s18
	s_and_saveexec_b32 s18, s8
	s_cbranch_execz .LBB122_30
.LBB122_135:                            ;   in Loop: Header=BB122_4 Depth=1
	ds_load_b128 v[4:7], v191
	v_add_nc_u32_e32 v8, 32, v179
	s_wait_dscnt 0x0
	ds_store_b128 v8, v[4:7]
	s_wait_alu 0xfffe
	s_or_b32 exec_lo, exec_lo, s18
	s_and_saveexec_b32 s18, s9
	s_cbranch_execnz .LBB122_31
	s_branch .LBB122_32
.LBB122_136:                            ;   in Loop: Header=BB122_4 Depth=1
	ds_load_b128 v[11:14], v189
	s_wait_dscnt 0x0
	ds_store_b128 v196, v[11:14]
	s_wait_alu 0xfffe
	s_or_b32 exec_lo, exec_lo, s18
	s_and_saveexec_b32 s18, s7
	s_cbranch_execz .LBB122_50
.LBB122_137:                            ;   in Loop: Header=BB122_4 Depth=1
	ds_load_b128 v[11:14], v190
	v_add_nc_u32_e32 v2, 16, v196
	s_wait_dscnt 0x0
	ds_store_b128 v2, v[11:14]
	s_wait_alu 0xfffe
	s_or_b32 exec_lo, exec_lo, s18
	s_and_saveexec_b32 s18, s8
	s_cbranch_execz .LBB122_51
.LBB122_138:                            ;   in Loop: Header=BB122_4 Depth=1
	ds_load_b128 v[11:14], v191
	v_add_nc_u32_e32 v2, 32, v196
	s_wait_dscnt 0x0
	ds_store_b128 v2, v[11:14]
	s_wait_alu 0xfffe
	s_or_b32 exec_lo, exec_lo, s18
	s_and_saveexec_b32 s18, s9
	s_cbranch_execnz .LBB122_52
	s_branch .LBB122_53
.LBB122_139:                            ;   in Loop: Header=BB122_4 Depth=1
	global_load_b128 v[9:12], v[7:8], off
	s_wait_loadcnt 0x0
	ds_store_2addr_b64 v184, v[9:10], v[11:12] offset1:1
	s_or_b32 exec_lo, exec_lo, s18
	s_and_saveexec_b32 s18, s3
	s_wait_alu 0xfffe
	s_xor_b32 s18, exec_lo, s18
	s_cbranch_execz .LBB122_18
.LBB122_140:                            ;   in Loop: Header=BB122_4 Depth=1
	v_dual_mov_b32 v2, v1 :: v_dual_mov_b32 v3, v1
	v_mov_b32_e32 v4, v1
	ds_store_b128 v204, v[1:4]
	s_wait_alu 0xfffe
	s_and_not1_saveexec_b32 s18, s18
	s_cbranch_execz .LBB122_19
.LBB122_141:                            ;   in Loop: Header=BB122_4 Depth=1
	v_add_co_u32 v2, vcc_lo, v7, s48
	s_wait_alu 0xfffd
	v_add_co_ci_u32_e64 v3, null, s49, v8, vcc_lo
	global_load_b128 v[9:12], v[2:3], off
	s_wait_loadcnt 0x0
	ds_store_2addr_b64 v204, v[9:10], v[11:12] offset1:1
	s_wait_alu 0xfffe
	s_or_b32 exec_lo, exec_lo, s18
	s_and_saveexec_b32 s18, s4
	s_wait_alu 0xfffe
	s_xor_b32 s18, exec_lo, s18
	s_cbranch_execz .LBB122_20
.LBB122_142:                            ;   in Loop: Header=BB122_4 Depth=1
	v_dual_mov_b32 v2, v1 :: v_dual_mov_b32 v3, v1
	v_mov_b32_e32 v4, v1
	ds_store_b128 v237, v[1:4]
	s_wait_alu 0xfffe
	s_and_not1_saveexec_b32 s18, s18
	s_cbranch_execz .LBB122_21
.LBB122_143:                            ;   in Loop: Header=BB122_4 Depth=1
	v_add_co_u32 v2, vcc_lo, v7, s50
	s_wait_alu 0xfffd
	v_add_co_ci_u32_e64 v3, null, s51, v8, vcc_lo
	global_load_b128 v[9:12], v[2:3], off
	s_wait_loadcnt 0x0
	ds_store_2addr_b64 v237, v[9:10], v[11:12] offset1:1
	s_wait_alu 0xfffe
	s_or_b32 exec_lo, exec_lo, s18
	s_and_saveexec_b32 s18, s5
	s_wait_alu 0xfffe
	s_xor_b32 s18, exec_lo, s18
	s_cbranch_execz .LBB122_22
.LBB122_144:                            ;   in Loop: Header=BB122_4 Depth=1
	v_dual_mov_b32 v2, v1 :: v_dual_mov_b32 v3, v1
	v_mov_b32_e32 v4, v1
	ds_store_b128 v178, v[1:4]
	s_wait_alu 0xfffe
	s_and_not1_saveexec_b32 s18, s18
	s_cbranch_execnz .LBB122_23
	s_branch .LBB122_24
.LBB122_145:                            ;   in Loop: Header=BB122_4 Depth=1
	global_load_b128 v[15:18], v[9:10], off
	s_wait_loadcnt 0x0
	ds_store_2addr_b64 v184, v[15:16], v[17:18] offset1:1
	s_or_b32 exec_lo, exec_lo, s18
	s_and_saveexec_b32 s18, s13
	s_wait_alu 0xfffe
	s_xor_b32 s18, exec_lo, s18
	s_cbranch_execz .LBB122_39
.LBB122_146:                            ;   in Loop: Header=BB122_4 Depth=1
	v_dual_mov_b32 v2, v1 :: v_dual_mov_b32 v3, v1
	v_mov_b32_e32 v4, v1
	ds_store_b128 v204, v[1:4]
	s_wait_alu 0xfffe
	s_and_not1_saveexec_b32 s18, s18
	s_cbranch_execz .LBB122_40
.LBB122_147:                            ;   in Loop: Header=BB122_4 Depth=1
	v_add_co_u32 v2, vcc_lo, v9, s48
	s_wait_alu 0xfffd
	v_add_co_ci_u32_e64 v3, null, s49, v10, vcc_lo
	global_load_b128 v[15:18], v[2:3], off
	s_wait_loadcnt 0x0
	ds_store_2addr_b64 v204, v[15:16], v[17:18] offset1:1
	s_wait_alu 0xfffe
	s_or_b32 exec_lo, exec_lo, s18
	s_and_saveexec_b32 s18, s14
	s_wait_alu 0xfffe
	s_xor_b32 s18, exec_lo, s18
	s_cbranch_execz .LBB122_41
.LBB122_148:                            ;   in Loop: Header=BB122_4 Depth=1
	v_dual_mov_b32 v2, v1 :: v_dual_mov_b32 v3, v1
	v_mov_b32_e32 v4, v1
	ds_store_b128 v237, v[1:4]
	s_wait_alu 0xfffe
	s_and_not1_saveexec_b32 s18, s18
	s_cbranch_execz .LBB122_42
.LBB122_149:                            ;   in Loop: Header=BB122_4 Depth=1
	v_add_co_u32 v2, vcc_lo, v9, s50
	s_wait_alu 0xfffd
	v_add_co_ci_u32_e64 v3, null, s51, v10, vcc_lo
	global_load_b128 v[15:18], v[2:3], off
	s_wait_loadcnt 0x0
	ds_store_2addr_b64 v237, v[15:16], v[17:18] offset1:1
	s_wait_alu 0xfffe
	s_or_b32 exec_lo, exec_lo, s18
	s_and_saveexec_b32 s18, s15
	s_wait_alu 0xfffe
	s_xor_b32 s18, exec_lo, s18
	s_cbranch_execz .LBB122_43
.LBB122_150:                            ;   in Loop: Header=BB122_4 Depth=1
	v_dual_mov_b32 v2, v1 :: v_dual_mov_b32 v3, v1
	v_mov_b32_e32 v4, v1
	ds_store_b128 v178, v[1:4]
	s_wait_alu 0xfffe
	s_and_not1_saveexec_b32 s18, s18
	s_cbranch_execnz .LBB122_44
	s_branch .LBB122_45
.LBB122_151:                            ;   in Loop: Header=BB122_4 Depth=1
	global_load_b128 v[15:18], v[13:14], off
	s_wait_loadcnt 0x0
	ds_store_2addr_b64 v184, v[15:16], v[17:18] offset1:1
	s_or_b32 exec_lo, exec_lo, s18
	s_and_saveexec_b32 s18, s13
	s_wait_alu 0xfffe
	s_xor_b32 s18, exec_lo, s18
	s_cbranch_execz .LBB122_60
.LBB122_152:                            ;   in Loop: Header=BB122_4 Depth=1
	v_dual_mov_b32 v2, v1 :: v_dual_mov_b32 v3, v1
	v_mov_b32_e32 v4, v1
	ds_store_b128 v204, v[1:4]
	s_wait_alu 0xfffe
	s_and_not1_saveexec_b32 s18, s18
	s_cbranch_execz .LBB122_61
.LBB122_153:                            ;   in Loop: Header=BB122_4 Depth=1
	v_add_co_u32 v2, vcc_lo, v13, s48
	s_wait_alu 0xfffd
	v_add_co_ci_u32_e64 v3, null, s49, v14, vcc_lo
	global_load_b128 v[15:18], v[2:3], off
	s_wait_loadcnt 0x0
	ds_store_2addr_b64 v204, v[15:16], v[17:18] offset1:1
	s_wait_alu 0xfffe
	s_or_b32 exec_lo, exec_lo, s18
	s_and_saveexec_b32 s18, s14
	s_wait_alu 0xfffe
	s_xor_b32 s18, exec_lo, s18
	s_cbranch_execz .LBB122_62
.LBB122_154:                            ;   in Loop: Header=BB122_4 Depth=1
	v_dual_mov_b32 v2, v1 :: v_dual_mov_b32 v3, v1
	v_mov_b32_e32 v4, v1
	ds_store_b128 v237, v[1:4]
	s_wait_alu 0xfffe
	s_and_not1_saveexec_b32 s18, s18
	s_cbranch_execz .LBB122_63
.LBB122_155:                            ;   in Loop: Header=BB122_4 Depth=1
	v_add_co_u32 v2, vcc_lo, v13, s50
	s_wait_alu 0xfffd
	v_add_co_ci_u32_e64 v3, null, s51, v14, vcc_lo
	global_load_b128 v[15:18], v[2:3], off
	s_wait_loadcnt 0x0
	ds_store_2addr_b64 v237, v[15:16], v[17:18] offset1:1
	s_wait_alu 0xfffe
	s_or_b32 exec_lo, exec_lo, s18
	s_and_saveexec_b32 s18, s15
	s_wait_alu 0xfffe
	s_xor_b32 s18, exec_lo, s18
	s_cbranch_execz .LBB122_64
.LBB122_156:                            ;   in Loop: Header=BB122_4 Depth=1
	v_dual_mov_b32 v2, v1 :: v_dual_mov_b32 v3, v1
	v_mov_b32_e32 v4, v1
	ds_store_b128 v178, v[1:4]
	s_wait_alu 0xfffe
	s_and_not1_saveexec_b32 s18, s18
	s_cbranch_execnz .LBB122_65
	s_branch .LBB122_66
.LBB122_157:
	s_nop 0
	s_sendmsg sendmsg(MSG_DEALLOC_VGPRS)
	s_endpgm
	.section	.rodata,"a",@progbits
	.p2align	6, 0x0
	.amdhsa_kernel _ZL26rocblas_hemvn_kernel_upperILb0ELi64ELi4ELi33ELi32ELi16ElPK19rocblas_complex_numIdES3_PS1_EviT6_lT7_lT5_lS6_lS7_lS5_lT8_i
		.amdhsa_group_segment_fixed_size 19200
		.amdhsa_private_segment_fixed_size 156
		.amdhsa_kernarg_size 376
		.amdhsa_user_sgpr_count 2
		.amdhsa_user_sgpr_dispatch_ptr 0
		.amdhsa_user_sgpr_queue_ptr 0
		.amdhsa_user_sgpr_kernarg_segment_ptr 1
		.amdhsa_user_sgpr_dispatch_id 0
		.amdhsa_user_sgpr_private_segment_size 0
		.amdhsa_wavefront_size32 1
		.amdhsa_uses_dynamic_stack 0
		.amdhsa_enable_private_segment 1
		.amdhsa_system_sgpr_workgroup_id_x 1
		.amdhsa_system_sgpr_workgroup_id_y 0
		.amdhsa_system_sgpr_workgroup_id_z 1
		.amdhsa_system_sgpr_workgroup_info 0
		.amdhsa_system_vgpr_workitem_id 1
		.amdhsa_next_free_vgpr 256
		.amdhsa_next_free_sgpr 74
		.amdhsa_reserve_vcc 1
		.amdhsa_float_round_mode_32 0
		.amdhsa_float_round_mode_16_64 0
		.amdhsa_float_denorm_mode_32 3
		.amdhsa_float_denorm_mode_16_64 3
		.amdhsa_fp16_overflow 0
		.amdhsa_workgroup_processor_mode 1
		.amdhsa_memory_ordered 1
		.amdhsa_forward_progress 1
		.amdhsa_inst_pref_size 106
		.amdhsa_round_robin_scheduling 0
		.amdhsa_exception_fp_ieee_invalid_op 0
		.amdhsa_exception_fp_denorm_src 0
		.amdhsa_exception_fp_ieee_div_zero 0
		.amdhsa_exception_fp_ieee_overflow 0
		.amdhsa_exception_fp_ieee_underflow 0
		.amdhsa_exception_fp_ieee_inexact 0
		.amdhsa_exception_int_div_zero 0
	.end_amdhsa_kernel
	.section	.text._ZL26rocblas_hemvn_kernel_upperILb0ELi64ELi4ELi33ELi32ELi16ElPK19rocblas_complex_numIdES3_PS1_EviT6_lT7_lT5_lS6_lS7_lS5_lT8_i,"axG",@progbits,_ZL26rocblas_hemvn_kernel_upperILb0ELi64ELi4ELi33ELi32ELi16ElPK19rocblas_complex_numIdES3_PS1_EviT6_lT7_lT5_lS6_lS7_lS5_lT8_i,comdat
.Lfunc_end122:
	.size	_ZL26rocblas_hemvn_kernel_upperILb0ELi64ELi4ELi33ELi32ELi16ElPK19rocblas_complex_numIdES3_PS1_EviT6_lT7_lT5_lS6_lS7_lS5_lT8_i, .Lfunc_end122-_ZL26rocblas_hemvn_kernel_upperILb0ELi64ELi4ELi33ELi32ELi16ElPK19rocblas_complex_numIdES3_PS1_EviT6_lT7_lT5_lS6_lS7_lS5_lT8_i
                                        ; -- End function
	.set _ZL26rocblas_hemvn_kernel_upperILb0ELi64ELi4ELi33ELi32ELi16ElPK19rocblas_complex_numIdES3_PS1_EviT6_lT7_lT5_lS6_lS7_lS5_lT8_i.num_vgpr, 256
	.set _ZL26rocblas_hemvn_kernel_upperILb0ELi64ELi4ELi33ELi32ELi16ElPK19rocblas_complex_numIdES3_PS1_EviT6_lT7_lT5_lS6_lS7_lS5_lT8_i.num_agpr, 0
	.set _ZL26rocblas_hemvn_kernel_upperILb0ELi64ELi4ELi33ELi32ELi16ElPK19rocblas_complex_numIdES3_PS1_EviT6_lT7_lT5_lS6_lS7_lS5_lT8_i.numbered_sgpr, 74
	.set _ZL26rocblas_hemvn_kernel_upperILb0ELi64ELi4ELi33ELi32ELi16ElPK19rocblas_complex_numIdES3_PS1_EviT6_lT7_lT5_lS6_lS7_lS5_lT8_i.num_named_barrier, 0
	.set _ZL26rocblas_hemvn_kernel_upperILb0ELi64ELi4ELi33ELi32ELi16ElPK19rocblas_complex_numIdES3_PS1_EviT6_lT7_lT5_lS6_lS7_lS5_lT8_i.private_seg_size, 156
	.set _ZL26rocblas_hemvn_kernel_upperILb0ELi64ELi4ELi33ELi32ELi16ElPK19rocblas_complex_numIdES3_PS1_EviT6_lT7_lT5_lS6_lS7_lS5_lT8_i.uses_vcc, 1
	.set _ZL26rocblas_hemvn_kernel_upperILb0ELi64ELi4ELi33ELi32ELi16ElPK19rocblas_complex_numIdES3_PS1_EviT6_lT7_lT5_lS6_lS7_lS5_lT8_i.uses_flat_scratch, 1
	.set _ZL26rocblas_hemvn_kernel_upperILb0ELi64ELi4ELi33ELi32ELi16ElPK19rocblas_complex_numIdES3_PS1_EviT6_lT7_lT5_lS6_lS7_lS5_lT8_i.has_dyn_sized_stack, 0
	.set _ZL26rocblas_hemvn_kernel_upperILb0ELi64ELi4ELi33ELi32ELi16ElPK19rocblas_complex_numIdES3_PS1_EviT6_lT7_lT5_lS6_lS7_lS5_lT8_i.has_recursion, 0
	.set _ZL26rocblas_hemvn_kernel_upperILb0ELi64ELi4ELi33ELi32ELi16ElPK19rocblas_complex_numIdES3_PS1_EviT6_lT7_lT5_lS6_lS7_lS5_lT8_i.has_indirect_call, 0
	.section	.AMDGPU.csdata,"",@progbits
; Kernel info:
; codeLenInByte = 13548
; TotalNumSgprs: 76
; NumVgprs: 256
; ScratchSize: 156
; MemoryBound: 1
; FloatMode: 240
; IeeeMode: 1
; LDSByteSize: 19200 bytes/workgroup (compile time only)
; SGPRBlocks: 0
; VGPRBlocks: 31
; NumSGPRsForWavesPerEU: 76
; NumVGPRsForWavesPerEU: 256
; Occupancy: 5
; WaveLimiterHint : 0
; COMPUTE_PGM_RSRC2:SCRATCH_EN: 1
; COMPUTE_PGM_RSRC2:USER_SGPR: 2
; COMPUTE_PGM_RSRC2:TRAP_HANDLER: 0
; COMPUTE_PGM_RSRC2:TGID_X_EN: 1
; COMPUTE_PGM_RSRC2:TGID_Y_EN: 0
; COMPUTE_PGM_RSRC2:TGID_Z_EN: 1
; COMPUTE_PGM_RSRC2:TIDIG_COMP_CNT: 1
	.section	.text._ZL26rocblas_hemvn_kernel_upperILb0ELi64ELi4ELi33ELi32ELi16EiPK19rocblas_complex_numIdES3_PS1_EviT6_lT7_lT5_lS6_lS7_lS5_lT8_i,"axG",@progbits,_ZL26rocblas_hemvn_kernel_upperILb0ELi64ELi4ELi33ELi32ELi16EiPK19rocblas_complex_numIdES3_PS1_EviT6_lT7_lT5_lS6_lS7_lS5_lT8_i,comdat
	.globl	_ZL26rocblas_hemvn_kernel_upperILb0ELi64ELi4ELi33ELi32ELi16EiPK19rocblas_complex_numIdES3_PS1_EviT6_lT7_lT5_lS6_lS7_lS5_lT8_i ; -- Begin function _ZL26rocblas_hemvn_kernel_upperILb0ELi64ELi4ELi33ELi32ELi16EiPK19rocblas_complex_numIdES3_PS1_EviT6_lT7_lT5_lS6_lS7_lS5_lT8_i
	.p2align	8
	.type	_ZL26rocblas_hemvn_kernel_upperILb0ELi64ELi4ELi33ELi32ELi16EiPK19rocblas_complex_numIdES3_PS1_EviT6_lT7_lT5_lS6_lS7_lS5_lT8_i,@function
_ZL26rocblas_hemvn_kernel_upperILb0ELi64ELi4ELi33ELi32ELi16EiPK19rocblas_complex_numIdES3_PS1_EviT6_lT7_lT5_lS6_lS7_lS5_lT8_i: ; @_ZL26rocblas_hemvn_kernel_upperILb0ELi64ELi4ELi33ELi32ELi16EiPK19rocblas_complex_numIdES3_PS1_EviT6_lT7_lT5_lS6_lS7_lS5_lT8_i
; %bb.0:
	s_clause 0x1
	s_load_b64 s[2:3], s[0:1], 0x84
	s_load_b32 s19, s[0:1], 0x70
	s_lshr_b32 s34, ttmp7, 16
	s_wait_kmcnt 0x0
	s_lshr_b32 s4, s2, 16
	s_and_b32 s2, s2, 0xffff
	s_and_b32 s3, s3, 0xffff
	s_mul_i32 s2, s4, s2
	s_delay_alu instid0(SALU_CYCLE_1) | instskip(NEXT) | instid1(SALU_CYCLE_1)
	s_mul_i32 s2, s2, s3
	s_cmp_lg_u32 s2, 0x100
	s_cselect_b32 s2, -1, 0
	s_cmp_ge_u32 s34, s19
	s_cselect_b32 s3, -1, 0
	s_delay_alu instid0(SALU_CYCLE_1) | instskip(NEXT) | instid1(SALU_CYCLE_1)
	s_or_b32 s2, s2, s3
	s_and_b32 vcc_lo, exec_lo, s2
	s_cbranch_vccnz .LBB123_157
; %bb.1:
	s_clause 0x2
	s_load_b32 s2, s[0:1], 0x0
	s_load_b96 s[16:18], s[0:1], 0x40
	s_load_b32 s54, s[0:1], 0x28
	v_and_b32_e32 v173, 0x3ff, v0
	s_lshl_b32 s48, ttmp9, 6
	s_load_b128 s[28:31], s[0:1], 0x30
	v_bfe_u32 v3, v0, 10, 10
	s_add_nc_u64 s[6:7], s[0:1], 0x78
	v_add_nc_u32_e32 v2, s48, v173
	s_load_b256 s[20:27], s[0:1], 0x8
	s_load_b32 s44, s[6:7], 0x0
	v_and_b32_e32 v4, 31, v0
	v_lshlrev_b32_e32 v11, 6, v3
	s_load_b256 s[36:43], s[0:1], 0x50
	v_lshlrev_b32_e32 v20, 4, v173
	v_lshlrev_b32_e32 v201, 2, v3
	;; [unrolled: 1-line block ×3, first 2 shown]
	v_add_nc_u32_e32 v12, v11, v173
	s_mov_b32 s35, 0
	v_mad_u32_u24 v204, 0x10c0, v3, v20
	s_mov_b32 s4, ttmp9
	s_wait_kmcnt 0x0
	s_ashr_i32 s3, s2, 31
	v_mul_lo_u32 v5, s18, v2
	v_lshrrev_b32_e32 v9, 5, v12
	s_lshl_b64 s[0:1], s[16:17], 4
	v_lshl_or_b32 v17, v4, 9, v10
	s_add_nc_u64 s[0:1], s[30:31], s[0:1]
	s_lshr_b32 s5, s3, 26
	v_lshlrev_b32_e32 v18, 6, v9
	s_add_co_i32 s5, s2, s5
	v_ashrrev_i32_e32 v6, 31, v5
	s_and_not1_b32 s5, s5, 63
	s_add_co_i32 s8, s44, -1
	v_add_nc_u32_e32 v17, v17, v18
	s_ashr_i32 s55, s54, 31
	v_lshlrev_b64_e32 v[5:6], 4, v[5:6]
	s_lshl_b64 s[6:7], s[26:27], 4
	s_sub_co_i32 s33, s2, s5
	s_cmp_eq_u32 ttmp9, s8
	v_lshlrev_b32_e32 v16, 2, v9
	s_cselect_b32 s26, s33, 0
	v_add_co_u32 v1, vcc_lo, s0, v5
	v_cmp_eq_u32_e64 s0, 0, v3
	v_mad_u32_u24 v3, 0x430, v3, v20
	s_cmp_lg_u32 s26, 0
	s_clause 0x1
	scratch_store_b32 off, v1, off offset:12
	scratch_store_b32 off, v17, off
	v_add_co_ci_u32_e64 v1, null, s1, v6, vcc_lo
	v_mad_co_u64_u32 v[5:6], null, s54, v9, v[4:5]
	s_cselect_b32 s64, -1, 0
	s_cmp_eq_u32 s26, 0
	v_or_b32_e32 v19, 1, v16
	s_cselect_b32 s1, -1, 0
	s_ashr_i32 s5, ttmp9, 31
	s_mov_b32 s45, s35
	v_ashrrev_i32_e32 v6, 31, v5
	s_ashr_i32 s49, s48, 31
	s_mul_u64 s[4:5], s[2:3], s[4:5]
	s_add_nc_u64 s[6:7], s[24:25], s[6:7]
	v_cmp_gt_i32_e32 vcc_lo, s26, v173
	v_lshlrev_b64_e32 v[5:6], 4, v[5:6]
	s_mul_u64 s[24:25], s[44:45], s[2:3]
	s_wait_alu 0xfffe
	s_lshl_b64 s[2:3], s[48:49], 4
	s_lshl_b64 s[4:5], s[4:5], 4
	s_add_nc_u64 s[2:3], s[6:7], s[2:3]
	v_mad_u32_u24 v188, 0x210, v9, v10
	v_add_nc_u32_e32 v14, 16, v9
	v_cmp_gt_u32_e64 s6, v16, v4
	v_mad_u32_u24 v250, 0x840, v9, v10
	v_or_b32_e32 v17, 2, v16
	v_mad_u32_u24 v208, 0x210, v19, v10
	v_cmp_ge_u32_e64 s7, v16, v4
	v_mul_u32_u24_e32 v10, 33, v4
	v_or_b32_e32 v16, 3, v16
	s_add_nc_u64 s[30:31], s[42:43], s[4:5]
	s_mul_i32 s4, s54, s48
	scratch_store_b32 off, v1, off offset:16 ; 4-byte Folded Spill
	s_or_b32 s50, s1, vcc_lo
	s_ashr_i32 s5, s4, 31
	v_add_co_u32 v1, vcc_lo, s2, v5
	s_sub_co_i32 s15, s26, 32
	s_wait_alu 0xfffd
	v_add_co_ci_u32_e64 v7, null, s3, v6, vcc_lo
	s_lshl_b64 s[2:3], s[4:5], 4
	v_add_nc_u32_e32 v13, 8, v9
	v_add_nc_u32_e32 v15, 24, v9
	v_cmp_le_i32_e64 s4, s26, v14
	v_cmp_gt_u32_e64 s8, v17, v4
	v_lshlrev_b32_e32 v17, 4, v9
	v_lshlrev_b32_e32 v187, 4, v10
	v_cmp_gt_u32_e64 s9, v16, v4
	v_cmp_le_i32_e64 s14, s15, v14
	v_lshrrev_b32_e32 v14, 4, v12
	v_and_b32_e32 v16, 48, v0
	s_wait_alu 0xfffe
	v_add_co_u32 v1, vcc_lo, v1, s2
	v_cmp_le_i32_e64 s5, s26, v15
	v_add_nc_u32_e32 v186, v187, v17
	v_cmp_le_i32_e64 s12, s15, v9
	v_cmp_le_i32_e64 s13, s15, v13
	;; [unrolled: 1-line block ×3, first 2 shown]
	v_add_nc_u32_e32 v202, 0x4700, v17
	v_and_b32_e32 v15, 15, v0
	v_lshlrev_b32_e32 v17, 6, v14
	v_add_nc_u32_e32 v0, 0x4300, v11
	v_lshlrev_b32_e32 v11, 4, v16
	v_or_b32_e32 v16, 0xf0, v20
	v_or_b32_e32 v10, 32, v4
	v_mad_u32_u24 v205, 0x430, v15, v17
	v_cmp_eq_u32_e64 s16, 1, v9
	v_mad_u32_u24 v206, 0x430, v15, v11
	v_mad_u32_u24 v207, 0x430, v15, v16
	v_add_nc_u32_e32 v15, 64, v2
	scratch_store_b32 off, v1, off offset:20 ; 4-byte Folded Spill
	s_wait_alu 0xfffd
	v_add_co_ci_u32_e64 v1, null, s3, v7, vcc_lo
	v_sub_co_u32 v7, s2, 0, v4
	s_wait_alu 0xf1ff
	v_sub_co_ci_u32_e64 v8, null, 0, 0, s2
	v_cmp_le_i32_e64 s2, s26, v9
	v_cmp_le_i32_e64 s3, s26, v13
	v_cmp_gt_i32_e64 s11, s26, v10
	v_mul_i32_i24_e32 v13, 0xffffffd0, v9
	v_mad_co_u64_u32 v[9:10], null, s54, v201, v[173:174]
	s_lshl_b32 s52, s54, 5
	v_cmp_gt_u32_e64 s10, 32, v12
	s_ashr_i32 s53, s52, 31
	v_cmp_gt_u32_e64 s17, 64, v12
	s_lshl_b32 s42, s54, 3
	s_lshl_b32 s56, s54, 4
	v_ashrrev_i32_e32 v10, 31, v9
	v_add_co_u32 v11, vcc_lo, s52, v9
	s_mul_i32 s46, s54, 24
	s_mul_i32 s48, s18, s48
	s_wait_alu 0xfffd
	v_add_co_ci_u32_e64 v12, null, s53, v10, vcc_lo
	s_add_co_i32 s69, ttmp9, 1
	v_lshlrev_b64_e32 v[9:10], 4, v[9:10]
	s_xor_b32 s65, s50, -1
	s_ashr_i32 s27, s26, 31
	s_ashr_i32 s43, s42, 31
	;; [unrolled: 1-line block ×4, first 2 shown]
	s_wait_alu 0xfffe
	s_ashr_i32 s49, s48, 31
	s_cmp_lt_u32 s69, s44
	v_lshlrev_b64_e32 v[11:12], 4, v[11:12]
	s_cselect_b32 s45, -1, 0
	v_sub_co_u32 v210, vcc_lo, 0, v5
	s_lshl_b64 s[52:53], s[52:53], 4
	s_wait_alu 0xfffd
	v_sub_co_ci_u32_e64 v211, null, 0, v6, vcc_lo
	s_wait_alu 0xfffe
	v_add_co_u32 v5, vcc_lo, s52, v9
	scratch_store_b32 off, v15, off offset:36 ; 4-byte Folded Spill
	v_mad_co_i64_i32 v[15:16], null, s56, 48, v[11:12]
	s_mul_i32 s62, s54, 3
	v_or_b32_e32 v5, 8, v5
	s_ashr_i32 s63, s62, 31
	scratch_store_b32 off, v3, off offset:28 ; 4-byte Folded Spill
	s_lshl_b64 s[62:63], s[62:63], 4
	s_wait_alu 0xfffd
	v_add_co_ci_u32_e64 v6, null, s53, v10, vcc_lo
	scratch_store_b32 off, v5, off offset:52 ; 4-byte Folded Spill
	v_add_co_u32 v5, vcc_lo, v15, s62
	s_clause 0x1
	scratch_store_b32 off, v1, off offset:24
	scratch_store_b32 off, v6, off offset:48
	s_lshl_b32 s60, s54, 1
	scratch_store_b32 off, v5, off offset:56 ; 4-byte Folded Spill
	s_wait_alu 0xfffd
	v_add_co_ci_u32_e64 v5, null, s63, v16, vcc_lo
	s_and_b32 s68, s0, s50
	s_lshl_b64 s[50:51], s[54:55], 7
	s_lshl_b64 s[70:71], s[54:55], 4
	;; [unrolled: 1-line block ×3, first 2 shown]
	scratch_store_b32 off, v5, off offset:60 ; 4-byte Folded Spill
	s_wait_alu 0xfffe
	s_add_nc_u64 s[74:75], s[54:55], s[52:53]
	s_mul_u64 s[72:73], s[56:57], 48
	v_add_co_u32 v5, vcc_lo, s74, v9
	s_add_nc_u64 s[54:55], s[72:73], s[54:55]
	s_add_nc_u64 s[72:73], s[70:71], s[52:53]
	s_ashr_i32 s61, s60, 31
	scratch_store_b32 off, v5, off offset:64 ; 4-byte Folded Spill
	s_wait_alu 0xfffd
	v_add_co_ci_u32_e64 v5, null, s75, v10, vcc_lo
	s_lshl_b64 s[60:61], s[60:61], 4
	s_lshl_b32 s67, s18, 6
	s_mul_i32 s69, s18, s69
	scratch_store_b32 off, v5, off offset:68 ; 4-byte Folded Spill
	s_wait_alu 0xfffe
	v_add_co_u32 v5, vcc_lo, s54, v11
	s_wait_alu 0xfffd
	v_add_co_ci_u32_e64 v6, null, s55, v12, vcc_lo
	s_add_nc_u64 s[54:55], s[52:53], s[60:61]
	v_or_b32_e32 v5, 8, v5
	v_mov_b32_e32 v1, 0
	scratch_store_b32 off, v6, off offset:72 ; 4-byte Folded Spill
	v_add_co_u32 v6, vcc_lo, s72, v9
	scratch_store_b32 off, v5, off offset:76 ; 4-byte Folded Spill
	s_wait_alu 0xfffd
	v_add_co_ci_u32_e64 v5, null, s73, v10, vcc_lo
	v_ashrrev_i32_e32 v3, 31, v2
	s_lshl_b64 s[78:79], s[56:57], 5
	v_add_nc_u32_e32 v252, 0x4700, v18
	scratch_store_b32 off, v5, off offset:80 ; 4-byte Folded Spill
	v_or_b32_e32 v5, 8, v6
	v_add_co_u32 v6, s18, v15, s60
	v_lshlrev_b64_e32 v[2:3], 4, v[2:3]
	s_add_nc_u64 s[80:81], s[78:79], s[52:53]
	scratch_store_b32 off, v5, off offset:84 ; 4-byte Folded Spill
	s_wait_alu 0xfffe
	v_add_co_u32 v5, vcc_lo, s54, v9
	s_add_nc_u64 s[82:83], s[80:81], s[62:63]
	v_add_nc_u32_e32 v18, v187, v18
	v_mul_i32_i24_e32 v14, 0xffffffd0, v14
	v_or_b32_e32 v5, 8, v5
	scratch_store_b32 off, v6, off offset:88 ; 4-byte Folded Spill
	v_add_co_ci_u32_e64 v6, null, s61, v16, s18
	v_lshlrev_b64_e32 v[178:179], 4, v[7:8]
	scratch_store_b32 off, v5, off offset:100 ; 4-byte Folded Spill
	v_add_nc_u32_e32 v185, 0x4700, v20
	scratch_store_b32 off, v6, off offset:92 ; 4-byte Folded Spill
	s_wait_alu 0xfffd
	v_add_co_ci_u32_e64 v6, null, s55, v10, vcc_lo
	s_add_nc_u64 s[54:55], s[52:53], s[62:63]
	v_cmp_gt_i32_e64 s1, s26, v4
	s_wait_alu 0xfffe
	v_add_co_u32 v5, vcc_lo, s54, v9
	scratch_store_b32 off, v6, off offset:96 ; 4-byte Folded Spill
	v_add_co_u32 v6, s18, v15, s70
	s_clause 0x1
	scratch_store_b32 off, v6, off offset:104
	scratch_store_b64 off, v[15:16], off offset:40
	s_wait_alu 0xf1ff
	v_add_co_ci_u32_e64 v6, null, s71, v16, s18
	v_or_b32_e32 v5, 8, v5
	v_add_nc_u32_e32 v203, 0x4300, v20
	v_add_nc_u32_e32 v251, v205, v14
	s_clause 0x2
	scratch_store_b32 off, v6, off offset:108
	scratch_store_b64 off, v[2:3], off offset:200
	scratch_store_b32 off, v5, off offset:116
	s_wait_alu 0xfffd
	v_add_co_ci_u32_e64 v6, null, s55, v10, vcc_lo
	s_lshl_b64 s[54:55], s[56:57], 4
	v_lshlrev_b32_e32 v2, 4, v4
	s_wait_alu 0xfffe
	s_add_nc_u64 s[76:77], s[52:53], s[54:55]
	s_add_nc_u64 s[72:73], s[72:73], s[54:55]
	v_add_co_u32 v5, vcc_lo, s76, v9
	s_sub_nc_u64 s[58:59], 0, s[48:49]
	s_add_co_i32 s66, s44, -2
	s_sub_nc_u64 s[48:49], 0, s[26:27]
	v_or_b32_e32 v5, 8, v5
	scratch_store_b32 off, v6, off offset:112 ; 4-byte Folded Spill
	s_wait_alu 0xfffd
	v_add_co_ci_u32_e64 v6, null, s77, v10, vcc_lo
	s_lshl_b32 s69, s69, 6
	scratch_store_b32 off, v5, off offset:124 ; 4-byte Folded Spill
	s_wait_alu 0xfffe
	v_add_co_u32 v5, vcc_lo, s72, v9
	s_lshl_b64 s[56:57], s[56:57], 6
	s_lshl_b64 s[58:59], s[58:59], 4
	s_clause 0x1
	scratch_store_b32 off, v18, off offset:4
	scratch_store_b32 off, v2, off offset:8
	v_or_b32_e32 v5, 8, v5
	scratch_store_b32 off, v6, off offset:120 ; 4-byte Folded Spill
	v_add_co_u32 v6, s18, s82, v9
	s_clause 0x1
	scratch_store_b32 off, v5, off offset:140
	scratch_store_b32 off, v6, off offset:128
	s_wait_alu 0xf1ff
	v_add_co_ci_u32_e64 v6, null, s83, v10, s18
	scratch_store_b32 off, v6, off offset:132 ; 4-byte Folded Spill
	s_wait_alu 0xfffd
	v_add_co_ci_u32_e64 v6, null, s73, v10, vcc_lo
	s_add_nc_u64 s[72:73], s[74:75], s[78:79]
	s_add_nc_u64 s[78:79], s[76:77], s[60:61]
	s_wait_alu 0xfffe
	v_add_co_u32 v5, vcc_lo, s72, v9
	s_add_nc_u64 s[60:61], s[80:81], s[60:61]
	s_wait_alu 0xfffd
	v_add_co_ci_u32_e64 v11, null, s73, v10, vcc_lo
	v_or_b32_e32 v5, 8, v5
	scratch_store_b32 off, v6, off offset:136 ; 4-byte Folded Spill
	v_add_co_u32 v6, s18, s78, v9
	scratch_store_b32 off, v5, off offset:148 ; 4-byte Folded Spill
	s_wait_alu 0xf1ff
	v_add_co_ci_u32_e64 v5, null, s79, v10, s18
	scratch_store_b32 off, v5, off offset:152 ; 4-byte Folded Spill
	v_or_b32_e32 v5, 8, v6
	v_add_co_u32 v6, s18, s80, v9
	scratch_store_b32 off, v5, off offset:156 ; 4-byte Folded Spill
	s_wait_alu 0xfffe
	v_add_co_u32 v5, vcc_lo, s60, v9
	scratch_store_b32 off, v5, off offset:160 ; 4-byte Folded Spill
	s_wait_alu 0xfffd
	v_add_co_ci_u32_e64 v5, null, s61, v10, vcc_lo
	s_add_nc_u64 s[60:61], s[74:75], s[54:55]
	scratch_store_b32 off, v5, off offset:164 ; 4-byte Folded Spill
	s_wait_alu 0xfffe
	v_add_co_u32 v5, vcc_lo, s60, v9
	scratch_store_b32 off, v5, off offset:168 ; 4-byte Folded Spill
	s_wait_alu 0xfffd
	v_add_co_ci_u32_e64 v5, null, s61, v10, vcc_lo
	s_add_nc_u64 s[60:61], s[80:81], s[70:71]
	scratch_store_b32 off, v5, off offset:172 ; 4-byte Folded Spill
	s_wait_alu 0xfffe
	v_add_co_u32 v5, vcc_lo, s60, v9
	scratch_store_b32 off, v5, off offset:176 ; 4-byte Folded Spill
	s_wait_alu 0xfffd
	v_add_co_ci_u32_e64 v5, null, s61, v10, vcc_lo
	s_add_nc_u64 s[60:61], s[76:77], s[62:63]
	scratch_store_b32 off, v5, off offset:180 ; 4-byte Folded Spill
	s_wait_alu 0xfffe
	v_add_co_u32 v5, vcc_lo, s60, v9
	s_wait_alu 0xfffd
	v_add_co_ci_u32_e64 v9, null, s61, v10, vcc_lo
	s_delay_alu instid0(VALU_DEP_2)
	v_or_b32_e32 v5, 8, v5
	s_clause 0x1
	scratch_store_b32 off, v9, off offset:184
	scratch_store_b32 off, v5, off offset:188
	v_add_co_ci_u32_e64 v5, null, s81, v10, s18
	scratch_store_b32 off, v5, off offset:192 ; 4-byte Folded Spill
	v_or_b32_e32 v5, 8, v6
	scratch_store_b32 off, v5, off offset:196 ; 4-byte Folded Spill
	v_add_nc_u32_e32 v5, v18, v13
	s_clause 0x1
	scratch_store_b32 off, v11, off offset:144
	scratch_store_b32 off, v5, off offset:32
	s_branch .LBB123_4
.LBB123_2:                              ;   in Loop: Header=BB123_4 Depth=1
	s_wait_alu 0xfffe
	s_or_b32 exec_lo, exec_lo, s18
.LBB123_3:                              ;   in Loop: Header=BB123_4 Depth=1
	s_add_co_i32 s34, s34, 0x10000
	s_delay_alu instid0(SALU_CYCLE_1)
	s_cmp_lt_u32 s34, s19
	s_cbranch_scc0 .LBB123_157
.LBB123_4:                              ; =>This Loop Header: Depth=1
                                        ;     Child Loop BB123_79 Depth 2
	s_mul_u64 s[60:61], s[22:23], s[34:35]
	s_wait_alu 0xfffe
	s_lshl_b64 s[60:61], s[60:61], 4
	s_wait_alu 0xfffe
	s_add_nc_u64 s[60:61], s[20:21], s[60:61]
	global_load_b128 v[2:5], v1, s[60:61]
	s_wait_loadcnt 0x0
	v_cmp_neq_f64_e32 vcc_lo, 0, v[2:3]
	v_cmp_neq_f64_e64 s18, 0, v[4:5]
	s_or_b32 s60, vcc_lo, s18
	s_mov_b32 s18, -1
	s_wait_alu 0xfffe
	s_and_b32 vcc_lo, exec_lo, s60
	s_wait_alu 0xfffe
	s_cbranch_vccnz .LBB123_6
; %bb.5:                                ;   in Loop: Header=BB123_4 Depth=1
	s_mul_u64 s[62:63], s[40:41], s[34:35]
	s_wait_alu 0xfffe
	s_lshl_b64 s[62:63], s[62:63], 4
	s_wait_alu 0xfffe
	s_add_nc_u64 s[62:63], s[38:39], s[62:63]
	global_load_b128 v[2:5], v1, s[62:63]
	s_wait_loadcnt 0x0
	v_cmp_neq_f64_e32 vcc_lo, 1.0, v[2:3]
	v_cmp_neq_f64_e64 s18, 0, v[4:5]
	s_or_b32 s18, vcc_lo, s18
.LBB123_6:                              ;   in Loop: Header=BB123_4 Depth=1
	s_wait_alu 0xfffe
	s_and_not1_b32 vcc_lo, exec_lo, s18
	s_wait_alu 0xfffe
	s_cbranch_vccnz .LBB123_3
; %bb.7:                                ;   in Loop: Header=BB123_4 Depth=1
	s_and_not1_b32 vcc_lo, exec_lo, s60
	s_wait_alu 0xfffe
	s_cbranch_vccnz .LBB123_3
; %bb.8:                                ;   in Loop: Header=BB123_4 Depth=1
	scratch_load_b32 v2, off, off offset:12 ; 4-byte Folded Reload
	s_mul_u64 s[60:61], s[36:37], s[34:35]
	s_wait_alu 0xfffe
	s_lshl_b64 s[60:61], s[60:61], 4
	s_wait_loadcnt 0x0
	s_wait_alu 0xfffe
	v_add_co_u32 v41, vcc_lo, v2, s60
	scratch_load_b32 v2, off, off offset:16 ; 4-byte Folded Reload
	s_wait_loadcnt 0x0
	s_wait_alu 0xfffd
	v_add_co_ci_u32_e64 v42, null, s61, v2, vcc_lo
	s_and_saveexec_b32 s18, s0
	s_cbranch_execz .LBB123_13
; %bb.9:                                ;   in Loop: Header=BB123_4 Depth=1
	s_and_saveexec_b32 s60, s65
	s_wait_alu 0xfffe
	s_xor_b32 s60, exec_lo, s60
; %bb.10:                               ;   in Loop: Header=BB123_4 Depth=1
	v_dual_mov_b32 v2, v1 :: v_dual_mov_b32 v3, v1
	v_mov_b32_e32 v4, v1
	ds_store_b128 v185, v[1:4]
; %bb.11:                               ;   in Loop: Header=BB123_4 Depth=1
	s_wait_alu 0xfffe
	s_and_not1_saveexec_b32 s60, s60
	s_cbranch_execz .LBB123_13
; %bb.12:                               ;   in Loop: Header=BB123_4 Depth=1
	global_load_b128 v[2:5], v[41:42], off
	s_wait_loadcnt 0x0
	ds_store_2addr_b64 v185, v[2:3], v[4:5] offset1:1
.LBB123_13:                             ;   in Loop: Header=BB123_4 Depth=1
	s_wait_alu 0xfffe
	s_or_b32 exec_lo, exec_lo, s18
	scratch_load_b32 v2, off, off offset:20 ; 4-byte Folded Reload
	s_mul_u64 s[60:61], s[28:29], s[34:35]
	s_mov_b32 s18, -1
	s_wait_alu 0xfffe
	s_lshl_b64 s[60:61], s[60:61], 4
	s_wait_loadcnt 0x0
	s_wait_alu 0xfffe
	v_add_co_u32 v5, vcc_lo, v2, s60
	scratch_load_b32 v2, off, off offset:24 ; 4-byte Folded Reload
	s_wait_loadcnt 0x0
	s_wait_alu 0xfffd
	v_add_co_ci_u32_e64 v6, null, s61, v2, vcc_lo
	s_and_b32 vcc_lo, exec_lo, s64
                                        ; implicit-def: $vgpr2_vgpr3
	s_wait_alu 0xfffe
	s_cbranch_vccz .LBB123_25
; %bb.14:                               ;   in Loop: Header=BB123_4 Depth=1
	s_and_saveexec_b32 s18, s2
	s_wait_alu 0xfffe
	s_xor_b32 s18, exec_lo, s18
; %bb.15:                               ;   in Loop: Header=BB123_4 Depth=1
	v_dual_mov_b32 v2, v1 :: v_dual_mov_b32 v3, v1
	v_mov_b32_e32 v4, v1
	ds_store_b128 v188, v[1:4]
; %bb.16:                               ;   in Loop: Header=BB123_4 Depth=1
	s_wait_alu 0xfffe
	s_or_saveexec_b32 s18, s18
	v_add_co_u32 v2, vcc_lo, v5, v178
	s_wait_alu 0xfffd
	v_add_co_ci_u32_e64 v3, null, v6, v179, vcc_lo
	s_lshl_b64 s[60:61], s[26:27], 4
	s_wait_alu 0xfffe
	v_add_co_u32 v2, vcc_lo, v2, s60
	s_wait_alu 0xfffd
	v_add_co_ci_u32_e64 v3, null, s61, v3, vcc_lo
	s_delay_alu instid0(VALU_DEP_2) | instskip(SKIP_1) | instid1(VALU_DEP_2)
	v_add_co_u32 v2, vcc_lo, v2, -16
	s_wait_alu 0xfffd
	v_add_co_ci_u32_e64 v3, null, -1, v3, vcc_lo
	s_delay_alu instid0(VALU_DEP_2) | instskip(NEXT) | instid1(VALU_DEP_2)
	v_cndmask_b32_e64 v7, v2, v5, s1
	v_cndmask_b32_e64 v8, v3, v6, s1
	s_xor_b32 exec_lo, exec_lo, s18
	s_cbranch_execnz .LBB123_139
; %bb.17:                               ;   in Loop: Header=BB123_4 Depth=1
	s_or_b32 exec_lo, exec_lo, s18
	s_and_saveexec_b32 s18, s3
	s_wait_alu 0xfffe
	s_xor_b32 s18, exec_lo, s18
	s_cbranch_execnz .LBB123_140
.LBB123_18:                             ;   in Loop: Header=BB123_4 Depth=1
	s_wait_alu 0xfffe
	s_and_not1_saveexec_b32 s18, s18
	s_cbranch_execnz .LBB123_141
.LBB123_19:                             ;   in Loop: Header=BB123_4 Depth=1
	s_wait_alu 0xfffe
	s_or_b32 exec_lo, exec_lo, s18
	s_and_saveexec_b32 s18, s4
	s_wait_alu 0xfffe
	s_xor_b32 s18, exec_lo, s18
	s_cbranch_execnz .LBB123_142
.LBB123_20:                             ;   in Loop: Header=BB123_4 Depth=1
	s_wait_alu 0xfffe
	s_and_not1_saveexec_b32 s18, s18
	s_cbranch_execnz .LBB123_143
.LBB123_21:                             ;   in Loop: Header=BB123_4 Depth=1
	s_wait_alu 0xfffe
	s_or_b32 exec_lo, exec_lo, s18
	s_and_saveexec_b32 s18, s5
	s_wait_alu 0xfffe
	s_xor_b32 s18, exec_lo, s18
	s_cbranch_execnz .LBB123_144
.LBB123_22:                             ;   in Loop: Header=BB123_4 Depth=1
	s_wait_alu 0xfffe
	s_and_not1_saveexec_b32 s18, s18
	s_cbranch_execz .LBB123_24
.LBB123_23:                             ;   in Loop: Header=BB123_4 Depth=1
	s_lshl_b64 s[60:61], s[46:47], 4
	s_wait_alu 0xfffe
	v_add_co_u32 v2, vcc_lo, v7, s60
	s_wait_alu 0xfffd
	v_add_co_ci_u32_e64 v3, null, s61, v8, vcc_lo
	global_load_b128 v[9:12], v[2:3], off
	v_add_nc_u32_e32 v2, 0x3180, v188
	s_wait_loadcnt 0x0
	ds_store_2addr_b64 v2, v[9:10], v[11:12] offset1:1
.LBB123_24:                             ;   in Loop: Header=BB123_4 Depth=1
	s_wait_alu 0xfffe
	s_or_b32 exec_lo, exec_lo, s18
	scratch_load_b32 v2, off, off offset:8  ; 4-byte Folded Reload
	s_lshl_b64 s[60:61], s[48:49], 4
	s_mov_b32 s18, 0
	s_wait_loadcnt 0x0
	v_add_co_u32 v2, vcc_lo, v7, v2
	s_wait_alu 0xfffd
	v_add_co_ci_u32_e64 v3, null, 0, v8, vcc_lo
	s_wait_alu 0xfffe
	s_delay_alu instid0(VALU_DEP_2) | instskip(SKIP_1) | instid1(VALU_DEP_2)
	v_add_co_u32 v2, vcc_lo, v2, s60
	s_wait_alu 0xfffd
	v_add_co_ci_u32_e64 v3, null, s61, v3, vcc_lo
	s_delay_alu instid0(VALU_DEP_2) | instskip(SKIP_1) | instid1(VALU_DEP_2)
	v_add_co_u32 v2, vcc_lo, v2, 16
	s_wait_alu 0xfffd
	v_add_co_ci_u32_e64 v3, null, 0, v3, vcc_lo
	s_delay_alu instid0(VALU_DEP_2) | instskip(NEXT) | instid1(VALU_DEP_2)
	v_cndmask_b32_e64 v2, v2, v5, s1
	v_cndmask_b32_e64 v3, v3, v6, s1
.LBB123_25:                             ;   in Loop: Header=BB123_4 Depth=1
	s_and_b32 vcc_lo, exec_lo, s18
	s_wait_alu 0xfffe
	s_cbranch_vccz .LBB123_27
; %bb.26:                               ;   in Loop: Header=BB123_4 Depth=1
	s_lshl_b64 s[60:61], s[42:43], 4
	v_add_nc_u32_e32 v4, 0x1080, v188
	s_wait_alu 0xfffe
	v_add_co_u32 v2, vcc_lo, v5, s60
	s_wait_alu 0xfffd
	v_add_co_ci_u32_e64 v3, null, s61, v6, vcc_lo
	s_delay_alu instid0(VALU_DEP_2) | instskip(SKIP_1) | instid1(VALU_DEP_2)
	v_add_co_u32 v15, vcc_lo, v2, s50
	s_wait_alu 0xfffd
	v_add_co_ci_u32_e64 v16, null, s51, v3, vcc_lo
	s_delay_alu instid0(VALU_DEP_2) | instskip(SKIP_1) | instid1(VALU_DEP_2)
	v_add_co_u32 v19, vcc_lo, v15, s50
	s_wait_alu 0xfffd
	v_add_co_ci_u32_e64 v20, null, s51, v16, vcc_lo
	s_clause 0x3
	global_load_b128 v[7:10], v[5:6], off
	global_load_b128 v[11:14], v[2:3], off
	;; [unrolled: 1-line block ×4, first 2 shown]
	v_dual_mov_b32 v2, v5 :: v_dual_mov_b32 v3, v6
	s_wait_loadcnt 0x3
	ds_store_2addr_b64 v188, v[7:8], v[9:10] offset1:1
	s_wait_loadcnt 0x2
	ds_store_2addr_b64 v4, v[11:12], v[13:14] offset1:1
	v_add_nc_u32_e32 v4, 0x2100, v188
	s_wait_loadcnt 0x1
	ds_store_2addr_b64 v4, v[15:16], v[17:18] offset1:1
	v_add_nc_u32_e32 v4, 0x3180, v188
	s_wait_loadcnt 0x0
	ds_store_2addr_b64 v4, v[19:20], v[21:22] offset1:1
.LBB123_27:                             ;   in Loop: Header=BB123_4 Depth=1
	s_wait_storecnt_dscnt 0x0
	s_barrier_signal -1
	s_barrier_wait -1
	global_inv scope:SCOPE_SE
	s_and_saveexec_b32 s18, s6
	s_cbranch_execnz .LBB123_133
; %bb.28:                               ;   in Loop: Header=BB123_4 Depth=1
	s_wait_alu 0xfffe
	s_or_b32 exec_lo, exec_lo, s18
	s_and_saveexec_b32 s18, s7
	s_cbranch_execnz .LBB123_134
.LBB123_29:                             ;   in Loop: Header=BB123_4 Depth=1
	s_wait_alu 0xfffe
	s_or_b32 exec_lo, exec_lo, s18
	s_and_saveexec_b32 s18, s8
	s_cbranch_execnz .LBB123_135
.LBB123_30:                             ;   in Loop: Header=BB123_4 Depth=1
	s_wait_alu 0xfffe
	s_or_b32 exec_lo, exec_lo, s18
	s_and_saveexec_b32 s18, s9
	s_cbranch_execz .LBB123_32
.LBB123_31:                             ;   in Loop: Header=BB123_4 Depth=1
	scratch_load_b32 v8, off, off           ; 4-byte Folded Reload
	v_add_nc_u32_e32 v4, 0x420, v208
	ds_load_b128 v[4:7], v4
	s_wait_loadcnt 0x0
	v_add_nc_u32_e32 v8, 48, v8
	s_wait_dscnt 0x0
	ds_store_b128 v8, v[4:7]
.LBB123_32:                             ;   in Loop: Header=BB123_4 Depth=1
	s_wait_alu 0xfffe
	s_or_b32 exec_lo, exec_lo, s18
	s_wait_loadcnt_dscnt 0x0
	s_barrier_signal -1
	s_barrier_wait -1
	global_inv scope:SCOPE_SE
	ds_load_b128 v[4:7], v250
	ds_load_b128 v[8:11], v252
	ds_load_b128 v[12:15], v252 offset:16
	ds_load_b128 v[16:19], v208
	v_add_nc_u32_e32 v22, 0x420, v208
	s_wait_dscnt 0x2
	v_mul_f64_e32 v[20:21], v[10:11], v[6:7]
	v_mul_f64_e32 v[6:7], v[8:9], v[6:7]
	s_wait_dscnt 0x0
	v_mul_f64_e32 v[26:27], v[14:15], v[18:19]
	v_mul_f64_e32 v[28:29], v[12:13], v[18:19]
	s_delay_alu instid0(VALU_DEP_4) | instskip(NEXT) | instid1(VALU_DEP_4)
	v_fma_f64 v[30:31], v[8:9], v[4:5], -v[20:21]
	v_fma_f64 v[32:33], v[10:11], v[4:5], v[6:7]
	v_add_nc_u32_e32 v4, 0x210, v208
	ds_load_b128 v[4:7], v4
	ds_load_b128 v[8:11], v252 offset:32
	ds_load_b128 v[18:21], v252 offset:48
	v_fma_f64 v[12:13], v[12:13], v[16:17], -v[26:27]
	v_fma_f64 v[14:15], v[14:15], v[16:17], v[28:29]
	ds_load_b128 v[22:25], v22
	s_wait_loadcnt_dscnt 0x0
	s_barrier_signal -1
	s_barrier_wait -1
	global_inv scope:SCOPE_SE
	v_mul_f64_e32 v[34:35], v[10:11], v[6:7]
	v_mul_f64_e32 v[6:7], v[8:9], v[6:7]
	;; [unrolled: 1-line block ×4, first 2 shown]
	v_add_f64_e32 v[16:17], 0, v[30:31]
	v_add_f64_e32 v[26:27], 0, v[32:33]
	v_fma_f64 v[8:9], v[8:9], v[4:5], -v[34:35]
	v_fma_f64 v[4:5], v[10:11], v[4:5], v[6:7]
	s_delay_alu instid0(VALU_DEP_4) | instskip(NEXT) | instid1(VALU_DEP_4)
	v_add_f64_e32 v[6:7], v[16:17], v[12:13]
	v_add_f64_e32 v[10:11], v[26:27], v[14:15]
	v_fma_f64 v[12:13], v[18:19], v[22:23], -v[28:29]
	v_fma_f64 v[14:15], v[20:21], v[22:23], v[24:25]
	s_delay_alu instid0(VALU_DEP_4) | instskip(NEXT) | instid1(VALU_DEP_4)
	v_add_f64_e32 v[6:7], v[6:7], v[8:9]
	v_add_f64_e32 v[4:5], v[10:11], v[4:5]
	s_delay_alu instid0(VALU_DEP_2) | instskip(NEXT) | instid1(VALU_DEP_2)
	v_add_f64_e32 v[9:10], v[6:7], v[12:13]
	v_add_f64_e32 v[11:12], v[4:5], v[14:15]
	v_mov_b32_e32 v5, 0
	v_dual_mov_b32 v7, 0 :: v_dual_mov_b32 v6, 0
	v_mov_b32_e32 v8, 0
	ds_store_b128 v186, v[9:12]
	s_wait_loadcnt_dscnt 0x0
	s_barrier_signal -1
	s_barrier_wait -1
	global_inv scope:SCOPE_SE
	s_and_saveexec_b32 s18, s10
	s_cbranch_execz .LBB123_34
; %bb.33:                               ;   in Loop: Header=BB123_4 Depth=1
	ds_load_b128 v[4:7], v187
	ds_load_b128 v[8:11], v187 offset:16
	s_wait_dscnt 0x0
	v_add_f64_e32 v[12:13], v[8:9], v[4:5]
	v_add_f64_e32 v[14:15], v[10:11], v[6:7]
	ds_load_b128 v[4:7], v187 offset:32
	ds_load_b128 v[8:11], v187 offset:48
	s_wait_dscnt 0x1
	v_add_f64_e32 v[4:5], v[12:13], v[4:5]
	v_add_f64_e32 v[6:7], v[14:15], v[6:7]
	s_wait_dscnt 0x0
	s_delay_alu instid0(VALU_DEP_2) | instskip(NEXT) | instid1(VALU_DEP_2)
	v_add_f64_e32 v[12:13], v[4:5], v[8:9]
	v_add_f64_e32 v[14:15], v[6:7], v[10:11]
	ds_load_b128 v[4:7], v187 offset:64
	ds_load_b128 v[8:11], v187 offset:80
	s_wait_dscnt 0x1
	v_add_f64_e32 v[4:5], v[12:13], v[4:5]
	v_add_f64_e32 v[6:7], v[14:15], v[6:7]
	s_wait_dscnt 0x0
	s_delay_alu instid0(VALU_DEP_2) | instskip(NEXT) | instid1(VALU_DEP_2)
	;; [unrolled: 9-line block ×3, first 2 shown]
	v_add_f64_e32 v[5:6], v[4:5], v[8:9]
	v_add_f64_e32 v[7:8], v[12:13], v[10:11]
.LBB123_34:                             ;   in Loop: Header=BB123_4 Depth=1
	s_wait_alu 0xfffe
	s_or_b32 exec_lo, exec_lo, s18
	v_add_co_u32 v13, vcc_lo, v2, s52
	s_wait_alu 0xfffd
	v_add_co_ci_u32_e64 v14, null, s53, v3, vcc_lo
	s_mov_b32 s18, -1
	v_add_co_u32 v11, vcc_lo, 0x200, v13
	s_wait_alu 0xfffd
	v_add_co_ci_u32_e64 v12, null, 0, v14, vcc_lo
	s_and_b32 vcc_lo, exec_lo, s64
	s_wait_loadcnt 0x0
	s_barrier_signal -1
	s_barrier_wait -1
	global_inv scope:SCOPE_SE
                                        ; implicit-def: $vgpr9_vgpr10
	s_wait_alu 0xfffe
	s_cbranch_vccz .LBB123_46
; %bb.35:                               ;   in Loop: Header=BB123_4 Depth=1
	s_and_saveexec_b32 s18, s12
	s_wait_alu 0xfffe
	s_xor_b32 s18, exec_lo, s18
; %bb.36:                               ;   in Loop: Header=BB123_4 Depth=1
	v_dual_mov_b32 v2, v1 :: v_dual_mov_b32 v3, v1
	v_mov_b32_e32 v4, v1
	ds_store_b128 v188, v[1:4]
; %bb.37:                               ;   in Loop: Header=BB123_4 Depth=1
	s_wait_alu 0xfffe
	s_or_saveexec_b32 s18, s18
	v_add_co_u32 v2, vcc_lo, v13, v178
	s_wait_alu 0xfffd
	v_add_co_ci_u32_e64 v3, null, v14, v179, vcc_lo
	s_lshl_b64 s[60:61], s[26:27], 4
	s_wait_alu 0xfffe
	v_add_co_u32 v2, vcc_lo, v2, s60
	s_wait_alu 0xfffd
	v_add_co_ci_u32_e64 v3, null, s61, v3, vcc_lo
	s_delay_alu instid0(VALU_DEP_2) | instskip(SKIP_1) | instid1(VALU_DEP_2)
	v_add_co_u32 v2, vcc_lo, v2, -16
	s_wait_alu 0xfffd
	v_add_co_ci_u32_e64 v3, null, -1, v3, vcc_lo
	s_delay_alu instid0(VALU_DEP_2) | instskip(NEXT) | instid1(VALU_DEP_2)
	v_cndmask_b32_e64 v9, v2, v11, s11
	v_cndmask_b32_e64 v10, v3, v12, s11
	s_xor_b32 exec_lo, exec_lo, s18
	s_cbranch_execnz .LBB123_145
; %bb.38:                               ;   in Loop: Header=BB123_4 Depth=1
	s_or_b32 exec_lo, exec_lo, s18
	s_and_saveexec_b32 s18, s13
	s_wait_alu 0xfffe
	s_xor_b32 s18, exec_lo, s18
	s_cbranch_execnz .LBB123_146
.LBB123_39:                             ;   in Loop: Header=BB123_4 Depth=1
	s_wait_alu 0xfffe
	s_and_not1_saveexec_b32 s18, s18
	s_cbranch_execnz .LBB123_147
.LBB123_40:                             ;   in Loop: Header=BB123_4 Depth=1
	s_wait_alu 0xfffe
	s_or_b32 exec_lo, exec_lo, s18
	s_and_saveexec_b32 s18, s14
	s_wait_alu 0xfffe
	s_xor_b32 s18, exec_lo, s18
	s_cbranch_execnz .LBB123_148
.LBB123_41:                             ;   in Loop: Header=BB123_4 Depth=1
	s_wait_alu 0xfffe
	s_and_not1_saveexec_b32 s18, s18
	s_cbranch_execnz .LBB123_149
.LBB123_42:                             ;   in Loop: Header=BB123_4 Depth=1
	s_wait_alu 0xfffe
	s_or_b32 exec_lo, exec_lo, s18
	s_and_saveexec_b32 s18, s15
	s_wait_alu 0xfffe
	s_xor_b32 s18, exec_lo, s18
	s_cbranch_execnz .LBB123_150
.LBB123_43:                             ;   in Loop: Header=BB123_4 Depth=1
	s_wait_alu 0xfffe
	s_and_not1_saveexec_b32 s18, s18
	s_cbranch_execz .LBB123_45
.LBB123_44:                             ;   in Loop: Header=BB123_4 Depth=1
	s_lshl_b64 s[60:61], s[46:47], 4
	s_wait_alu 0xfffe
	v_add_co_u32 v2, vcc_lo, v9, s60
	s_wait_alu 0xfffd
	v_add_co_ci_u32_e64 v3, null, s61, v10, vcc_lo
	global_load_b128 v[15:18], v[2:3], off
	v_add_nc_u32_e32 v2, 0x3180, v188
	s_wait_loadcnt 0x0
	ds_store_2addr_b64 v2, v[15:16], v[17:18] offset1:1
.LBB123_45:                             ;   in Loop: Header=BB123_4 Depth=1
	s_wait_alu 0xfffe
	s_or_b32 exec_lo, exec_lo, s18
	scratch_load_b32 v2, off, off offset:8  ; 4-byte Folded Reload
	s_lshl_b64 s[60:61], s[48:49], 4
	s_mov_b32 s18, 0
	s_wait_loadcnt 0x0
	v_add_co_u32 v2, vcc_lo, v9, v2
	s_wait_alu 0xfffd
	v_add_co_ci_u32_e64 v3, null, 0, v10, vcc_lo
	s_wait_alu 0xfffe
	s_delay_alu instid0(VALU_DEP_2) | instskip(SKIP_1) | instid1(VALU_DEP_2)
	v_add_co_u32 v2, vcc_lo, v2, s60
	s_wait_alu 0xfffd
	v_add_co_ci_u32_e64 v3, null, s61, v3, vcc_lo
	s_delay_alu instid0(VALU_DEP_2) | instskip(SKIP_1) | instid1(VALU_DEP_2)
	v_add_co_u32 v2, vcc_lo, 0x210, v2
	s_wait_alu 0xfffd
	v_add_co_ci_u32_e64 v3, null, 0, v3, vcc_lo
	s_delay_alu instid0(VALU_DEP_2) | instskip(NEXT) | instid1(VALU_DEP_2)
	v_cndmask_b32_e64 v9, v2, v11, s11
	v_cndmask_b32_e64 v10, v3, v12, s11
.LBB123_46:                             ;   in Loop: Header=BB123_4 Depth=1
	s_and_b32 vcc_lo, exec_lo, s18
	s_wait_alu 0xfffe
	s_cbranch_vccz .LBB123_48
; %bb.47:                               ;   in Loop: Header=BB123_4 Depth=1
	s_lshl_b64 s[60:61], s[42:43], 4
	s_wait_alu 0xfffe
	v_add_co_u32 v2, vcc_lo, v13, s60
	s_wait_alu 0xfffd
	v_add_co_ci_u32_e64 v3, null, s61, v14, vcc_lo
	s_delay_alu instid0(VALU_DEP_2) | instskip(SKIP_1) | instid1(VALU_DEP_2)
	v_add_co_u32 v9, vcc_lo, v2, s50
	s_wait_alu 0xfffd
	v_add_co_ci_u32_e64 v10, null, s51, v3, vcc_lo
	s_delay_alu instid0(VALU_DEP_2) | instskip(SKIP_1) | instid1(VALU_DEP_2)
	v_add_co_u32 v25, vcc_lo, v9, s50
	s_wait_alu 0xfffd
	v_add_co_ci_u32_e64 v26, null, s51, v10, vcc_lo
	s_clause 0x3
	global_load_b128 v[13:16], v[11:12], off
	global_load_b128 v[17:20], v[2:3], off offset:512
	global_load_b128 v[21:24], v[9:10], off offset:512
	;; [unrolled: 1-line block ×3, first 2 shown]
	v_dual_mov_b32 v9, v11 :: v_dual_add_nc_u32 v2, 0x1080, v188
	v_mov_b32_e32 v10, v12
	s_wait_loadcnt 0x3
	ds_store_2addr_b64 v188, v[13:14], v[15:16] offset1:1
	s_wait_loadcnt 0x2
	ds_store_2addr_b64 v2, v[17:18], v[19:20] offset1:1
	v_add_nc_u32_e32 v2, 0x2100, v188
	s_wait_loadcnt 0x1
	ds_store_2addr_b64 v2, v[21:22], v[23:24] offset1:1
	v_add_nc_u32_e32 v2, 0x3180, v188
	s_wait_loadcnt 0x0
	ds_store_2addr_b64 v2, v[25:26], v[27:28] offset1:1
.LBB123_48:                             ;   in Loop: Header=BB123_4 Depth=1
	s_wait_loadcnt_dscnt 0x0
	s_barrier_signal -1
	s_barrier_wait -1
	global_inv scope:SCOPE_SE
	s_and_saveexec_b32 s18, s6
	s_cbranch_execnz .LBB123_136
; %bb.49:                               ;   in Loop: Header=BB123_4 Depth=1
	s_wait_alu 0xfffe
	s_or_b32 exec_lo, exec_lo, s18
	s_and_saveexec_b32 s18, s7
	s_cbranch_execnz .LBB123_137
.LBB123_50:                             ;   in Loop: Header=BB123_4 Depth=1
	s_wait_alu 0xfffe
	s_or_b32 exec_lo, exec_lo, s18
	s_and_saveexec_b32 s18, s8
	s_cbranch_execnz .LBB123_138
.LBB123_51:                             ;   in Loop: Header=BB123_4 Depth=1
	s_wait_alu 0xfffe
	s_or_b32 exec_lo, exec_lo, s18
	s_and_saveexec_b32 s18, s9
	s_cbranch_execz .LBB123_53
.LBB123_52:                             ;   in Loop: Header=BB123_4 Depth=1
	v_add_nc_u32_e32 v2, 0x420, v208
	ds_load_b128 v[11:14], v2
	scratch_load_b32 v2, off, off offset:4  ; 4-byte Folded Reload
	s_wait_loadcnt 0x0
	v_add_nc_u32_e32 v2, 48, v2
	s_wait_dscnt 0x0
	ds_store_b128 v2, v[11:14]
.LBB123_53:                             ;   in Loop: Header=BB123_4 Depth=1
	s_wait_alu 0xfffe
	s_or_b32 exec_lo, exec_lo, s18
	s_wait_loadcnt_dscnt 0x0
	s_barrier_signal -1
	s_barrier_wait -1
	global_inv scope:SCOPE_SE
	ds_load_b128 v[11:14], v250
	ds_load_b128 v[15:18], v252 offset:512
	ds_load_b128 v[19:22], v252 offset:528
	ds_load_b128 v[23:26], v208
	v_add_nc_u32_e32 v4, 0x210, v208
	s_wait_dscnt 0x2
	v_mul_f64_e32 v[2:3], v[17:18], v[13:14]
	v_mul_f64_e32 v[13:14], v[15:16], v[13:14]
	s_wait_dscnt 0x0
	v_mul_f64_e32 v[33:34], v[21:22], v[25:26]
	v_mul_f64_e32 v[35:36], v[19:20], v[25:26]
	s_delay_alu instid0(VALU_DEP_4) | instskip(NEXT) | instid1(VALU_DEP_4)
	v_fma_f64 v[2:3], v[15:16], v[11:12], -v[2:3]
	v_fma_f64 v[37:38], v[17:18], v[11:12], v[13:14]
	ds_load_b128 v[11:14], v4
	ds_load_b128 v[15:18], v252 offset:544
	ds_load_b128 v[25:28], v252 offset:560
	v_fma_f64 v[19:20], v[19:20], v[23:24], -v[33:34]
	v_fma_f64 v[21:22], v[21:22], v[23:24], v[35:36]
	v_add_nc_u32_e32 v4, 0x420, v208
	ds_load_b128 v[29:32], v4
	s_wait_loadcnt_dscnt 0x0
	s_barrier_signal -1
	s_barrier_wait -1
	global_inv scope:SCOPE_SE
	v_mul_f64_e32 v[39:40], v[17:18], v[13:14]
	v_mul_f64_e32 v[13:14], v[15:16], v[13:14]
	;; [unrolled: 1-line block ×4, first 2 shown]
	v_add_f64_e32 v[2:3], 0, v[2:3]
	v_add_f64_e32 v[23:24], 0, v[37:38]
	v_fma_f64 v[15:16], v[15:16], v[11:12], -v[39:40]
	v_fma_f64 v[11:12], v[17:18], v[11:12], v[13:14]
	v_fma_f64 v[17:18], v[25:26], v[29:30], -v[33:34]
	v_add_f64_e32 v[2:3], v[2:3], v[19:20]
	v_add_f64_e32 v[13:14], v[23:24], v[21:22]
	v_fma_f64 v[19:20], v[27:28], v[29:30], v[31:32]
	s_delay_alu instid0(VALU_DEP_3) | instskip(NEXT) | instid1(VALU_DEP_3)
	v_add_f64_e32 v[2:3], v[2:3], v[15:16]
	v_add_f64_e32 v[13:14], v[13:14], v[11:12]
	s_delay_alu instid0(VALU_DEP_2) | instskip(NEXT) | instid1(VALU_DEP_2)
	v_add_f64_e32 v[11:12], v[2:3], v[17:18]
	v_add_f64_e32 v[13:14], v[13:14], v[19:20]
	ds_store_b128 v186, v[11:14]
	s_wait_loadcnt_dscnt 0x0
	s_barrier_signal -1
	s_barrier_wait -1
	global_inv scope:SCOPE_SE
	s_and_saveexec_b32 s18, s16
	s_cbranch_execz .LBB123_55
; %bb.54:                               ;   in Loop: Header=BB123_4 Depth=1
	ds_load_b128 v[2:5], v187
	ds_load_b128 v[11:14], v187 offset:16
	s_wait_dscnt 0x0
	v_add_f64_e32 v[6:7], v[11:12], v[2:3]
	v_add_f64_e32 v[15:16], v[13:14], v[4:5]
	ds_load_b128 v[2:5], v187 offset:32
	ds_load_b128 v[11:14], v187 offset:48
	s_wait_dscnt 0x1
	v_add_f64_e32 v[2:3], v[6:7], v[2:3]
	v_add_f64_e32 v[4:5], v[15:16], v[4:5]
	s_wait_dscnt 0x0
	s_delay_alu instid0(VALU_DEP_2) | instskip(NEXT) | instid1(VALU_DEP_2)
	v_add_f64_e32 v[6:7], v[2:3], v[11:12]
	v_add_f64_e32 v[15:16], v[4:5], v[13:14]
	ds_load_b128 v[2:5], v187 offset:64
	ds_load_b128 v[11:14], v187 offset:80
	s_wait_dscnt 0x1
	v_add_f64_e32 v[2:3], v[6:7], v[2:3]
	v_add_f64_e32 v[4:5], v[15:16], v[4:5]
	s_wait_dscnt 0x0
	s_delay_alu instid0(VALU_DEP_2) | instskip(NEXT) | instid1(VALU_DEP_2)
	;; [unrolled: 9-line block ×3, first 2 shown]
	v_add_f64_e32 v[5:6], v[2:3], v[11:12]
	v_add_f64_e32 v[7:8], v[7:8], v[13:14]
.LBB123_55:                             ;   in Loop: Header=BB123_4 Depth=1
	s_wait_alu 0xfffe
	s_or_b32 exec_lo, exec_lo, s18
	v_add_co_u32 v11, vcc_lo, 0xfffffe00, v9
	s_wait_alu 0xfffd
	v_add_co_ci_u32_e64 v12, null, -1, v10, vcc_lo
	s_and_b32 vcc_lo, exec_lo, s64
	s_mov_b32 s18, -1
	s_wait_loadcnt 0x0
	s_barrier_signal -1
	s_barrier_wait -1
	global_inv scope:SCOPE_SE
                                        ; implicit-def: $vgpr2_vgpr3
	s_wait_alu 0xfffe
	s_cbranch_vccz .LBB123_67
; %bb.56:                               ;   in Loop: Header=BB123_4 Depth=1
	s_and_saveexec_b32 s18, s12
	s_wait_alu 0xfffe
	s_xor_b32 s18, exec_lo, s18
; %bb.57:                               ;   in Loop: Header=BB123_4 Depth=1
	v_dual_mov_b32 v2, v1 :: v_dual_mov_b32 v3, v1
	v_mov_b32_e32 v4, v1
	ds_store_b128 v188, v[1:4]
; %bb.58:                               ;   in Loop: Header=BB123_4 Depth=1
	s_wait_alu 0xfffe
	s_or_saveexec_b32 s18, s18
	v_add_co_u32 v2, vcc_lo, v9, v178
	s_wait_alu 0xfffd
	v_add_co_ci_u32_e64 v3, null, v10, v179, vcc_lo
	s_lshl_b64 s[60:61], s[26:27], 4
	s_wait_alu 0xfffe
	v_add_co_u32 v2, vcc_lo, v2, s60
	s_wait_alu 0xfffd
	v_add_co_ci_u32_e64 v3, null, s61, v3, vcc_lo
	s_delay_alu instid0(VALU_DEP_2) | instskip(SKIP_1) | instid1(VALU_DEP_2)
	v_add_co_u32 v2, vcc_lo, 0xfffffdf0, v2
	s_wait_alu 0xfffd
	v_add_co_ci_u32_e64 v3, null, -1, v3, vcc_lo
	s_delay_alu instid0(VALU_DEP_2) | instskip(NEXT) | instid1(VALU_DEP_2)
	v_cndmask_b32_e64 v13, v2, v11, s1
	v_cndmask_b32_e64 v14, v3, v12, s1
	s_xor_b32 exec_lo, exec_lo, s18
	s_cbranch_execnz .LBB123_151
; %bb.59:                               ;   in Loop: Header=BB123_4 Depth=1
	s_or_b32 exec_lo, exec_lo, s18
	s_and_saveexec_b32 s18, s13
	s_wait_alu 0xfffe
	s_xor_b32 s18, exec_lo, s18
	s_cbranch_execnz .LBB123_152
.LBB123_60:                             ;   in Loop: Header=BB123_4 Depth=1
	s_wait_alu 0xfffe
	s_and_not1_saveexec_b32 s18, s18
	s_cbranch_execnz .LBB123_153
.LBB123_61:                             ;   in Loop: Header=BB123_4 Depth=1
	s_wait_alu 0xfffe
	s_or_b32 exec_lo, exec_lo, s18
	s_and_saveexec_b32 s18, s14
	s_wait_alu 0xfffe
	s_xor_b32 s18, exec_lo, s18
	s_cbranch_execnz .LBB123_154
.LBB123_62:                             ;   in Loop: Header=BB123_4 Depth=1
	s_wait_alu 0xfffe
	s_and_not1_saveexec_b32 s18, s18
	s_cbranch_execnz .LBB123_155
.LBB123_63:                             ;   in Loop: Header=BB123_4 Depth=1
	s_wait_alu 0xfffe
	s_or_b32 exec_lo, exec_lo, s18
	s_and_saveexec_b32 s18, s15
	s_wait_alu 0xfffe
	s_xor_b32 s18, exec_lo, s18
	s_cbranch_execnz .LBB123_156
.LBB123_64:                             ;   in Loop: Header=BB123_4 Depth=1
	s_wait_alu 0xfffe
	s_and_not1_saveexec_b32 s18, s18
	s_cbranch_execz .LBB123_66
.LBB123_65:                             ;   in Loop: Header=BB123_4 Depth=1
	s_lshl_b64 s[60:61], s[46:47], 4
	s_wait_alu 0xfffe
	v_add_co_u32 v2, vcc_lo, v13, s60
	s_wait_alu 0xfffd
	v_add_co_ci_u32_e64 v3, null, s61, v14, vcc_lo
	global_load_b128 v[15:18], v[2:3], off
	v_add_nc_u32_e32 v2, 0x3180, v188
	s_wait_loadcnt 0x0
	ds_store_2addr_b64 v2, v[15:16], v[17:18] offset1:1
.LBB123_66:                             ;   in Loop: Header=BB123_4 Depth=1
	s_wait_alu 0xfffe
	s_or_b32 exec_lo, exec_lo, s18
	scratch_load_b32 v2, off, off offset:8  ; 4-byte Folded Reload
	s_lshl_b64 s[60:61], s[48:49], 4
	s_mov_b32 s18, 0
	s_wait_loadcnt 0x0
	v_add_co_u32 v2, vcc_lo, v13, v2
	s_wait_alu 0xfffd
	v_add_co_ci_u32_e64 v3, null, 0, v14, vcc_lo
	s_wait_alu 0xfffe
	s_delay_alu instid0(VALU_DEP_2) | instskip(SKIP_1) | instid1(VALU_DEP_2)
	v_add_co_u32 v2, vcc_lo, v2, s60
	s_wait_alu 0xfffd
	v_add_co_ci_u32_e64 v3, null, s61, v3, vcc_lo
	s_delay_alu instid0(VALU_DEP_2) | instskip(SKIP_1) | instid1(VALU_DEP_2)
	v_add_co_u32 v2, vcc_lo, v2, 16
	s_wait_alu 0xfffd
	v_add_co_ci_u32_e64 v3, null, 0, v3, vcc_lo
	s_delay_alu instid0(VALU_DEP_2) | instskip(NEXT) | instid1(VALU_DEP_2)
	v_cndmask_b32_e64 v2, v2, v11, s1
	v_cndmask_b32_e64 v3, v3, v12, s1
.LBB123_67:                             ;   in Loop: Header=BB123_4 Depth=1
	s_and_b32 vcc_lo, exec_lo, s18
	s_wait_alu 0xfffe
	s_cbranch_vccz .LBB123_69
; %bb.68:                               ;   in Loop: Header=BB123_4 Depth=1
	s_lshl_b64 s[60:61], s[42:43], 4
	v_add_nc_u32_e32 v4, 0x1080, v188
	s_wait_alu 0xfffe
	v_add_co_u32 v2, vcc_lo, v9, s60
	s_wait_alu 0xfffd
	v_add_co_ci_u32_e64 v3, null, s61, v10, vcc_lo
	s_delay_alu instid0(VALU_DEP_2) | instskip(SKIP_1) | instid1(VALU_DEP_2)
	v_add_co_u32 v9, vcc_lo, v2, s50
	s_wait_alu 0xfffd
	v_add_co_ci_u32_e64 v10, null, s51, v3, vcc_lo
	s_delay_alu instid0(VALU_DEP_2) | instskip(SKIP_1) | instid1(VALU_DEP_2)
	v_add_co_u32 v25, vcc_lo, v9, s50
	s_wait_alu 0xfffd
	v_add_co_ci_u32_e64 v26, null, s51, v10, vcc_lo
	s_clause 0x3
	global_load_b128 v[13:16], v[11:12], off
	global_load_b128 v[17:20], v[2:3], off offset:-512
	global_load_b128 v[21:24], v[9:10], off offset:-512
	;; [unrolled: 1-line block ×3, first 2 shown]
	v_dual_mov_b32 v2, v11 :: v_dual_mov_b32 v3, v12
	s_wait_loadcnt 0x3
	ds_store_2addr_b64 v188, v[13:14], v[15:16] offset1:1
	s_wait_loadcnt 0x2
	ds_store_2addr_b64 v4, v[17:18], v[19:20] offset1:1
	v_add_nc_u32_e32 v4, 0x2100, v188
	s_wait_loadcnt 0x1
	ds_store_2addr_b64 v4, v[21:22], v[23:24] offset1:1
	v_add_nc_u32_e32 v4, 0x3180, v188
	s_wait_loadcnt 0x0
	ds_store_2addr_b64 v4, v[25:26], v[27:28] offset1:1
.LBB123_69:                             ;   in Loop: Header=BB123_4 Depth=1
	s_wait_loadcnt_dscnt 0x0
	s_barrier_signal -1
	s_barrier_wait -1
	global_inv scope:SCOPE_SE
	scratch_load_b32 v4, off, off offset:32 ; 4-byte Folded Reload
	s_wait_loadcnt 0x0
	ds_load_b128 v[9:12], v4
	ds_load_b128 v[13:16], v202
	ds_load_b128 v[17:20], v186 offset:384
	ds_load_b128 v[21:24], v202 offset:384
	;; [unrolled: 1-line block ×6, first 2 shown]
	v_add_nc_u32_e32 v4, 0x210, v208
	s_wait_dscnt 0x6
	v_mul_f64_e32 v[43:44], v[11:12], v[15:16]
	v_mul_f64_e32 v[15:16], v[9:10], v[15:16]
	s_wait_dscnt 0x2
	v_mul_f64_e32 v[45:46], v[31:32], v[27:28]
	v_mul_f64_e32 v[27:28], v[29:30], v[27:28]
	s_delay_alu instid0(VALU_DEP_4) | instskip(NEXT) | instid1(VALU_DEP_4)
	v_fma_f64 v[9:10], v[9:10], v[13:14], -v[43:44]
	v_fma_f64 v[11:12], v[11:12], v[13:14], v[15:16]
	s_wait_dscnt 0x0
	v_mul_f64_e32 v[13:14], v[35:36], v[39:40]
	v_mul_f64_e32 v[15:16], v[33:34], v[39:40]
	v_fma_f64 v[29:30], v[29:30], v[25:26], -v[45:46]
	v_fma_f64 v[25:26], v[31:32], v[25:26], v[27:28]
	v_mul_f64_e32 v[27:28], v[19:20], v[23:24]
	v_mul_f64_e32 v[23:24], v[17:18], v[23:24]
	v_add_f64_e32 v[9:10], 0, v[9:10]
	v_add_f64_e32 v[11:12], 0, v[11:12]
	v_fma_f64 v[13:14], v[33:34], v[37:38], -v[13:14]
	v_fma_f64 v[15:16], v[35:36], v[37:38], v[15:16]
	v_fma_f64 v[17:18], v[17:18], v[21:22], -v[27:28]
	v_fma_f64 v[19:20], v[19:20], v[21:22], v[23:24]
	v_add_f64_e32 v[9:10], v[9:10], v[29:30]
	v_add_f64_e32 v[11:12], v[11:12], v[25:26]
	s_delay_alu instid0(VALU_DEP_2) | instskip(NEXT) | instid1(VALU_DEP_2)
	v_add_f64_e32 v[9:10], v[9:10], v[13:14]
	v_add_f64_e32 v[11:12], v[11:12], v[15:16]
	s_delay_alu instid0(VALU_DEP_2) | instskip(NEXT) | instid1(VALU_DEP_2)
	v_add_f64_e32 v[43:44], v[9:10], v[17:18]
	v_add_f64_e32 v[45:46], v[11:12], v[19:20]
	ds_load_b128 v[33:36], v252 offset:512
	ds_load_b128 v[25:28], v252 offset:528
	;; [unrolled: 1-line block ×4, first 2 shown]
	ds_load_b128 v[37:40], v250
	ds_load_b128 v[29:32], v208
	;; [unrolled: 1-line block ×3, first 2 shown]
	v_add_nc_u32_e32 v4, 0x420, v208
	ds_load_b128 v[17:20], v4
	s_wait_dscnt 0x0
	s_barrier_signal -1
	s_barrier_wait -1
	global_inv scope:SCOPE_SE
	ds_store_b128 v186, v[43:46]
	s_wait_loadcnt_dscnt 0x0
	s_barrier_signal -1
	s_barrier_wait -1
	global_inv scope:SCOPE_SE
	s_and_saveexec_b32 s18, s16
	s_cbranch_execz .LBB123_71
; %bb.70:                               ;   in Loop: Header=BB123_4 Depth=1
	ds_load_b128 v[43:46], v187
	ds_load_b128 v[47:50], v187 offset:16
	s_wait_dscnt 0x1
	v_add_f64_e32 v[4:5], v[5:6], v[43:44]
	v_add_f64_e32 v[6:7], v[7:8], v[45:46]
	s_wait_dscnt 0x0
	s_delay_alu instid0(VALU_DEP_2) | instskip(NEXT) | instid1(VALU_DEP_2)
	v_add_f64_e32 v[47:48], v[4:5], v[47:48]
	v_add_f64_e32 v[49:50], v[6:7], v[49:50]
	ds_load_b128 v[4:7], v187 offset:32
	ds_load_b128 v[43:46], v187 offset:48
	s_wait_dscnt 0x1
	v_add_f64_e32 v[4:5], v[47:48], v[4:5]
	v_add_f64_e32 v[6:7], v[49:50], v[6:7]
	s_wait_dscnt 0x0
	s_delay_alu instid0(VALU_DEP_2) | instskip(NEXT) | instid1(VALU_DEP_2)
	v_add_f64_e32 v[47:48], v[4:5], v[43:44]
	v_add_f64_e32 v[49:50], v[6:7], v[45:46]
	ds_load_b128 v[4:7], v187 offset:64
	;; [unrolled: 9-line block ×3, first 2 shown]
	ds_load_b128 v[43:46], v187 offset:112
	s_wait_dscnt 0x1
	v_add_f64_e32 v[4:5], v[47:48], v[4:5]
	v_add_f64_e32 v[7:8], v[49:50], v[6:7]
	s_wait_dscnt 0x0
	s_delay_alu instid0(VALU_DEP_2) | instskip(NEXT) | instid1(VALU_DEP_2)
	v_add_f64_e32 v[5:6], v[4:5], v[43:44]
	v_add_f64_e32 v[7:8], v[7:8], v[45:46]
.LBB123_71:                             ;   in Loop: Header=BB123_4 Depth=1
	s_wait_alu 0xfffe
	s_or_b32 exec_lo, exec_lo, s18
	v_mul_f64_e32 v[43:44], v[35:36], v[39:40]
	v_mul_f64_e32 v[39:40], v[33:34], v[39:40]
	;; [unrolled: 1-line block ×4, first 2 shown]
	s_wait_loadcnt 0x0
	s_barrier_signal -1
	s_barrier_wait -1
	global_inv scope:SCOPE_SE
	v_fma_f64 v[33:34], v[33:34], v[37:38], -v[43:44]
	v_fma_f64 v[35:36], v[35:36], v[37:38], v[39:40]
	v_mul_f64_e32 v[37:38], v[15:16], v[23:24]
	v_mul_f64_e32 v[23:24], v[13:14], v[23:24]
	v_fma_f64 v[25:26], v[25:26], v[29:30], -v[45:46]
	v_fma_f64 v[27:28], v[27:28], v[29:30], v[31:32]
	v_add_f64_e32 v[29:30], 0, v[33:34]
	v_add_f64_e32 v[31:32], 0, v[35:36]
	v_mul_f64_e32 v[33:34], v[11:12], v[19:20]
	v_mul_f64_e32 v[19:20], v[9:10], v[19:20]
	v_fma_f64 v[13:14], v[13:14], v[21:22], -v[37:38]
	v_fma_f64 v[15:16], v[15:16], v[21:22], v[23:24]
	v_add_f64_e32 v[21:22], v[29:30], v[25:26]
	v_add_f64_e32 v[23:24], v[31:32], v[27:28]
	v_fma_f64 v[9:10], v[9:10], v[17:18], -v[33:34]
	v_fma_f64 v[11:12], v[11:12], v[17:18], v[19:20]
	s_delay_alu instid0(VALU_DEP_4) | instskip(NEXT) | instid1(VALU_DEP_4)
	v_add_f64_e32 v[13:14], v[21:22], v[13:14]
	v_add_f64_e32 v[15:16], v[23:24], v[15:16]
	s_delay_alu instid0(VALU_DEP_2) | instskip(NEXT) | instid1(VALU_DEP_2)
	v_add_f64_e32 v[9:10], v[13:14], v[9:10]
	v_add_f64_e32 v[11:12], v[15:16], v[11:12]
	ds_store_b128 v186, v[9:12]
	s_wait_loadcnt_dscnt 0x0
	s_barrier_signal -1
	s_barrier_wait -1
	global_inv scope:SCOPE_SE
	s_and_saveexec_b32 s18, s10
	s_cbranch_execz .LBB123_73
; %bb.72:                               ;   in Loop: Header=BB123_4 Depth=1
	ds_load_b128 v[9:12], v187
	ds_load_b128 v[13:16], v187 offset:16
	s_wait_dscnt 0x1
	v_add_f64_e32 v[4:5], v[5:6], v[9:10]
	v_add_f64_e32 v[6:7], v[7:8], v[11:12]
	s_wait_dscnt 0x0
	s_delay_alu instid0(VALU_DEP_2) | instskip(NEXT) | instid1(VALU_DEP_2)
	v_add_f64_e32 v[12:13], v[4:5], v[13:14]
	v_add_f64_e32 v[14:15], v[6:7], v[15:16]
	ds_load_b128 v[4:7], v187 offset:32
	ds_load_b128 v[8:11], v187 offset:48
	s_wait_dscnt 0x1
	v_add_f64_e32 v[4:5], v[12:13], v[4:5]
	v_add_f64_e32 v[6:7], v[14:15], v[6:7]
	s_wait_dscnt 0x0
	s_delay_alu instid0(VALU_DEP_2) | instskip(NEXT) | instid1(VALU_DEP_2)
	v_add_f64_e32 v[12:13], v[4:5], v[8:9]
	v_add_f64_e32 v[14:15], v[6:7], v[10:11]
	ds_load_b128 v[4:7], v187 offset:64
	;; [unrolled: 9-line block ×3, first 2 shown]
	ds_load_b128 v[8:11], v187 offset:112
	s_wait_dscnt 0x1
	v_add_f64_e32 v[4:5], v[12:13], v[4:5]
	v_add_f64_e32 v[12:13], v[14:15], v[6:7]
	s_wait_dscnt 0x0
	s_delay_alu instid0(VALU_DEP_2) | instskip(NEXT) | instid1(VALU_DEP_2)
	v_add_f64_e32 v[5:6], v[4:5], v[8:9]
	v_add_f64_e32 v[7:8], v[12:13], v[10:11]
.LBB123_73:                             ;   in Loop: Header=BB123_4 Depth=1
	s_wait_alu 0xfffe
	s_or_b32 exec_lo, exec_lo, s18
	s_mul_u64 s[60:61], s[24:25], s[34:35]
	s_and_not1_b32 vcc_lo, exec_lo, s45
	s_wait_alu 0xfffe
	s_lshl_b64 s[60:61], s[60:61], 4
	s_wait_loadcnt 0x0
	s_wait_alu 0xfffe
	s_add_nc_u64 s[60:61], s[30:31], s[60:61]
	s_barrier_signal -1
	s_barrier_wait -1
	global_inv scope:SCOPE_SE
	s_cbranch_vccnz .LBB123_131
; %bb.74:                               ;   in Loop: Header=BB123_4 Depth=1
	scratch_load_b32 v4, off, off offset:52 ; 4-byte Folded Reload
	v_add_co_u32 v253, vcc_lo, v41, s58
	s_wait_alu 0xfffd
	v_add_co_ci_u32_e64 v254, null, s59, v42, vcc_lo
	s_mov_b32 s70, ttmp9
	s_mov_b32 s62, s69
	s_clause 0x1
	scratch_load_b64 v[9:10], off, off offset:40
	scratch_load_b32 v180, off, off offset:36
	s_wait_loadcnt 0x2
	v_add_co_u32 v255, vcc_lo, v2, v4
	scratch_load_b32 v4, off, off offset:48 ; 4-byte Folded Reload
	s_wait_loadcnt 0x0
	s_wait_alu 0xfffd
	v_add_co_ci_u32_e64 v209, null, v3, v4, vcc_lo
	scratch_load_b32 v4, off, off offset:56 ; 4-byte Folded Reload
	s_wait_loadcnt 0x0
	v_add_co_u32 v212, vcc_lo, v2, v4
	scratch_load_b32 v4, off, off offset:60 ; 4-byte Folded Reload
	s_wait_loadcnt 0x0
	s_wait_alu 0xfffd
	v_add_co_ci_u32_e64 v213, null, v3, v4, vcc_lo
	scratch_load_b32 v4, off, off offset:64 ; 4-byte Folded Reload
	;; [unrolled: 7-line block ×9, first 2 shown]
	v_add_co_u32 v228, vcc_lo, v2, v9
	s_wait_alu 0xfffd
	v_add_co_ci_u32_e64 v229, null, v3, v10, vcc_lo
	s_wait_loadcnt 0x0
	v_add_co_u32 v230, vcc_lo, v2, v4
	scratch_load_b32 v4, off, off offset:120 ; 4-byte Folded Reload
	s_wait_loadcnt 0x0
	s_wait_alu 0xfffd
	v_add_co_ci_u32_e64 v231, null, v3, v4, vcc_lo
	scratch_load_b32 v4, off, off offset:128 ; 4-byte Folded Reload
	s_wait_loadcnt 0x0
	v_add_co_u32 v232, vcc_lo, v2, v4
	scratch_load_b32 v4, off, off offset:132 ; 4-byte Folded Reload
	s_wait_loadcnt 0x0
	s_wait_alu 0xfffd
	v_add_co_ci_u32_e64 v233, null, v3, v4, vcc_lo
	scratch_load_b32 v4, off, off offset:140 ; 4-byte Folded Reload
	;; [unrolled: 7-line block ×9, first 2 shown]
	s_wait_loadcnt 0x0
	v_add_co_u32 v248, vcc_lo, v2, v4
	scratch_load_b32 v2, off, off offset:192 ; 4-byte Folded Reload
	s_wait_loadcnt 0x0
	s_wait_alu 0xfffd
	v_add_co_ci_u32_e64 v249, null, v3, v2, vcc_lo
	s_wait_alu 0xfffe
	s_cmp_eq_u32 s66, s70
	s_cselect_b32 s71, s33, 0
	s_and_saveexec_b32 s18, s0
	s_cbranch_execz .LBB123_79
.LBB123_75:                             ;   in Loop: Header=BB123_4 Depth=1
	s_wait_alu 0xfffe
	v_cmp_le_i32_e32 vcc_lo, s71, v173
	s_cmp_lg_u32 s71, 0
	s_cselect_b32 s63, -1, 0
	s_wait_alu 0xfffe
	s_and_b32 s63, s63, vcc_lo
	s_wait_alu 0xfffe
	s_and_saveexec_b32 s72, s63
	s_wait_alu 0xfffe
	s_xor_b32 s63, exec_lo, s72
; %bb.76:                               ;   in Loop: Header=BB123_4 Depth=1
	v_dual_mov_b32 v2, v1 :: v_dual_mov_b32 v3, v1
	v_mov_b32_e32 v4, v1
	ds_store_b128 v203, v[1:4]
; %bb.77:                               ;   in Loop: Header=BB123_4 Depth=1
	s_wait_alu 0xfffe
	s_and_not1_saveexec_b32 s63, s63
	s_cbranch_execz .LBB123_79
; %bb.78:                               ;   in Loop: Header=BB123_4 Depth=1
	s_ashr_i32 s63, s62, 31
	s_wait_alu 0xfffe
	s_lshl_b64 s[72:73], s[62:63], 4
	s_wait_alu 0xfffe
	v_add_co_u32 v2, vcc_lo, v253, s72
	s_wait_alu 0xfffd
	v_add_co_ci_u32_e64 v3, null, s73, v254, vcc_lo
	global_load_b128 v[9:12], v[2:3], off
	s_wait_loadcnt 0x0
	ds_store_2addr_b64 v203, v[9:10], v[11:12] offset1:1
.LBB123_79:                             ;   Parent Loop BB123_4 Depth=1
                                        ; =>  This Inner Loop Header: Depth=2
	s_wait_alu 0xfffe
	s_or_b32 exec_lo, exec_lo, s18
	s_cmp_eq_u32 s71, 0
	v_add_co_u32 v2, vcc_lo, v255, v210
	s_cselect_b32 s63, -1, 0
	s_cmp_lg_u32 s71, 0
	s_wait_alu 0xfffd
	v_add_co_ci_u32_e64 v3, null, v209, v211, vcc_lo
	s_cselect_b32 s18, -1, 0
	s_wait_dscnt 0x0
	s_wait_alu 0xfffe
	s_and_b32 vcc_lo, exec_lo, s18
	s_barrier_signal -1
	s_barrier_wait -1
	global_inv scope:SCOPE_SE
	s_wait_alu 0xfffe
	s_cbranch_vccz .LBB123_87
; %bb.80:                               ;   in Loop: Header=BB123_79 Depth=2
	v_mov_b32_e32 v9, 0
	v_dual_mov_b32 v10, 0 :: v_dual_mov_b32 v13, 0
	v_dual_mov_b32 v15, 0 :: v_dual_mov_b32 v14, 0
	v_mov_b32_e32 v16, 0
	s_mov_b32 s72, exec_lo
	v_cmpx_gt_i32_e64 s71, v201
	s_cbranch_execz .LBB123_82
; %bb.81:                               ;   in Loop: Header=BB123_79 Depth=2
	global_load_b128 v[13:16], v[2:3], off offset:-8
.LBB123_82:                             ;   in Loop: Header=BB123_79 Depth=2
	s_wait_alu 0xfffe
	s_or_b32 exec_lo, exec_lo, s72
	v_mov_b32_e32 v11, 0
	v_or_b32_e32 v4, 1, v201
	v_mov_b32_e32 v12, 0
	s_mov_b32 s72, exec_lo
	s_delay_alu instid0(VALU_DEP_2)
	v_cmpx_gt_i32_e64 s71, v4
	s_cbranch_execz .LBB123_84
; %bb.83:                               ;   in Loop: Header=BB123_79 Depth=2
	v_add_co_u32 v9, vcc_lo, v218, v210
	s_wait_alu 0xfffd
	v_add_co_ci_u32_e64 v10, null, v219, v211, vcc_lo
	global_load_b128 v[9:12], v[9:10], off offset:-8
.LBB123_84:                             ;   in Loop: Header=BB123_79 Depth=2
	s_wait_alu 0xfffe
	s_or_b32 exec_lo, exec_lo, s72
	v_mov_b32_e32 v17, 0
	v_dual_mov_b32 v18, 0 :: v_dual_mov_b32 v19, 0
	v_or_b32_e32 v4, 2, v201
	v_mov_b32_e32 v20, 0
	s_mov_b32 s72, exec_lo
	s_delay_alu instid0(VALU_DEP_2)
	v_cmpx_gt_i32_e64 s71, v4
	s_cbranch_execz .LBB123_86
; %bb.85:                               ;   in Loop: Header=BB123_79 Depth=2
	v_add_co_u32 v17, vcc_lo, v222, v210
	s_wait_alu 0xfffd
	v_add_co_ci_u32_e64 v18, null, v223, v211, vcc_lo
	global_load_b128 v[17:20], v[17:18], off offset:-8
.LBB123_86:                             ;   in Loop: Header=BB123_79 Depth=2
	s_wait_alu 0xfffe
	s_or_b32 exec_lo, exec_lo, s72
	v_or_b32_e32 v4, 3, v201
	s_delay_alu instid0(VALU_DEP_1)
	v_cmp_gt_i32_e64 s72, s71, v4
	s_branch .LBB123_89
.LBB123_87:                             ;   in Loop: Header=BB123_79 Depth=2
	s_mov_b32 s72, 0
                                        ; implicit-def: $vgpr19_vgpr20
                                        ; implicit-def: $vgpr11_vgpr12
                                        ; implicit-def: $vgpr15_vgpr16
	s_cbranch_execz .LBB123_89
; %bb.88:                               ;   in Loop: Header=BB123_79 Depth=2
	s_wait_loadcnt 0x0
	v_add_co_u32 v9, vcc_lo, v218, v210
	s_wait_alu 0xfffd
	v_add_co_ci_u32_e64 v10, null, v219, v211, vcc_lo
	v_add_co_u32 v17, vcc_lo, v214, v210
	s_wait_alu 0xfffd
	v_add_co_ci_u32_e64 v18, null, v215, v211, vcc_lo
	global_load_b128 v[13:16], v[2:3], off offset:-8
	global_load_b128 v[9:12], v[9:10], off offset:-8
	global_load_b128 v[17:20], v[17:18], off
	s_wait_alu 0xfffe
	s_or_b32 s72, s72, exec_lo
.LBB123_89:                             ;   in Loop: Header=BB123_79 Depth=2
	v_mov_b32_e32 v21, 0
	v_dual_mov_b32 v22, 0 :: v_dual_mov_b32 v23, 0
	v_mov_b32_e32 v24, 0
	s_wait_alu 0xfffe
	s_and_saveexec_b32 s73, s72
	s_cbranch_execz .LBB123_91
; %bb.90:                               ;   in Loop: Header=BB123_79 Depth=2
	v_add_co_u32 v2, vcc_lo, v226, v210
	s_wait_alu 0xfffd
	v_add_co_ci_u32_e64 v3, null, v227, v211, vcc_lo
	global_load_b128 v[21:24], v[2:3], off offset:-8
.LBB123_91:                             ;   in Loop: Header=BB123_79 Depth=2
	s_wait_alu 0xfffe
	s_or_b32 exec_lo, exec_lo, s73
	ds_load_b128 v[29:32], v185
	ds_load_b128 v[25:28], v0
	v_cndmask_b32_e64 v4, 0, 1, s18
	s_wait_loadcnt_dscnt 0x1
	v_mul_f64_e32 v[2:3], v[15:16], v[31:32]
	v_mul_f64_e32 v[33:34], v[13:14], v[31:32]
	;; [unrolled: 1-line block ×8, first 2 shown]
	v_fma_f64 v[41:42], v[13:14], v[29:30], -v[2:3]
	v_fma_f64 v[43:44], v[15:16], v[29:30], v[33:34]
	v_fma_f64 v[45:46], v[9:10], v[29:30], -v[35:36]
	v_fma_f64 v[47:48], v[11:12], v[29:30], v[37:38]
	;; [unrolled: 2-line block ×4, first 2 shown]
	ds_load_b128 v[37:40], v0 offset:16
	ds_load_b128 v[33:36], v0 offset:32
	;; [unrolled: 1-line block ×3, first 2 shown]
	v_add_co_u32 v2, vcc_lo, v230, v210
	s_wait_alu 0xfffd
	v_add_co_ci_u32_e64 v3, null, v231, v211, vcc_lo
	s_and_not1_b32 vcc_lo, exec_lo, s18
	ds_store_b128 v204, v[41:44]
	ds_store_b128 v204, v[45:48] offset:1072
	ds_store_b128 v204, v[49:52] offset:2144
	ds_store_b128 v204, v[53:56] offset:3216
	s_wait_dscnt 0x0
	s_barrier_signal -1
	s_barrier_wait -1
	global_inv scope:SCOPE_SE
	ds_load_b128 v[97:100], v205
	ds_load_b128 v[93:96], v205 offset:16
	ds_load_b128 v[89:92], v205 offset:32
	;; [unrolled: 1-line block ×3, first 2 shown]
	s_wait_loadcnt_dscnt 0x0
	s_barrier_signal -1
	s_barrier_wait -1
	global_inv scope:SCOPE_SE
	s_wait_alu 0xfffe
	s_cbranch_vccnz .LBB123_99
; %bb.92:                               ;   in Loop: Header=BB123_79 Depth=2
	v_mov_b32_e32 v41, 0
	v_mov_b32_e32 v45, 0
	;; [unrolled: 1-line block ×3, first 2 shown]
	v_dual_mov_b32 v42, 0 :: v_dual_add_nc_u32 v43, 16, v201
	v_mov_b32_e32 v46, 0
	v_mov_b32_e32 v48, 0
	s_mov_b32 s18, exec_lo
	s_delay_alu instid0(VALU_DEP_3)
	v_cmpx_gt_i32_e64 s71, v43
	s_cbranch_execz .LBB123_94
; %bb.93:                               ;   in Loop: Header=BB123_79 Depth=2
	global_load_b128 v[45:48], v[2:3], off offset:-8
.LBB123_94:                             ;   in Loop: Header=BB123_79 Depth=2
	s_wait_alu 0xfffe
	s_or_b32 exec_lo, exec_lo, s18
	v_mov_b32_e32 v43, 0
	v_dual_mov_b32 v44, 0 :: v_dual_add_nc_u32 v49, 17, v201
	s_mov_b32 s18, exec_lo
	s_delay_alu instid0(VALU_DEP_1)
	v_cmpx_gt_i32_e64 s71, v49
	s_cbranch_execz .LBB123_96
; %bb.95:                               ;   in Loop: Header=BB123_79 Depth=2
	v_add_co_u32 v41, vcc_lo, v234, v210
	s_wait_alu 0xfffd
	v_add_co_ci_u32_e64 v42, null, v235, v211, vcc_lo
	global_load_b128 v[41:44], v[41:42], off offset:-8
.LBB123_96:                             ;   in Loop: Header=BB123_79 Depth=2
	s_wait_alu 0xfffe
	s_or_b32 exec_lo, exec_lo, s18
	v_mov_b32_e32 v49, 0
	v_mov_b32_e32 v51, 0
	v_dual_mov_b32 v50, 0 :: v_dual_add_nc_u32 v53, 18, v201
	v_mov_b32_e32 v52, 0
	s_mov_b32 s18, exec_lo
	s_delay_alu instid0(VALU_DEP_2)
	v_cmpx_gt_i32_e64 s71, v53
	s_cbranch_execz .LBB123_98
; %bb.97:                               ;   in Loop: Header=BB123_79 Depth=2
	v_add_co_u32 v49, vcc_lo, v238, v210
	s_wait_alu 0xfffd
	v_add_co_ci_u32_e64 v50, null, v239, v211, vcc_lo
	global_load_b128 v[49:52], v[49:50], off offset:-8
.LBB123_98:                             ;   in Loop: Header=BB123_79 Depth=2
	s_wait_alu 0xfffe
	s_or_b32 exec_lo, exec_lo, s18
	v_add_nc_u32_e32 v53, 19, v201
	s_delay_alu instid0(VALU_DEP_1)
	v_cmp_gt_i32_e64 s18, s71, v53
	s_branch .LBB123_101
.LBB123_99:                             ;   in Loop: Header=BB123_79 Depth=2
	s_mov_b32 s18, 0
                                        ; implicit-def: $vgpr51_vgpr52
                                        ; implicit-def: $vgpr43_vgpr44
                                        ; implicit-def: $vgpr47_vgpr48
	s_cbranch_execz .LBB123_101
; %bb.100:                              ;   in Loop: Header=BB123_79 Depth=2
	s_wait_loadcnt 0x0
	v_add_co_u32 v41, vcc_lo, v234, v210
	s_wait_alu 0xfffd
	v_add_co_ci_u32_e64 v42, null, v235, v211, vcc_lo
	v_add_co_u32 v49, vcc_lo, v242, v210
	s_wait_alu 0xfffd
	v_add_co_ci_u32_e64 v50, null, v243, v211, vcc_lo
	global_load_b128 v[45:48], v[2:3], off offset:-8
	global_load_b128 v[41:44], v[41:42], off offset:-8
	global_load_b128 v[49:52], v[49:50], off
	s_wait_alu 0xfffe
	s_or_b32 s18, s18, exec_lo
.LBB123_101:                            ;   in Loop: Header=BB123_79 Depth=2
	v_mov_b32_e32 v53, 0
	v_dual_mov_b32 v54, 0 :: v_dual_mov_b32 v55, 0
	v_mov_b32_e32 v56, 0
	s_wait_alu 0xfffe
	s_and_saveexec_b32 s72, s18
	s_cbranch_execz .LBB123_103
; %bb.102:                              ;   in Loop: Header=BB123_79 Depth=2
	v_add_co_u32 v2, vcc_lo, v246, v210
	s_wait_alu 0xfffd
	v_add_co_ci_u32_e64 v3, null, v247, v211, vcc_lo
	global_load_b128 v[53:56], v[2:3], off offset:-8
.LBB123_103:                            ;   in Loop: Header=BB123_79 Depth=2
	s_wait_alu 0xfffe
	s_or_b32 exec_lo, exec_lo, s72
	ds_load_b128 v[61:64], v185
	ds_load_b128 v[57:60], v0 offset:256
	v_cmp_ne_u32_e32 vcc_lo, 1, v4
	s_and_b32 vcc_lo, exec_lo, vcc_lo
	s_wait_loadcnt_dscnt 0x1
	v_mul_f64_e32 v[2:3], v[47:48], v[63:64]
	v_mul_f64_e32 v[65:66], v[45:46], v[63:64]
	;; [unrolled: 1-line block ×8, first 2 shown]
	v_fma_f64 v[73:74], v[45:46], v[61:62], -v[2:3]
	v_fma_f64 v[75:76], v[47:48], v[61:62], v[65:66]
	v_fma_f64 v[77:78], v[41:42], v[61:62], -v[67:68]
	v_fma_f64 v[79:80], v[43:44], v[61:62], v[69:70]
	;; [unrolled: 2-line block ×4, first 2 shown]
	ds_load_b128 v[69:72], v0 offset:272
	ds_load_b128 v[65:68], v0 offset:288
	;; [unrolled: 1-line block ×3, first 2 shown]
	v_add_co_u32 v2, s18, v248, v210
	s_wait_alu 0xf1ff
	v_add_co_ci_u32_e64 v3, null, v249, v211, s18
	ds_store_b128 v204, v[73:76]
	ds_store_b128 v204, v[77:80] offset:1072
	ds_store_b128 v204, v[81:84] offset:2144
	;; [unrolled: 1-line block ×3, first 2 shown]
	s_wait_dscnt 0x0
	s_barrier_signal -1
	s_barrier_wait -1
	global_inv scope:SCOPE_SE
	ds_load_b128 v[145:148], v205
	ds_load_b128 v[141:144], v205 offset:16
	ds_load_b128 v[137:140], v205 offset:32
	ds_load_b128 v[133:136], v205 offset:48
	s_wait_loadcnt_dscnt 0x0
	s_barrier_signal -1
	s_barrier_wait -1
	global_inv scope:SCOPE_SE
	s_wait_alu 0xfffe
	s_cbranch_vccnz .LBB123_111
; %bb.104:                              ;   in Loop: Header=BB123_79 Depth=2
	v_mov_b32_e32 v73, 0
	v_mov_b32_e32 v77, 0
	;; [unrolled: 1-line block ×3, first 2 shown]
	v_dual_mov_b32 v74, 0 :: v_dual_add_nc_u32 v75, 32, v201
	v_mov_b32_e32 v78, 0
	v_mov_b32_e32 v80, 0
	s_mov_b32 s18, exec_lo
	s_delay_alu instid0(VALU_DEP_3)
	v_cmpx_gt_i32_e64 s71, v75
	s_cbranch_execz .LBB123_106
; %bb.105:                              ;   in Loop: Header=BB123_79 Depth=2
	global_load_b128 v[77:80], v[2:3], off offset:-8
.LBB123_106:                            ;   in Loop: Header=BB123_79 Depth=2
	s_wait_alu 0xfffe
	s_or_b32 exec_lo, exec_lo, s18
	v_mov_b32_e32 v75, 0
	v_dual_mov_b32 v76, 0 :: v_dual_add_nc_u32 v81, 33, v201
	s_mov_b32 s18, exec_lo
	s_delay_alu instid0(VALU_DEP_1)
	v_cmpx_gt_i32_e64 s71, v81
	s_cbranch_execz .LBB123_108
; %bb.107:                              ;   in Loop: Header=BB123_79 Depth=2
	v_add_co_u32 v73, vcc_lo, v244, v210
	s_wait_alu 0xfffd
	v_add_co_ci_u32_e64 v74, null, v245, v211, vcc_lo
	global_load_b128 v[73:76], v[73:74], off
.LBB123_108:                            ;   in Loop: Header=BB123_79 Depth=2
	s_wait_alu 0xfffe
	s_or_b32 exec_lo, exec_lo, s18
	v_mov_b32_e32 v81, 0
	v_mov_b32_e32 v83, 0
	v_dual_mov_b32 v82, 0 :: v_dual_add_nc_u32 v101, 34, v201
	v_mov_b32_e32 v84, 0
	s_mov_b32 s18, exec_lo
	s_delay_alu instid0(VALU_DEP_2)
	v_cmpx_gt_i32_e64 s71, v101
	s_cbranch_execz .LBB123_110
; %bb.109:                              ;   in Loop: Header=BB123_79 Depth=2
	v_add_co_u32 v81, vcc_lo, v240, v210
	s_wait_alu 0xfffd
	v_add_co_ci_u32_e64 v82, null, v241, v211, vcc_lo
	global_load_b128 v[81:84], v[81:82], off
.LBB123_110:                            ;   in Loop: Header=BB123_79 Depth=2
	s_wait_alu 0xfffe
	s_or_b32 exec_lo, exec_lo, s18
	v_add_nc_u32_e32 v101, 35, v201
	s_delay_alu instid0(VALU_DEP_1)
	v_cmp_gt_i32_e64 s18, s71, v101
	s_branch .LBB123_113
.LBB123_111:                            ;   in Loop: Header=BB123_79 Depth=2
	s_mov_b32 s18, 0
                                        ; implicit-def: $vgpr83_vgpr84
                                        ; implicit-def: $vgpr75_vgpr76
                                        ; implicit-def: $vgpr79_vgpr80
	s_cbranch_execz .LBB123_113
; %bb.112:                              ;   in Loop: Header=BB123_79 Depth=2
	s_wait_loadcnt 0x0
	v_add_co_u32 v73, vcc_lo, v244, v210
	s_wait_alu 0xfffd
	v_add_co_ci_u32_e64 v74, null, v245, v211, vcc_lo
	v_add_co_u32 v81, vcc_lo, v236, v210
	s_wait_alu 0xfffd
	v_add_co_ci_u32_e64 v82, null, v237, v211, vcc_lo
	global_load_b128 v[77:80], v[2:3], off offset:-8
	global_load_b128 v[73:76], v[73:74], off
	global_load_b128 v[81:84], v[81:82], off offset:-8
	s_wait_alu 0xfffe
	s_or_b32 s18, s18, exec_lo
.LBB123_113:                            ;   in Loop: Header=BB123_79 Depth=2
	v_mov_b32_e32 v101, 0
	v_dual_mov_b32 v102, 0 :: v_dual_mov_b32 v103, 0
	v_mov_b32_e32 v104, 0
	s_wait_alu 0xfffe
	s_and_saveexec_b32 s72, s18
	s_cbranch_execz .LBB123_115
; %bb.114:                              ;   in Loop: Header=BB123_79 Depth=2
	v_add_co_u32 v2, vcc_lo, v232, v210
	s_wait_alu 0xfffd
	v_add_co_ci_u32_e64 v3, null, v233, v211, vcc_lo
	global_load_b128 v[101:104], v[2:3], off
.LBB123_115:                            ;   in Loop: Header=BB123_79 Depth=2
	s_wait_alu 0xfffe
	s_or_b32 exec_lo, exec_lo, s72
	ds_load_b128 v[109:112], v185
	ds_load_b128 v[105:108], v0 offset:512
	v_cmp_ne_u32_e32 vcc_lo, 1, v4
	s_and_b32 vcc_lo, exec_lo, vcc_lo
	s_wait_loadcnt_dscnt 0x1
	v_mul_f64_e32 v[2:3], v[79:80], v[111:112]
	v_mul_f64_e32 v[115:116], v[77:78], v[111:112]
	;; [unrolled: 1-line block ×5, first 2 shown]
	v_fma_f64 v[113:114], v[77:78], v[109:110], -v[2:3]
	v_mul_f64_e32 v[2:3], v[83:84], v[111:112]
	v_fma_f64 v[115:116], v[79:80], v[109:110], v[115:116]
	v_fma_f64 v[117:118], v[73:74], v[109:110], -v[117:118]
	v_fma_f64 v[119:120], v[75:76], v[109:110], v[119:120]
	v_fma_f64 v[127:128], v[83:84], v[109:110], v[121:122]
	ds_store_b128 v204, v[113:116]
	ds_store_b128 v204, v[117:120] offset:1072
	v_fma_f64 v[125:126], v[81:82], v[109:110], -v[2:3]
	v_mul_f64_e32 v[2:3], v[103:104], v[111:112]
	v_mul_f64_e32 v[111:112], v[101:102], v[111:112]
	ds_load_b128 v[121:124], v0 offset:528
	ds_load_b128 v[113:116], v0 offset:544
	v_fma_f64 v[129:130], v[101:102], v[109:110], -v[2:3]
	v_fma_f64 v[131:132], v[103:104], v[109:110], v[111:112]
	ds_store_b128 v204, v[125:128] offset:2144
	ds_load_b128 v[109:112], v0 offset:560
	v_add_co_u32 v2, s18, v228, v210
	s_wait_alu 0xf1ff
	v_add_co_ci_u32_e64 v3, null, v229, v211, s18
	ds_store_b128 v204, v[129:132] offset:3216
	s_wait_dscnt 0x0
	s_barrier_signal -1
	s_barrier_wait -1
	global_inv scope:SCOPE_SE
	ds_load_b128 v[169:172], v205
	ds_load_b128 v[165:168], v205 offset:16
	ds_load_b128 v[161:164], v205 offset:32
	;; [unrolled: 1-line block ×3, first 2 shown]
	s_wait_loadcnt_dscnt 0x0
	s_barrier_signal -1
	s_barrier_wait -1
	global_inv scope:SCOPE_SE
	s_wait_alu 0xfffe
	s_cbranch_vccnz .LBB123_123
; %bb.116:                              ;   in Loop: Header=BB123_79 Depth=2
	v_dual_mov_b32 v117, 0 :: v_dual_add_nc_u32 v4, 48, v201
	v_dual_mov_b32 v118, 0 :: v_dual_mov_b32 v125, 0
	v_dual_mov_b32 v126, 0 :: v_dual_mov_b32 v127, 0
	v_mov_b32_e32 v128, 0
	s_mov_b32 s18, exec_lo
	v_cmpx_gt_i32_e64 s71, v4
	s_cbranch_execz .LBB123_118
; %bb.117:                              ;   in Loop: Header=BB123_79 Depth=2
	global_load_b128 v[125:128], v[2:3], off
.LBB123_118:                            ;   in Loop: Header=BB123_79 Depth=2
	s_wait_alu 0xfffe
	s_or_b32 exec_lo, exec_lo, s18
	v_dual_mov_b32 v119, 0 :: v_dual_add_nc_u32 v4, 49, v201
	v_mov_b32_e32 v120, 0
	s_mov_b32 s18, exec_lo
	s_delay_alu instid0(VALU_DEP_2)
	v_cmpx_gt_i32_e64 s71, v4
	s_cbranch_execz .LBB123_120
; %bb.119:                              ;   in Loop: Header=BB123_79 Depth=2
	v_add_co_u32 v117, vcc_lo, v224, v210
	s_wait_alu 0xfffd
	v_add_co_ci_u32_e64 v118, null, v225, v211, vcc_lo
	global_load_b128 v[117:120], v[117:118], off
.LBB123_120:                            ;   in Loop: Header=BB123_79 Depth=2
	s_wait_alu 0xfffe
	s_or_b32 exec_lo, exec_lo, s18
	v_dual_mov_b32 v129, 0 :: v_dual_add_nc_u32 v4, 50, v201
	v_dual_mov_b32 v130, 0 :: v_dual_mov_b32 v131, 0
	v_mov_b32_e32 v132, 0
	s_mov_b32 s18, exec_lo
	s_delay_alu instid0(VALU_DEP_3)
	v_cmpx_gt_i32_e64 s71, v4
	s_cbranch_execz .LBB123_122
; %bb.121:                              ;   in Loop: Header=BB123_79 Depth=2
	v_add_co_u32 v129, vcc_lo, v220, v210
	s_wait_alu 0xfffd
	v_add_co_ci_u32_e64 v130, null, v221, v211, vcc_lo
	global_load_b128 v[129:132], v[129:130], off
.LBB123_122:                            ;   in Loop: Header=BB123_79 Depth=2
	s_wait_alu 0xfffe
	s_or_b32 exec_lo, exec_lo, s18
	v_add_nc_u32_e32 v4, 51, v201
	s_delay_alu instid0(VALU_DEP_1)
	v_cmp_gt_i32_e64 s18, s71, v4
	s_branch .LBB123_125
.LBB123_123:                            ;   in Loop: Header=BB123_79 Depth=2
	s_mov_b32 s18, 0
                                        ; implicit-def: $vgpr131_vgpr132
                                        ; implicit-def: $vgpr119_vgpr120
                                        ; implicit-def: $vgpr127_vgpr128
	s_cbranch_execz .LBB123_125
; %bb.124:                              ;   in Loop: Header=BB123_79 Depth=2
	s_wait_loadcnt 0x0
	v_add_co_u32 v117, vcc_lo, v224, v210
	s_wait_alu 0xfffd
	v_add_co_ci_u32_e64 v118, null, v225, v211, vcc_lo
	v_add_co_u32 v129, vcc_lo, v216, v210
	s_wait_alu 0xfffd
	v_add_co_ci_u32_e64 v130, null, v217, v211, vcc_lo
	global_load_b128 v[125:128], v[2:3], off
	global_load_b128 v[117:120], v[117:118], off
	global_load_b128 v[129:132], v[129:130], off offset:-8
	s_wait_alu 0xfffe
	s_or_b32 s18, s18, exec_lo
.LBB123_125:                            ;   in Loop: Header=BB123_79 Depth=2
	v_mov_b32_e32 v149, 0
	v_dual_mov_b32 v150, 0 :: v_dual_mov_b32 v151, 0
	v_mov_b32_e32 v152, 0
	s_wait_alu 0xfffe
	s_and_saveexec_b32 s72, s18
	s_cbranch_execz .LBB123_127
; %bb.126:                              ;   in Loop: Header=BB123_79 Depth=2
	v_add_co_u32 v2, vcc_lo, v212, v210
	s_wait_alu 0xfffd
	v_add_co_ci_u32_e64 v3, null, v213, v211, vcc_lo
	global_load_b128 v[149:152], v[2:3], off
.LBB123_127:                            ;   in Loop: Header=BB123_79 Depth=2
	s_wait_alu 0xfffe
	s_or_b32 exec_lo, exec_lo, s72
	ds_load_b128 v[181:184], v185
	ds_load_b128 v[153:156], v0 offset:768
	v_cmp_gt_i32_e32 vcc_lo, s71, v173
	s_or_b32 s18, s63, vcc_lo
	s_wait_alu 0xfffe
	s_and_b32 s63, s17, s18
	s_wait_loadcnt_dscnt 0x1
	v_mul_f64_e32 v[2:3], v[127:128], v[183:184]
	v_mul_f64_e32 v[174:175], v[125:126], v[183:184]
	;; [unrolled: 1-line block ×4, first 2 shown]
	s_delay_alu instid0(VALU_DEP_4) | instskip(SKIP_4) | instid1(VALU_DEP_4)
	v_fma_f64 v[189:190], v[125:126], v[181:182], -v[2:3]
	v_mul_f64_e32 v[2:3], v[119:120], v[183:184]
	v_fma_f64 v[191:192], v[127:128], v[181:182], v[174:175]
	v_fma_f64 v[199:200], v[131:132], v[181:182], v[193:194]
	;; [unrolled: 1-line block ×3, first 2 shown]
	v_fma_f64 v[174:175], v[117:118], v[181:182], -v[2:3]
	v_mul_f64_e32 v[2:3], v[131:132], v[183:184]
	s_delay_alu instid0(VALU_DEP_1) | instskip(SKIP_2) | instid1(VALU_DEP_2)
	v_fma_f64 v[197:198], v[129:130], v[181:182], -v[2:3]
	v_mul_f64_e32 v[2:3], v[151:152], v[183:184]
	v_mul_f64_e32 v[183:184], v[149:150], v[183:184]
	v_fma_f64 v[193:194], v[149:150], v[181:182], -v[2:3]
	v_add_f64_e32 v[2:3], 0, v[169:170]
	s_delay_alu instid0(VALU_DEP_3)
	v_fma_f64 v[195:196], v[151:152], v[181:182], v[183:184]
	v_add_f64_e32 v[169:170], 0, v[171:172]
	ds_store_b128 v204, v[189:192]
	ds_store_b128 v204, v[174:177] offset:1072
	ds_store_b128 v204, v[197:200] offset:2144
	;; [unrolled: 1-line block ×3, first 2 shown]
	v_add_f64_e32 v[2:3], v[2:3], v[165:166]
	v_add_f64_e32 v[165:166], v[169:170], v[167:168]
	s_delay_alu instid0(VALU_DEP_2) | instskip(NEXT) | instid1(VALU_DEP_2)
	v_add_f64_e32 v[2:3], v[2:3], v[161:162]
	v_add_f64_e32 v[161:162], v[165:166], v[163:164]
	s_delay_alu instid0(VALU_DEP_2) | instskip(SKIP_2) | instid1(VALU_DEP_4)
	v_add_f64_e32 v[157:158], v[2:3], v[157:158]
	v_add_f64_e32 v[2:3], 0, v[97:98]
	;; [unrolled: 1-line block ×4, first 2 shown]
	s_delay_alu instid0(VALU_DEP_3) | instskip(NEXT) | instid1(VALU_DEP_3)
	v_add_f64_e32 v[2:3], v[2:3], v[93:94]
	v_add_f64_e32 v[93:94], v[97:98], v[95:96]
	s_delay_alu instid0(VALU_DEP_2) | instskip(NEXT) | instid1(VALU_DEP_2)
	v_add_f64_e32 v[2:3], v[2:3], v[89:90]
	v_add_f64_e32 v[89:90], v[93:94], v[91:92]
	s_delay_alu instid0(VALU_DEP_2) | instskip(SKIP_2) | instid1(VALU_DEP_4)
	v_add_f64_e32 v[97:98], v[2:3], v[85:86]
	v_add_f64_e32 v[85:86], 0, v[147:148]
	;; [unrolled: 1-line block ×4, first 2 shown]
	s_delay_alu instid0(VALU_DEP_3) | instskip(NEXT) | instid1(VALU_DEP_3)
	v_add_f64_e32 v[85:86], v[85:86], v[143:144]
	v_add_f64_e32 v[2:3], v[2:3], v[141:142]
	s_delay_alu instid0(VALU_DEP_2) | instskip(NEXT) | instid1(VALU_DEP_2)
	v_add_f64_e32 v[85:86], v[85:86], v[139:140]
	v_add_f64_e32 v[2:3], v[2:3], v[137:138]
	s_delay_alu instid0(VALU_DEP_2)
	v_add_f64_e32 v[135:136], v[85:86], v[135:136]
	ds_load_b128 v[93:96], v0 offset:784
	ds_load_b128 v[89:92], v0 offset:800
	ds_load_b128 v[85:88], v0 offset:816
	s_wait_dscnt 0x0
	s_barrier_signal -1
	s_barrier_wait -1
	global_inv scope:SCOPE_SE
	ds_load_b128 v[137:140], v205
	ds_load_b128 v[141:144], v205 offset:16
	v_add_f64_e32 v[133:134], v[2:3], v[133:134]
	s_wait_dscnt 0x1
	v_add_f64_e32 v[2:3], 0, v[137:138]
	v_add_f64_e32 v[137:138], 0, v[139:140]
	s_wait_dscnt 0x0
	s_delay_alu instid0(VALU_DEP_2) | instskip(NEXT) | instid1(VALU_DEP_2)
	v_add_f64_e32 v[2:3], v[2:3], v[141:142]
	v_add_f64_e32 v[145:146], v[137:138], v[143:144]
	ds_load_b128 v[137:140], v205 offset:32
	ds_load_b128 v[141:144], v205 offset:48
	s_wait_loadcnt_dscnt 0x0
	s_barrier_signal -1
	s_barrier_wait -1
	global_inv scope:SCOPE_SE
	ds_store_b128 v251, v[97:100]
	ds_store_b128 v251, v[133:136] offset:256
	ds_store_b128 v251, v[157:160] offset:512
	v_add_f64_e32 v[2:3], v[2:3], v[137:138]
	v_add_f64_e32 v[139:140], v[145:146], v[139:140]
	s_delay_alu instid0(VALU_DEP_2) | instskip(NEXT) | instid1(VALU_DEP_2)
	v_add_f64_e32 v[137:138], v[2:3], v[141:142]
	v_add_f64_e32 v[139:140], v[139:140], v[143:144]
	ds_store_b128 v251, v[137:140] offset:768
	s_wait_loadcnt_dscnt 0x0
	s_barrier_signal -1
	s_barrier_wait -1
	global_inv scope:SCOPE_SE
	s_wait_alu 0xfffe
	s_and_saveexec_b32 s18, s63
	s_cbranch_execz .LBB123_129
; %bb.128:                              ;   in Loop: Header=BB123_79 Depth=2
	ds_load_b128 v[97:100], v206
	ds_load_b128 v[133:136], v206 offset:16
	v_ashrrev_i32_e32 v181, 31, v180
	s_wait_dscnt 0x0
	v_add_f64_e32 v[2:3], v[133:134], v[97:98]
	v_add_f64_e32 v[137:138], v[135:136], v[99:100]
	ds_load_b128 v[97:100], v206 offset:32
	ds_load_b128 v[133:136], v206 offset:48
	s_wait_dscnt 0x1
	v_add_f64_e32 v[2:3], v[2:3], v[97:98]
	v_add_f64_e32 v[97:98], v[137:138], v[99:100]
	s_wait_dscnt 0x0
	s_delay_alu instid0(VALU_DEP_2) | instskip(NEXT) | instid1(VALU_DEP_2)
	v_add_f64_e32 v[2:3], v[2:3], v[133:134]
	v_add_f64_e32 v[137:138], v[97:98], v[135:136]
	ds_load_b128 v[97:100], v206 offset:64
	ds_load_b128 v[133:136], v206 offset:80
	s_wait_dscnt 0x1
	v_add_f64_e32 v[2:3], v[2:3], v[97:98]
	v_add_f64_e32 v[97:98], v[137:138], v[99:100]
	s_wait_dscnt 0x0
	s_delay_alu instid0(VALU_DEP_2) | instskip(NEXT) | instid1(VALU_DEP_2)
	;; [unrolled: 9-line block ×6, first 2 shown]
	v_add_f64_e32 v[2:3], v[2:3], v[133:134]
	v_add_f64_e32 v[137:138], v[97:98], v[135:136]
	ds_load_b128 v[97:100], v206 offset:224
	ds_load_b128 v[133:136], v207
	s_wait_dscnt 0x1
	v_add_f64_e32 v[2:3], v[2:3], v[97:98]
	v_add_f64_e32 v[99:100], v[137:138], v[99:100]
	s_wait_dscnt 0x0
	s_delay_alu instid0(VALU_DEP_2) | instskip(NEXT) | instid1(VALU_DEP_2)
	v_add_f64_e32 v[97:98], v[2:3], v[133:134]
	v_add_f64_e32 v[99:100], v[99:100], v[135:136]
	v_lshlrev_b64_e32 v[2:3], 4, v[180:181]
	s_delay_alu instid0(VALU_DEP_1) | instskip(SKIP_1) | instid1(VALU_DEP_2)
	v_add_co_u32 v2, vcc_lo, s60, v2
	s_wait_alu 0xfffd
	v_add_co_ci_u32_e64 v3, null, s61, v3, vcc_lo
	global_store_b128 v[2:3], v[97:100], off
.LBB123_129:                            ;   in Loop: Header=BB123_79 Depth=2
	s_wait_alu 0xfffe
	s_or_b32 exec_lo, exec_lo, s18
	v_mul_f64_e32 v[2:3], v[15:16], v[27:28]
	v_add_co_u32 v255, vcc_lo, v255, s56
	s_wait_alu 0xfffd
	v_add_co_ci_u32_e64 v209, null, s57, v209, vcc_lo
	v_add_co_u32 v212, vcc_lo, v212, s56
	s_wait_alu 0xfffd
	v_add_co_ci_u32_e64 v213, null, s57, v213, vcc_lo
	;; [unrolled: 3-line block ×9, first 2 shown]
	v_add_co_u32 v228, vcc_lo, v228, s56
	v_fma_f64 v[2:3], v[13:14], v[25:26], -v[2:3]
	v_mul_f64_e32 v[13:14], v[13:14], v[27:28]
	v_mul_f64_e32 v[27:28], v[43:44], v[71:72]
	s_wait_alu 0xfffd
	v_add_co_ci_u32_e64 v229, null, s57, v229, vcc_lo
	v_add_co_u32 v230, vcc_lo, v230, s56
	s_wait_alu 0xfffd
	v_add_co_ci_u32_e64 v231, null, s57, v231, vcc_lo
	v_add_co_u32 v232, vcc_lo, v232, s56
	;; [unrolled: 3-line block ×9, first 2 shown]
	v_fma_f64 v[13:14], v[15:16], v[25:26], v[13:14]
	v_mul_f64_e32 v[15:16], v[11:12], v[39:40]
	v_add_f64_e32 v[2:3], v[5:6], v[2:3]
	v_mul_f64_e32 v[25:26], v[45:46], v[59:60]
	v_fma_f64 v[27:28], v[41:42], v[69:70], -v[27:28]
	s_wait_alu 0xfffd
	v_add_co_ci_u32_e64 v247, null, s57, v247, vcc_lo
	v_add_co_u32 v248, vcc_lo, v248, s56
	v_add_nc_u32_e32 v180, 64, v180
	s_wait_alu 0xfffd
	v_add_co_ci_u32_e64 v249, null, s57, v249, vcc_lo
	s_add_co_i32 s63, s70, 2
	s_add_co_i32 s18, s70, 1
	;; [unrolled: 1-line block ×3, first 2 shown]
	s_wait_alu 0xfffe
	s_cmp_ge_u32 s63, s44
	s_wait_loadcnt 0x0
	s_wait_storecnt 0x0
	s_barrier_signal -1
	s_barrier_wait -1
	global_inv scope:SCOPE_SE
	v_add_f64_e32 v[4:5], v[7:8], v[13:14]
	v_fma_f64 v[15:16], v[9:10], v[37:38], -v[15:16]
	v_mul_f64_e32 v[9:10], v[9:10], v[39:40]
	v_fma_f64 v[25:26], v[47:48], v[57:58], v[25:26]
	v_mul_f64_e32 v[39:40], v[79:80], v[107:108]
	s_delay_alu instid0(VALU_DEP_4) | instskip(NEXT) | instid1(VALU_DEP_4)
	v_add_f64_e32 v[2:3], v[2:3], v[15:16]
	v_fma_f64 v[9:10], v[11:12], v[37:38], v[9:10]
	v_mul_f64_e32 v[11:12], v[19:20], v[35:36]
	v_mul_f64_e32 v[37:38], v[53:54], v[63:64]
	v_fma_f64 v[39:40], v[77:78], v[105:106], -v[39:40]
	s_delay_alu instid0(VALU_DEP_4) | instskip(NEXT) | instid1(VALU_DEP_4)
	v_add_f64_e32 v[4:5], v[4:5], v[9:10]
	v_fma_f64 v[11:12], v[17:18], v[33:34], -v[11:12]
	v_mul_f64_e32 v[17:18], v[17:18], v[35:36]
	v_mul_f64_e32 v[35:36], v[55:56], v[63:64]
	v_fma_f64 v[37:38], v[55:56], v[61:62], v[37:38]
	v_mul_f64_e32 v[55:56], v[127:128], v[155:156]
	v_mul_f64_e32 v[63:64], v[131:132], v[91:92]
	v_add_f64_e32 v[2:3], v[2:3], v[11:12]
	v_fma_f64 v[17:18], v[19:20], v[33:34], v[17:18]
	v_mul_f64_e32 v[19:20], v[23:24], v[31:32]
	v_mul_f64_e32 v[33:34], v[49:50], v[67:68]
	v_fma_f64 v[35:36], v[53:54], v[61:62], -v[35:36]
	v_mul_f64_e32 v[53:54], v[101:102], v[111:112]
	v_fma_f64 v[55:56], v[125:126], v[153:154], -v[55:56]
	;; [unrolled: 2-line block ×3, first 2 shown]
	v_add_f64_e32 v[4:5], v[4:5], v[17:18]
	v_fma_f64 v[19:20], v[21:22], v[29:30], -v[19:20]
	v_mul_f64_e32 v[21:22], v[21:22], v[31:32]
	v_mul_f64_e32 v[31:32], v[51:52], v[67:68]
	v_fma_f64 v[33:34], v[51:52], v[65:66], v[33:34]
	v_mul_f64_e32 v[51:52], v[103:104], v[111:112]
	v_fma_f64 v[53:54], v[103:104], v[109:110], v[53:54]
	v_fma_f64 v[61:62], v[119:120], v[93:94], v[61:62]
	v_mul_f64_e32 v[67:68], v[151:152], v[87:88]
	v_add_f64_e32 v[2:3], v[2:3], v[19:20]
	v_fma_f64 v[21:22], v[23:24], v[29:30], v[21:22]
	v_mul_f64_e32 v[23:24], v[47:48], v[59:60]
	v_mul_f64_e32 v[29:30], v[41:42], v[71:72]
	v_fma_f64 v[31:32], v[49:50], v[65:66], -v[31:32]
	v_mul_f64_e32 v[41:42], v[77:78], v[107:108]
	v_mul_f64_e32 v[47:48], v[83:84], v[115:116]
	;; [unrolled: 1-line block ×3, first 2 shown]
	v_fma_f64 v[51:52], v[101:102], v[109:110], -v[51:52]
	v_mul_f64_e32 v[59:60], v[119:120], v[95:96]
	v_mul_f64_e32 v[65:66], v[129:130], v[91:92]
	v_fma_f64 v[67:68], v[149:150], v[85:86], -v[67:68]
	v_add_f64_e32 v[4:5], v[4:5], v[21:22]
	v_fma_f64 v[23:24], v[45:46], v[57:58], -v[23:24]
	v_fma_f64 v[29:30], v[43:44], v[69:70], v[29:30]
	v_mul_f64_e32 v[43:44], v[75:76], v[123:124]
	v_fma_f64 v[41:42], v[79:80], v[105:106], v[41:42]
	v_mul_f64_e32 v[45:46], v[73:74], v[123:124]
	v_fma_f64 v[47:48], v[81:82], v[113:114], -v[47:48]
	v_fma_f64 v[49:50], v[83:84], v[113:114], v[49:50]
	v_mul_f64_e32 v[57:58], v[125:126], v[155:156]
	v_fma_f64 v[59:60], v[117:118], v[93:94], -v[59:60]
	v_fma_f64 v[65:66], v[131:132], v[89:90], v[65:66]
	v_mul_f64_e32 v[69:70], v[149:150], v[87:88]
	v_add_f64_e32 v[4:5], v[4:5], v[25:26]
	v_add_f64_e32 v[2:3], v[2:3], v[23:24]
	v_fma_f64 v[43:44], v[73:74], v[121:122], -v[43:44]
	v_fma_f64 v[45:46], v[75:76], v[121:122], v[45:46]
	v_fma_f64 v[57:58], v[127:128], v[153:154], v[57:58]
	;; [unrolled: 1-line block ×3, first 2 shown]
	v_add_f64_e32 v[4:5], v[4:5], v[29:30]
	v_add_f64_e32 v[2:3], v[2:3], v[27:28]
	s_delay_alu instid0(VALU_DEP_2) | instskip(NEXT) | instid1(VALU_DEP_2)
	v_add_f64_e32 v[4:5], v[4:5], v[33:34]
	v_add_f64_e32 v[2:3], v[2:3], v[31:32]
	s_delay_alu instid0(VALU_DEP_2) | instskip(NEXT) | instid1(VALU_DEP_2)
	;; [unrolled: 3-line block ×10, first 2 shown]
	v_add_f64_e32 v[7:8], v[7:8], v[69:70]
	v_add_f64_e32 v[5:6], v[2:3], v[67:68]
	s_cbranch_scc1 .LBB123_131
; %bb.130:                              ;   in Loop: Header=BB123_79 Depth=2
	s_mov_b32 s70, s18
	s_wait_alu 0xfffe
	s_cmp_eq_u32 s66, s70
	s_cselect_b32 s71, s33, 0
	s_and_saveexec_b32 s18, s0
	s_cbranch_execnz .LBB123_75
	s_branch .LBB123_79
.LBB123_131:                            ;   in Loop: Header=BB123_4 Depth=1
	scratch_load_b32 v2, off, off offset:28 ; 4-byte Folded Reload
	s_wait_loadcnt 0x0
	ds_store_b128 v2, v[5:8]
	s_wait_dscnt 0x0
	s_barrier_signal -1
	s_barrier_wait -1
	global_inv scope:SCOPE_SE
	s_and_saveexec_b32 s18, s68
	s_cbranch_execz .LBB123_2
; %bb.132:                              ;   in Loop: Header=BB123_4 Depth=1
	v_lshlrev_b32_e32 v14, 4, v173
	ds_load_b128 v[2:5], v14 offset:1072
	ds_load_b128 v[6:9], v14
	s_wait_dscnt 0x0
	v_add_f64_e32 v[10:11], v[2:3], v[6:7]
	v_add_f64_e32 v[12:13], v[4:5], v[8:9]
	ds_load_b128 v[2:5], v14 offset:2144
	ds_load_b128 v[6:9], v14 offset:3216
	s_wait_dscnt 0x1
	v_add_f64_e32 v[2:3], v[10:11], v[2:3]
	v_add_f64_e32 v[4:5], v[12:13], v[4:5]
	s_wait_dscnt 0x0
	s_delay_alu instid0(VALU_DEP_2)
	v_add_f64_e32 v[2:3], v[2:3], v[6:7]
	scratch_load_b64 v[6:7], off, off offset:200 ; 8-byte Folded Reload
	v_add_f64_e32 v[4:5], v[4:5], v[8:9]
	s_wait_loadcnt 0x0
	s_wait_alu 0xfffe
	v_add_co_u32 v6, vcc_lo, s60, v6
	s_wait_alu 0xfffd
	v_add_co_ci_u32_e64 v7, null, s61, v7, vcc_lo
	global_store_b128 v[6:7], v[2:5], off
	s_branch .LBB123_2
.LBB123_133:                            ;   in Loop: Header=BB123_4 Depth=1
	scratch_load_b32 v8, off, off           ; 4-byte Folded Reload
	ds_load_b128 v[4:7], v250
	s_wait_loadcnt_dscnt 0x0
	ds_store_b128 v8, v[4:7]
	s_wait_alu 0xfffe
	s_or_b32 exec_lo, exec_lo, s18
	s_and_saveexec_b32 s18, s7
	s_cbranch_execz .LBB123_29
.LBB123_134:                            ;   in Loop: Header=BB123_4 Depth=1
	scratch_load_b32 v8, off, off           ; 4-byte Folded Reload
	ds_load_b128 v[4:7], v208
	s_wait_loadcnt 0x0
	v_add_nc_u32_e32 v8, 16, v8
	s_wait_dscnt 0x0
	ds_store_b128 v8, v[4:7]
	s_wait_alu 0xfffe
	s_or_b32 exec_lo, exec_lo, s18
	s_and_saveexec_b32 s18, s8
	s_cbranch_execz .LBB123_30
.LBB123_135:                            ;   in Loop: Header=BB123_4 Depth=1
	scratch_load_b32 v8, off, off           ; 4-byte Folded Reload
	v_add_nc_u32_e32 v4, 0x210, v208
	ds_load_b128 v[4:7], v4
	s_wait_loadcnt 0x0
	v_add_nc_u32_e32 v8, 32, v8
	s_wait_dscnt 0x0
	ds_store_b128 v8, v[4:7]
	s_wait_alu 0xfffe
	s_or_b32 exec_lo, exec_lo, s18
	s_and_saveexec_b32 s18, s9
	s_cbranch_execnz .LBB123_31
	s_branch .LBB123_32
.LBB123_136:                            ;   in Loop: Header=BB123_4 Depth=1
	scratch_load_b32 v2, off, off offset:4  ; 4-byte Folded Reload
	ds_load_b128 v[11:14], v250
	s_wait_loadcnt_dscnt 0x0
	ds_store_b128 v2, v[11:14]
	s_wait_alu 0xfffe
	s_or_b32 exec_lo, exec_lo, s18
	s_and_saveexec_b32 s18, s7
	s_cbranch_execz .LBB123_50
.LBB123_137:                            ;   in Loop: Header=BB123_4 Depth=1
	scratch_load_b32 v2, off, off offset:4  ; 4-byte Folded Reload
	ds_load_b128 v[11:14], v208
	s_wait_loadcnt 0x0
	v_add_nc_u32_e32 v2, 16, v2
	s_wait_dscnt 0x0
	ds_store_b128 v2, v[11:14]
	s_wait_alu 0xfffe
	s_or_b32 exec_lo, exec_lo, s18
	s_and_saveexec_b32 s18, s8
	s_cbranch_execz .LBB123_51
.LBB123_138:                            ;   in Loop: Header=BB123_4 Depth=1
	v_add_nc_u32_e32 v2, 0x210, v208
	ds_load_b128 v[11:14], v2
	scratch_load_b32 v2, off, off offset:4  ; 4-byte Folded Reload
	s_wait_loadcnt 0x0
	v_add_nc_u32_e32 v2, 32, v2
	s_wait_dscnt 0x0
	ds_store_b128 v2, v[11:14]
	s_wait_alu 0xfffe
	s_or_b32 exec_lo, exec_lo, s18
	s_and_saveexec_b32 s18, s9
	s_cbranch_execnz .LBB123_52
	s_branch .LBB123_53
.LBB123_139:                            ;   in Loop: Header=BB123_4 Depth=1
	global_load_b128 v[9:12], v[7:8], off
	s_wait_loadcnt 0x0
	ds_store_2addr_b64 v188, v[9:10], v[11:12] offset1:1
	s_or_b32 exec_lo, exec_lo, s18
	s_and_saveexec_b32 s18, s3
	s_wait_alu 0xfffe
	s_xor_b32 s18, exec_lo, s18
	s_cbranch_execz .LBB123_18
.LBB123_140:                            ;   in Loop: Header=BB123_4 Depth=1
	v_dual_mov_b32 v2, v1 :: v_dual_mov_b32 v3, v1
	v_dual_mov_b32 v4, v1 :: v_dual_add_nc_u32 v9, 0x1080, v188
	ds_store_b128 v9, v[1:4]
	s_wait_alu 0xfffe
	s_and_not1_saveexec_b32 s18, s18
	s_cbranch_execz .LBB123_19
.LBB123_141:                            ;   in Loop: Header=BB123_4 Depth=1
	s_lshl_b64 s[60:61], s[42:43], 4
	s_wait_alu 0xfffe
	v_add_co_u32 v2, vcc_lo, v7, s60
	s_wait_alu 0xfffd
	v_add_co_ci_u32_e64 v3, null, s61, v8, vcc_lo
	global_load_b128 v[9:12], v[2:3], off
	v_add_nc_u32_e32 v2, 0x1080, v188
	s_wait_loadcnt 0x0
	ds_store_2addr_b64 v2, v[9:10], v[11:12] offset1:1
	s_or_b32 exec_lo, exec_lo, s18
	s_and_saveexec_b32 s18, s4
	s_wait_alu 0xfffe
	s_xor_b32 s18, exec_lo, s18
	s_cbranch_execz .LBB123_20
.LBB123_142:                            ;   in Loop: Header=BB123_4 Depth=1
	v_dual_mov_b32 v2, v1 :: v_dual_mov_b32 v3, v1
	v_dual_mov_b32 v4, v1 :: v_dual_add_nc_u32 v9, 0x2100, v188
	ds_store_b128 v9, v[1:4]
	s_wait_alu 0xfffe
	s_and_not1_saveexec_b32 s18, s18
	s_cbranch_execz .LBB123_21
.LBB123_143:                            ;   in Loop: Header=BB123_4 Depth=1
	v_add_co_u32 v2, vcc_lo, v7, s54
	s_wait_alu 0xfffd
	v_add_co_ci_u32_e64 v3, null, s55, v8, vcc_lo
	global_load_b128 v[9:12], v[2:3], off
	v_add_nc_u32_e32 v2, 0x2100, v188
	s_wait_loadcnt 0x0
	ds_store_2addr_b64 v2, v[9:10], v[11:12] offset1:1
	s_wait_alu 0xfffe
	s_or_b32 exec_lo, exec_lo, s18
	s_and_saveexec_b32 s18, s5
	s_wait_alu 0xfffe
	s_xor_b32 s18, exec_lo, s18
	s_cbranch_execz .LBB123_22
.LBB123_144:                            ;   in Loop: Header=BB123_4 Depth=1
	v_dual_mov_b32 v2, v1 :: v_dual_mov_b32 v3, v1
	v_dual_mov_b32 v4, v1 :: v_dual_add_nc_u32 v9, 0x3180, v188
	ds_store_b128 v9, v[1:4]
	s_wait_alu 0xfffe
	s_and_not1_saveexec_b32 s18, s18
	s_cbranch_execnz .LBB123_23
	s_branch .LBB123_24
.LBB123_145:                            ;   in Loop: Header=BB123_4 Depth=1
	global_load_b128 v[15:18], v[9:10], off
	s_wait_loadcnt 0x0
	ds_store_2addr_b64 v188, v[15:16], v[17:18] offset1:1
	s_or_b32 exec_lo, exec_lo, s18
	s_and_saveexec_b32 s18, s13
	s_wait_alu 0xfffe
	s_xor_b32 s18, exec_lo, s18
	s_cbranch_execz .LBB123_39
.LBB123_146:                            ;   in Loop: Header=BB123_4 Depth=1
	v_dual_mov_b32 v2, v1 :: v_dual_mov_b32 v3, v1
	v_dual_mov_b32 v4, v1 :: v_dual_add_nc_u32 v15, 0x1080, v188
	ds_store_b128 v15, v[1:4]
	s_wait_alu 0xfffe
	s_and_not1_saveexec_b32 s18, s18
	s_cbranch_execz .LBB123_40
.LBB123_147:                            ;   in Loop: Header=BB123_4 Depth=1
	s_lshl_b64 s[60:61], s[42:43], 4
	s_wait_alu 0xfffe
	v_add_co_u32 v2, vcc_lo, v9, s60
	s_wait_alu 0xfffd
	v_add_co_ci_u32_e64 v3, null, s61, v10, vcc_lo
	global_load_b128 v[15:18], v[2:3], off
	v_add_nc_u32_e32 v2, 0x1080, v188
	s_wait_loadcnt 0x0
	ds_store_2addr_b64 v2, v[15:16], v[17:18] offset1:1
	s_or_b32 exec_lo, exec_lo, s18
	s_and_saveexec_b32 s18, s14
	s_wait_alu 0xfffe
	s_xor_b32 s18, exec_lo, s18
	s_cbranch_execz .LBB123_41
.LBB123_148:                            ;   in Loop: Header=BB123_4 Depth=1
	v_dual_mov_b32 v2, v1 :: v_dual_mov_b32 v3, v1
	v_dual_mov_b32 v4, v1 :: v_dual_add_nc_u32 v15, 0x2100, v188
	ds_store_b128 v15, v[1:4]
	s_wait_alu 0xfffe
	s_and_not1_saveexec_b32 s18, s18
	s_cbranch_execz .LBB123_42
.LBB123_149:                            ;   in Loop: Header=BB123_4 Depth=1
	v_add_co_u32 v2, vcc_lo, v9, s54
	s_wait_alu 0xfffd
	v_add_co_ci_u32_e64 v3, null, s55, v10, vcc_lo
	global_load_b128 v[15:18], v[2:3], off
	v_add_nc_u32_e32 v2, 0x2100, v188
	s_wait_loadcnt 0x0
	ds_store_2addr_b64 v2, v[15:16], v[17:18] offset1:1
	s_wait_alu 0xfffe
	s_or_b32 exec_lo, exec_lo, s18
	s_and_saveexec_b32 s18, s15
	s_wait_alu 0xfffe
	s_xor_b32 s18, exec_lo, s18
	s_cbranch_execz .LBB123_43
.LBB123_150:                            ;   in Loop: Header=BB123_4 Depth=1
	v_dual_mov_b32 v2, v1 :: v_dual_mov_b32 v3, v1
	v_dual_mov_b32 v4, v1 :: v_dual_add_nc_u32 v15, 0x3180, v188
	ds_store_b128 v15, v[1:4]
	s_wait_alu 0xfffe
	s_and_not1_saveexec_b32 s18, s18
	s_cbranch_execnz .LBB123_44
	s_branch .LBB123_45
.LBB123_151:                            ;   in Loop: Header=BB123_4 Depth=1
	global_load_b128 v[15:18], v[13:14], off
	s_wait_loadcnt 0x0
	ds_store_2addr_b64 v188, v[15:16], v[17:18] offset1:1
	s_or_b32 exec_lo, exec_lo, s18
	s_and_saveexec_b32 s18, s13
	s_wait_alu 0xfffe
	s_xor_b32 s18, exec_lo, s18
	s_cbranch_execz .LBB123_60
.LBB123_152:                            ;   in Loop: Header=BB123_4 Depth=1
	v_dual_mov_b32 v2, v1 :: v_dual_mov_b32 v3, v1
	v_dual_mov_b32 v4, v1 :: v_dual_add_nc_u32 v15, 0x1080, v188
	ds_store_b128 v15, v[1:4]
	s_wait_alu 0xfffe
	s_and_not1_saveexec_b32 s18, s18
	s_cbranch_execz .LBB123_61
.LBB123_153:                            ;   in Loop: Header=BB123_4 Depth=1
	s_lshl_b64 s[60:61], s[42:43], 4
	s_wait_alu 0xfffe
	v_add_co_u32 v2, vcc_lo, v13, s60
	s_wait_alu 0xfffd
	v_add_co_ci_u32_e64 v3, null, s61, v14, vcc_lo
	global_load_b128 v[15:18], v[2:3], off
	v_add_nc_u32_e32 v2, 0x1080, v188
	s_wait_loadcnt 0x0
	ds_store_2addr_b64 v2, v[15:16], v[17:18] offset1:1
	s_or_b32 exec_lo, exec_lo, s18
	s_and_saveexec_b32 s18, s14
	s_wait_alu 0xfffe
	s_xor_b32 s18, exec_lo, s18
	s_cbranch_execz .LBB123_62
.LBB123_154:                            ;   in Loop: Header=BB123_4 Depth=1
	v_dual_mov_b32 v2, v1 :: v_dual_mov_b32 v3, v1
	v_dual_mov_b32 v4, v1 :: v_dual_add_nc_u32 v15, 0x2100, v188
	ds_store_b128 v15, v[1:4]
	s_wait_alu 0xfffe
	s_and_not1_saveexec_b32 s18, s18
	s_cbranch_execz .LBB123_63
.LBB123_155:                            ;   in Loop: Header=BB123_4 Depth=1
	v_add_co_u32 v2, vcc_lo, v13, s54
	s_wait_alu 0xfffd
	v_add_co_ci_u32_e64 v3, null, s55, v14, vcc_lo
	global_load_b128 v[15:18], v[2:3], off
	v_add_nc_u32_e32 v2, 0x2100, v188
	s_wait_loadcnt 0x0
	ds_store_2addr_b64 v2, v[15:16], v[17:18] offset1:1
	s_wait_alu 0xfffe
	s_or_b32 exec_lo, exec_lo, s18
	s_and_saveexec_b32 s18, s15
	s_wait_alu 0xfffe
	s_xor_b32 s18, exec_lo, s18
	s_cbranch_execz .LBB123_64
.LBB123_156:                            ;   in Loop: Header=BB123_4 Depth=1
	v_dual_mov_b32 v2, v1 :: v_dual_mov_b32 v3, v1
	v_dual_mov_b32 v4, v1 :: v_dual_add_nc_u32 v15, 0x3180, v188
	ds_store_b128 v15, v[1:4]
	s_wait_alu 0xfffe
	s_and_not1_saveexec_b32 s18, s18
	s_cbranch_execnz .LBB123_65
	s_branch .LBB123_66
.LBB123_157:
	s_nop 0
	s_sendmsg sendmsg(MSG_DEALLOC_VGPRS)
	s_endpgm
	.section	.rodata,"a",@progbits
	.p2align	6, 0x0
	.amdhsa_kernel _ZL26rocblas_hemvn_kernel_upperILb0ELi64ELi4ELi33ELi32ELi16EiPK19rocblas_complex_numIdES3_PS1_EviT6_lT7_lT5_lS6_lS7_lS5_lT8_i
		.amdhsa_group_segment_fixed_size 19200
		.amdhsa_private_segment_fixed_size 212
		.amdhsa_kernarg_size 376
		.amdhsa_user_sgpr_count 2
		.amdhsa_user_sgpr_dispatch_ptr 0
		.amdhsa_user_sgpr_queue_ptr 0
		.amdhsa_user_sgpr_kernarg_segment_ptr 1
		.amdhsa_user_sgpr_dispatch_id 0
		.amdhsa_user_sgpr_private_segment_size 0
		.amdhsa_wavefront_size32 1
		.amdhsa_uses_dynamic_stack 0
		.amdhsa_enable_private_segment 1
		.amdhsa_system_sgpr_workgroup_id_x 1
		.amdhsa_system_sgpr_workgroup_id_y 0
		.amdhsa_system_sgpr_workgroup_id_z 1
		.amdhsa_system_sgpr_workgroup_info 0
		.amdhsa_system_vgpr_workitem_id 1
		.amdhsa_next_free_vgpr 256
		.amdhsa_next_free_sgpr 84
		.amdhsa_reserve_vcc 1
		.amdhsa_float_round_mode_32 0
		.amdhsa_float_round_mode_16_64 0
		.amdhsa_float_denorm_mode_32 3
		.amdhsa_float_denorm_mode_16_64 3
		.amdhsa_fp16_overflow 0
		.amdhsa_workgroup_processor_mode 1
		.amdhsa_memory_ordered 1
		.amdhsa_forward_progress 1
		.amdhsa_inst_pref_size 112
		.amdhsa_round_robin_scheduling 0
		.amdhsa_exception_fp_ieee_invalid_op 0
		.amdhsa_exception_fp_denorm_src 0
		.amdhsa_exception_fp_ieee_div_zero 0
		.amdhsa_exception_fp_ieee_overflow 0
		.amdhsa_exception_fp_ieee_underflow 0
		.amdhsa_exception_fp_ieee_inexact 0
		.amdhsa_exception_int_div_zero 0
	.end_amdhsa_kernel
	.section	.text._ZL26rocblas_hemvn_kernel_upperILb0ELi64ELi4ELi33ELi32ELi16EiPK19rocblas_complex_numIdES3_PS1_EviT6_lT7_lT5_lS6_lS7_lS5_lT8_i,"axG",@progbits,_ZL26rocblas_hemvn_kernel_upperILb0ELi64ELi4ELi33ELi32ELi16EiPK19rocblas_complex_numIdES3_PS1_EviT6_lT7_lT5_lS6_lS7_lS5_lT8_i,comdat
.Lfunc_end123:
	.size	_ZL26rocblas_hemvn_kernel_upperILb0ELi64ELi4ELi33ELi32ELi16EiPK19rocblas_complex_numIdES3_PS1_EviT6_lT7_lT5_lS6_lS7_lS5_lT8_i, .Lfunc_end123-_ZL26rocblas_hemvn_kernel_upperILb0ELi64ELi4ELi33ELi32ELi16EiPK19rocblas_complex_numIdES3_PS1_EviT6_lT7_lT5_lS6_lS7_lS5_lT8_i
                                        ; -- End function
	.set _ZL26rocblas_hemvn_kernel_upperILb0ELi64ELi4ELi33ELi32ELi16EiPK19rocblas_complex_numIdES3_PS1_EviT6_lT7_lT5_lS6_lS7_lS5_lT8_i.num_vgpr, 256
	.set _ZL26rocblas_hemvn_kernel_upperILb0ELi64ELi4ELi33ELi32ELi16EiPK19rocblas_complex_numIdES3_PS1_EviT6_lT7_lT5_lS6_lS7_lS5_lT8_i.num_agpr, 0
	.set _ZL26rocblas_hemvn_kernel_upperILb0ELi64ELi4ELi33ELi32ELi16EiPK19rocblas_complex_numIdES3_PS1_EviT6_lT7_lT5_lS6_lS7_lS5_lT8_i.numbered_sgpr, 84
	.set _ZL26rocblas_hemvn_kernel_upperILb0ELi64ELi4ELi33ELi32ELi16EiPK19rocblas_complex_numIdES3_PS1_EviT6_lT7_lT5_lS6_lS7_lS5_lT8_i.num_named_barrier, 0
	.set _ZL26rocblas_hemvn_kernel_upperILb0ELi64ELi4ELi33ELi32ELi16EiPK19rocblas_complex_numIdES3_PS1_EviT6_lT7_lT5_lS6_lS7_lS5_lT8_i.private_seg_size, 212
	.set _ZL26rocblas_hemvn_kernel_upperILb0ELi64ELi4ELi33ELi32ELi16EiPK19rocblas_complex_numIdES3_PS1_EviT6_lT7_lT5_lS6_lS7_lS5_lT8_i.uses_vcc, 1
	.set _ZL26rocblas_hemvn_kernel_upperILb0ELi64ELi4ELi33ELi32ELi16EiPK19rocblas_complex_numIdES3_PS1_EviT6_lT7_lT5_lS6_lS7_lS5_lT8_i.uses_flat_scratch, 1
	.set _ZL26rocblas_hemvn_kernel_upperILb0ELi64ELi4ELi33ELi32ELi16EiPK19rocblas_complex_numIdES3_PS1_EviT6_lT7_lT5_lS6_lS7_lS5_lT8_i.has_dyn_sized_stack, 0
	.set _ZL26rocblas_hemvn_kernel_upperILb0ELi64ELi4ELi33ELi32ELi16EiPK19rocblas_complex_numIdES3_PS1_EviT6_lT7_lT5_lS6_lS7_lS5_lT8_i.has_recursion, 0
	.set _ZL26rocblas_hemvn_kernel_upperILb0ELi64ELi4ELi33ELi32ELi16EiPK19rocblas_complex_numIdES3_PS1_EviT6_lT7_lT5_lS6_lS7_lS5_lT8_i.has_indirect_call, 0
	.section	.AMDGPU.csdata,"",@progbits
; Kernel info:
; codeLenInByte = 14320
; TotalNumSgprs: 86
; NumVgprs: 256
; ScratchSize: 212
; MemoryBound: 1
; FloatMode: 240
; IeeeMode: 1
; LDSByteSize: 19200 bytes/workgroup (compile time only)
; SGPRBlocks: 0
; VGPRBlocks: 31
; NumSGPRsForWavesPerEU: 86
; NumVGPRsForWavesPerEU: 256
; Occupancy: 5
; WaveLimiterHint : 0
; COMPUTE_PGM_RSRC2:SCRATCH_EN: 1
; COMPUTE_PGM_RSRC2:USER_SGPR: 2
; COMPUTE_PGM_RSRC2:TRAP_HANDLER: 0
; COMPUTE_PGM_RSRC2:TGID_X_EN: 1
; COMPUTE_PGM_RSRC2:TGID_Y_EN: 0
; COMPUTE_PGM_RSRC2:TGID_Z_EN: 1
; COMPUTE_PGM_RSRC2:TIDIG_COMP_CNT: 1
	.section	.text._ZL26rocblas_hemvn_kernel_upperILb0ELi64ELi4ELi33ELi32ELi16El19rocblas_complex_numIdEPKS1_PS1_EviT6_lT7_lT5_lS6_lS7_lS5_lT8_i,"axG",@progbits,_ZL26rocblas_hemvn_kernel_upperILb0ELi64ELi4ELi33ELi32ELi16El19rocblas_complex_numIdEPKS1_PS1_EviT6_lT7_lT5_lS6_lS7_lS5_lT8_i,comdat
	.globl	_ZL26rocblas_hemvn_kernel_upperILb0ELi64ELi4ELi33ELi32ELi16El19rocblas_complex_numIdEPKS1_PS1_EviT6_lT7_lT5_lS6_lS7_lS5_lT8_i ; -- Begin function _ZL26rocblas_hemvn_kernel_upperILb0ELi64ELi4ELi33ELi32ELi16El19rocblas_complex_numIdEPKS1_PS1_EviT6_lT7_lT5_lS6_lS7_lS5_lT8_i
	.p2align	8
	.type	_ZL26rocblas_hemvn_kernel_upperILb0ELi64ELi4ELi33ELi32ELi16El19rocblas_complex_numIdEPKS1_PS1_EviT6_lT7_lT5_lS6_lS7_lS5_lT8_i,@function
_ZL26rocblas_hemvn_kernel_upperILb0ELi64ELi4ELi33ELi32ELi16El19rocblas_complex_numIdEPKS1_PS1_EviT6_lT7_lT5_lS6_lS7_lS5_lT8_i: ; @_ZL26rocblas_hemvn_kernel_upperILb0ELi64ELi4ELi33ELi32ELi16El19rocblas_complex_numIdEPKS1_PS1_EviT6_lT7_lT5_lS6_lS7_lS5_lT8_i
; %bb.0:
	s_clause 0x1
	s_load_b64 s[2:3], s[0:1], 0x94
	s_load_b32 s33, s[0:1], 0x80
	s_lshr_b32 s34, ttmp7, 16
	s_wait_kmcnt 0x0
	s_lshr_b32 s4, s2, 16
	s_and_b32 s2, s2, 0xffff
	s_and_b32 s3, s3, 0xffff
	s_mul_i32 s2, s4, s2
	s_delay_alu instid0(SALU_CYCLE_1) | instskip(NEXT) | instid1(SALU_CYCLE_1)
	s_mul_i32 s2, s2, s3
	s_cmp_lg_u32 s2, 0x100
	s_cselect_b32 s2, -1, 0
	s_cmp_ge_u32 s34, s33
	s_cselect_b32 s3, -1, 0
	s_delay_alu instid0(SALU_CYCLE_1) | instskip(NEXT) | instid1(SALU_CYCLE_1)
	s_or_b32 s2, s2, s3
	s_and_b32 vcc_lo, exec_lo, s2
	s_cbranch_vccnz .LBB124_155
; %bb.1:
	s_clause 0x1
	s_load_b128 s[8:11], s[0:1], 0x8
	s_load_b32 s12, s[0:1], 0x0
	s_add_nc_u64 s[36:37], s[0:1], 0x88
	s_clause 0x2
	s_load_b512 s[16:31], s[0:1], 0x20
	s_load_b64 s[14:15], s[0:1], 0x78
	s_load_b128 s[4:7], s[0:1], 0x60
	v_bfe_u32 v12, v0, 10, 10
	v_and_b32_e32 v177, 0x3ff, v0
	v_dual_mov_b32 v1, 0 :: v_dual_and_b32 v2, 31, v0
	s_lshl_b32 s48, ttmp9, 6
	s_delay_alu instid0(VALU_DEP_3) | instskip(NEXT) | instid1(VALU_DEP_3)
	v_lshlrev_b32_e32 v21, 6, v12
	v_add_nc_u32_e32 v4, s48, v177
	s_load_b32 s36, s[36:37], 0x0
	v_mov_b32_e32 v3, v1
	s_mov_b32 s35, 0
	v_add_nc_u32_e32 v13, v21, v177
	v_ashrrev_i32_e32 v5, 31, v4
	s_mov_b32 s37, s35
	s_mov_b32 s2, ttmp9
	v_cmp_eq_u32_e64 s0, 0, v12
	v_lshrrev_b32_e32 v14, 5, v13
	s_wait_kmcnt 0x0
	v_cmp_neq_f64_e64 s1, s[8:9], 0
	v_cmp_neq_f64_e64 s3, s[10:11], 0
	v_mul_lo_u32 v10, s28, v5
	v_mul_lo_u32 v11, s29, v4
	v_mad_co_u64_u32 v[6:7], null, s20, v14, v[2:3]
	v_mad_co_u64_u32 v[8:9], null, s28, v4, 0
	v_lshlrev_b32_e32 v178, 4, v177
	s_ashr_i32 s13, s12, 31
	s_lshl_b64 s[8:9], s[26:27], 4
	s_lshl_b64 s[10:11], s[18:19], 4
	s_delay_alu instid0(VALU_DEP_3)
	v_mov_b32_e32 v3, v7
	v_cmp_neq_f64_e64 s18, s[4:5], 1.0
	s_wait_alu 0xfffe
	s_add_nc_u64 s[4:5], s[24:25], s[8:9]
	s_lshr_b32 s8, s13, 26
	v_add3_u32 v9, v9, v10, v11
	s_wait_alu 0xfffe
	s_add_co_i32 s8, s12, s8
	v_mad_co_u64_u32 v[10:11], null, s21, v14, v[3:4]
	s_wait_alu 0xfffe
	s_and_not1_b32 s8, s8, 63
	s_add_co_i32 s9, s36, -1
	v_lshlrev_b64_e32 v[8:9], 4, v[8:9]
	s_wait_alu 0xfffe
	s_sub_co_i32 s19, s12, s8
	s_mul_u64 s[24:25], s[36:37], s[12:13]
	v_cmp_neq_f64_e64 s54, s[6:7], 0
	v_dual_mov_b32 v7, v10 :: v_dual_add_nc_u32 v10, 8, v14
	v_add_co_u32 v3, vcc_lo, s4, v8
	s_add_nc_u64 s[6:7], s[16:17], s[10:11]
	v_lshlrev_b64_e32 v[6:7], 4, v[6:7]
	v_lshlrev_b32_e32 v16, 2, v14
	scratch_store_b32 off, v3, off          ; 4-byte Folded Spill
	v_add_co_ci_u32_e64 v3, null, s5, v9, vcc_lo
	v_lshlrev_b32_e32 v18, 6, v14
	v_or_b32_e32 v19, 1, v16
	v_add_nc_u32_e32 v11, 16, v14
	s_or_b32 s46, s1, s3
	s_cmp_eq_u32 ttmp9, s9
	scratch_store_b32 off, v3, off offset:4 ; 4-byte Folded Spill
	s_cselect_b32 s26, s19, 0
	v_add_nc_u32_e32 v15, 24, v14
	s_cmp_lg_u32 s26, 0
	v_cmp_gt_i32_e32 vcc_lo, s26, v177
	s_cselect_b32 s37, -1, 0
	s_cmp_eq_u32 s26, 0
	v_cmp_eq_u32_e64 s16, 1, v14
	s_cselect_b32 s1, -1, 0
	s_ashr_i32 s49, s48, 31
	s_ashr_i32 s3, ttmp9, 31
	s_wait_alu 0xfffe
	s_lshl_b64 s[4:5], s[48:49], 4
	s_mul_u64 s[2:3], s[12:13], s[2:3]
	s_wait_alu 0xfffe
	s_add_nc_u64 s[4:5], s[6:7], s[4:5]
	s_or_b32 s47, s1, vcc_lo
	s_wait_alu 0xfffe
	v_add_co_u32 v3, vcc_lo, s4, v6
	s_mul_u64 s[8:9], s[20:21], s[48:49]
	s_lshl_b64 s[2:3], s[2:3], 4
	s_wait_alu 0xfffd
	v_add_co_ci_u32_e64 v8, null, s5, v7, vcc_lo
	s_add_nc_u64 s[38:39], s[14:15], s[2:3]
	s_wait_alu 0xfffe
	s_lshl_b64 s[2:3], s[8:9], 4
	s_sub_co_i32 s15, s26, 32
	v_add_co_u32 v3, vcc_lo, v3, s2
	v_cmp_le_i32_e64 s4, s26, v11
	v_cmp_le_i32_e64 s12, s15, v14
	;; [unrolled: 1-line block ×3, first 2 shown]
	scratch_store_b32 off, v3, off offset:8 ; 4-byte Folded Spill
	s_wait_alu 0xfffd
	v_add_co_ci_u32_e64 v3, null, s3, v8, vcc_lo
	v_sub_co_u32 v8, s2, 0, v2
	s_wait_alu 0xf1ff
	v_sub_co_ci_u32_e64 v9, null, 0, 0, s2
	scratch_store_b32 off, v3, off offset:12 ; 4-byte Folded Spill
	v_lshlrev_b32_e32 v3, 4, v2
	v_cmp_le_i32_e64 s2, s26, v14
	v_cmp_le_i32_e64 s3, s26, v10
	;; [unrolled: 1-line block ×3, first 2 shown]
	v_mul_i32_i24_e32 v22, 0xffffffd0, v14
	v_mad_u32_u24 v184, 0x210, v14, v3
	v_lshl_or_b32 v17, v2, 9, v3
	v_mad_u32_u24 v189, 0x840, v14, v3
	v_mad_u32_u24 v190, 0x210, v19, v3
	v_mul_u32_u24_e32 v3, 33, v2
	v_and_b32_e32 v10, 48, v0
	v_add_nc_u32_e32 v173, v17, v18
	v_or_b32_e32 v17, 2, v16
	v_cmp_gt_u32_e64 s6, v16, v2
	v_lshlrev_b32_e32 v192, 4, v3
	v_or_b32_e32 v3, 32, v2
	v_cmp_ge_u32_e64 s7, v16, v2
	v_cmp_gt_u32_e64 s8, v17, v2
	v_lshlrev_b32_e32 v17, 4, v14
	v_and_b32_e32 v14, 15, v0
	v_cmp_gt_i32_e64 s11, s26, v3
	v_lshrrev_b32_e32 v3, 4, v13
	v_or_b32_e32 v16, 3, v16
	v_add_nc_u32_e32 v195, v192, v17
	v_add_nc_u32_e32 v197, 0x4700, v17
	;; [unrolled: 1-line block ×3, first 2 shown]
	v_lshlrev_b32_e32 v11, 6, v3
	v_cmp_le_i32_e64 s5, s26, v15
	v_cmp_le_i32_e64 s15, s15, v15
	v_lshlrev_b32_e32 v15, 4, v10
	v_cmp_gt_u32_e64 s9, v16, v2
	v_mad_u32_u24 v201, 0x430, v14, v11
	v_mad_co_u64_u32 v[10:11], null, s20, v17, 0
	v_or_b32_e32 v16, 0xf0, v178
	v_add_nc_u32_e32 v204, 0x2100, v184
	v_mul_i32_i24_e32 v23, 0xffffffd0, v3
	s_add_co_i32 s17, ttmp9, 1
	s_xor_b32 s56, s47, -1
	v_mad_u32_u24 v203, 0x430, v14, v16
	v_dual_mov_b32 v3, v11 :: v_dual_add_nc_u32 v16, 0x530, v21
	s_ashr_i32 s27, s26, 31
	s_lshl_b64 s[40:41], s[20:21], 7
	s_lshl_b64 s[42:43], s[20:21], 8
	s_lshl_b64 s[50:51], s[20:21], 5
	v_cmp_gt_u32_e64 s10, 32, v13
	v_lshlrev_b32_e32 v198, 2, v12
	s_cmp_lt_u32 s17, s36
	v_mad_u32_u24 v200, 0x10c0, v12, v178
	v_cmp_gt_u32_e64 s17, 64, v13
	v_mad_u32_u24 v202, 0x430, v14, v15
	v_mad_u32_u24 v174, 0x430, v12, v178
	v_mad_co_u64_u32 v[11:12], null, s20, v16, 0
	v_mad_co_u64_u32 v[13:14], null, s21, v17, v[3:4]
	v_add_nc_u32_e32 v17, 0x220, v21
	v_sub_co_u32 v10, vcc_lo, v10, v6
	s_delay_alu instid0(VALU_DEP_4) | instskip(NEXT) | instid1(VALU_DEP_3)
	v_dual_mov_b32 v3, v12 :: v_dual_add_nc_u32 v20, 0x520, v21
	v_mad_co_u64_u32 v[14:15], null, s20, v17, 0
	s_wait_alu 0xfffd
	v_sub_co_ci_u32_e64 v12, null, v13, v7, vcc_lo
	v_or_b32_e32 v10, 8, v10
	s_mul_u64 s[52:53], s[28:29], s[48:49]
	s_cselect_b32 s57, -1, 0
	scratch_store_b32 off, v12, off offset:20 ; 4-byte Folded Spill
	v_mad_co_u64_u32 v[12:13], null, s21, v16, v[3:4]
	v_dual_mov_b32 v3, v15 :: v_dual_add_nc_u32 v194, 0x4700, v18
	v_add_nc_u32_e32 v196, v192, v18
	v_mad_co_u64_u32 v[15:16], null, s20, v20, 0
	s_delay_alu instid0(VALU_DEP_3)
	v_mad_co_u64_u32 v[17:18], null, s21, v17, v[3:4]
	v_sub_co_u32 v3, vcc_lo, v11, v6
	scratch_store_b32 off, v10, off offset:24 ; 4-byte Folded Spill
	v_add_nc_u32_e32 v238, 0x3180, v184
	v_add_nc_u32_e32 v13, 0x210, v21
	scratch_store_b32 off, v3, off offset:28 ; 4-byte Folded Spill
	s_wait_alu 0xfffd
	v_sub_co_ci_u32_e64 v3, null, v12, v7, vcc_lo
	v_sub_co_u32 v10, vcc_lo, v14, v6
	v_mad_co_u64_u32 v[18:19], null, s20, v13, 0
	scratch_store_b32 off, v3, off offset:32 ; 4-byte Folded Spill
	v_mov_b32_e32 v3, v16
	s_or_b32 s49, s46, s18
	v_lshlrev_b64_e32 v[175:176], 4, v[8:9]
	v_cmp_gt_i32_e64 s1, s26, v2
	v_add_nc_u32_e32 v237, 0x1080, v184
	v_mad_co_u64_u32 v[11:12], null, s21, v20, v[3:4]
	v_sub_co_u32 v3, s18, v15, v6
	scratch_store_b32 off, v10, off offset:36 ; 4-byte Folded Spill
	s_wait_alu 0xfffd
	v_sub_co_ci_u32_e64 v10, null, v17, v7, vcc_lo
	scratch_store_b32 off, v3, off offset:44 ; 4-byte Folded Spill
	v_sub_co_ci_u32_e64 v3, null, v11, v7, s18
	scratch_store_b32 off, v10, off offset:40 ; 4-byte Folded Spill
	v_dual_mov_b32 v10, v19 :: v_dual_add_nc_u32 v19, 0x510, v21
	v_add_nc_u32_e32 v20, 0x230, v21
	v_add_nc_u32_e32 v191, 0x210, v190
	;; [unrolled: 1-line block ×3, first 2 shown]
	s_delay_alu instid0(VALU_DEP_4) | instskip(SKIP_4) | instid1(VALU_DEP_4)
	v_mad_co_u64_u32 v[12:13], null, s21, v13, v[10:11]
	v_mad_co_u64_u32 v[13:14], null, s20, v19, 0
	v_sub_co_u32 v10, vcc_lo, v18, v6
	v_mad_co_u64_u32 v[16:17], null, s20, v20, 0
	s_wait_alu 0xfffd
	v_sub_co_ci_u32_e64 v11, null, v12, v7, vcc_lo
	scratch_store_b32 off, v3, off offset:48 ; 4-byte Folded Spill
	v_mov_b32_e32 v3, v14
	v_or_b32_e32 v10, 8, v10
	scratch_store_b32 off, v11, off offset:52 ; 4-byte Folded Spill
	v_cndmask_b32_e64 v205, 0, 1, s46
	v_add_nc_u32_e32 v239, v201, v23
	v_mad_co_u64_u32 v[11:12], null, s21, v19, v[3:4]
	v_sub_co_u32 v3, vcc_lo, v13, v6
	scratch_store_b32 off, v10, off offset:56 ; 4-byte Folded Spill
	v_mov_b32_e32 v10, v17
	v_add_nc_u32_e32 v12, 0x500, v21
	v_add_nc_u32_e32 v24, 0x300, v21
	scratch_store_b32 off, v3, off offset:60 ; 4-byte Folded Spill
	s_wait_alu 0xfffd
	v_sub_co_ci_u32_e64 v3, null, v11, v7, vcc_lo
	v_mad_co_u64_u32 v[14:15], null, s21, v20, v[10:11]
	v_mad_co_u64_u32 v[17:18], null, s20, v12, 0
	v_sub_co_u32 v11, vcc_lo, v16, v6
	v_mad_co_u64_u32 v[19:20], null, s20, v24, 0
	s_wait_alu 0xfffd
	s_delay_alu instid0(VALU_DEP_4)
	v_sub_co_ci_u32_e64 v10, null, v14, v7, vcc_lo
	scratch_store_b32 off, v3, off offset:64 ; 4-byte Folded Spill
	v_mov_b32_e32 v3, v18
	v_or_b32_e32 v11, 8, v11
	scratch_store_b32 off, v10, off offset:68 ; 4-byte Folded Spill
	v_mov_b32_e32 v10, v20
	v_add_nc_u32_e32 v18, 0x430, v21
	v_add_nc_u32_e32 v20, 0x310, v21
	scratch_store_b32 off, v11, off offset:72 ; 4-byte Folded Spill
	v_mad_co_u64_u32 v[11:12], null, s21, v12, v[3:4]
	v_sub_co_u32 v3, s18, v17, v6
	v_mad_co_u64_u32 v[15:16], null, s20, v20, 0
	v_add_nc_u32_e32 v179, 0x4700, v178
	v_add_nc_u32_e32 v199, 0x4300, v21
	v_mad_co_u64_u32 v[12:13], null, s21, v24, v[10:11]
	v_sub_co_u32 v10, vcc_lo, v19, v6
	v_mad_co_u64_u32 v[13:14], null, s20, v18, 0
	v_lshlrev_b32_e32 v240, 4, v2
	s_delay_alu instid0(VALU_DEP_3)
	v_or_b32_e32 v10, 8, v10
	scratch_store_b32 off, v3, off offset:76 ; 4-byte Folded Spill
	s_wait_alu 0xf1ff
	v_sub_co_ci_u32_e64 v3, null, v11, v7, s18
	s_sub_nc_u64 s[52:53], 0, s[52:53]
	s_mul_u64 s[44:45], s[20:21], 0x180
	s_add_co_i32 s58, s36, -2
	scratch_store_b32 off, v3, off offset:80 ; 4-byte Folded Spill
	s_wait_alu 0xfffd
	v_sub_co_ci_u32_e64 v3, null, v12, v7, vcc_lo
	s_and_b32 s59, s0, s47
	s_wait_alu 0xfffe
	s_sub_nc_u64 s[46:47], 0, s[26:27]
	s_add_co_i32 s60, s48, 64
	scratch_store_b32 off, v3, off offset:84 ; 4-byte Folded Spill
	v_dual_mov_b32 v3, v14 :: v_dual_add_nc_u32 v14, 0x420, v21
	s_or_b32 s61, s49, s54
	s_lshl_b64 s[48:49], s[50:51], 4
	s_lshl_b64 s[50:51], s[52:53], 4
	s_delay_alu instid0(VALU_DEP_1)
	v_mad_co_u64_u32 v[11:12], null, s21, v18, v[3:4]
	v_sub_co_u32 v3, vcc_lo, v13, v6
	scratch_store_b32 off, v10, off offset:88 ; 4-byte Folded Spill
	v_mov_b32_e32 v10, v16
	v_mad_co_u64_u32 v[16:17], null, s20, v14, 0
	scratch_store_b32 off, v3, off offset:92 ; 4-byte Folded Spill
	s_wait_alu 0xfffd
	v_sub_co_ci_u32_e64 v3, null, v11, v7, vcc_lo
	v_mad_co_u64_u32 v[18:19], null, s21, v20, v[10:11]
	v_add_nc_u32_e32 v19, 0x320, v21
	v_sub_co_u32 v15, vcc_lo, v15, v6
	v_add_nc_u32_e32 v20, 0x330, v21
	s_delay_alu instid0(VALU_DEP_3)
	v_mad_co_u64_u32 v[10:11], null, s20, v19, 0
	s_wait_alu 0xfffd
	v_sub_co_ci_u32_e64 v12, null, v18, v7, vcc_lo
	scratch_store_b32 off, v3, off offset:96 ; 4-byte Folded Spill
	v_dual_mov_b32 v3, v17 :: v_dual_add_nc_u32 v18, 0x410, v21
	scratch_store_b32 off, v12, off offset:100 ; 4-byte Folded Spill
	v_add_nc_u32_e32 v21, 0x400, v21
	v_mad_co_u64_u32 v[12:13], null, s21, v14, v[3:4]
	v_or_b32_e32 v3, 8, v15
	v_mad_co_u64_u32 v[13:14], null, s20, v18, 0
	scratch_store_b32 off, v3, off offset:104 ; 4-byte Folded Spill
	v_mov_b32_e32 v3, v11
	v_sub_co_u32 v11, vcc_lo, v16, v6
	v_mad_co_u64_u32 v[16:17], null, s20, v21, 0
	scratch_store_b32 off, v11, off offset:108 ; 4-byte Folded Spill
	s_wait_alu 0xfffd
	v_sub_co_ci_u32_e64 v11, null, v12, v7, vcc_lo
	v_sub_co_u32 v10, vcc_lo, v10, v6
	scratch_store_b32 off, v11, off offset:112 ; 4-byte Folded Spill
	v_mad_co_u64_u32 v[11:12], null, s21, v19, v[3:4]
	v_mov_b32_e32 v3, v14
	v_mad_co_u64_u32 v[14:15], null, s20, v20, 0
	v_add_nc_u32_e32 v0, 0x4300, v178
	s_delay_alu instid0(VALU_DEP_3)
	v_mad_co_u64_u32 v[18:19], null, s21, v18, v[3:4]
	s_wait_alu 0xfffd
	v_sub_co_ci_u32_e64 v3, null, v11, v7, vcc_lo
	v_sub_co_u32 v11, vcc_lo, v13, v6
	scratch_store_b32 off, v3, off offset:116 ; 4-byte Folded Spill
	v_or_b32_e32 v3, 8, v10
	scratch_store_b32 off, v11, off offset:124 ; 4-byte Folded Spill
	s_wait_alu 0xfffd
	v_sub_co_ci_u32_e64 v11, null, v18, v7, vcc_lo
	v_mov_b32_e32 v10, v17
	scratch_store_b32 off, v3, off offset:120 ; 4-byte Folded Spill
	v_mov_b32_e32 v3, v15
	scratch_store_b32 off, v11, off offset:128 ; 4-byte Folded Spill
	v_mad_co_u64_u32 v[11:12], null, s21, v20, v[3:4]
	v_sub_co_u32 v3, vcc_lo, v14, v6
	v_sub_co_u32 v6, s18, v16, v6
	s_delay_alu instid0(VALU_DEP_2) | instskip(NEXT) | instid1(VALU_DEP_4)
	v_or_b32_e32 v3, 8, v3
	v_mad_co_u64_u32 v[12:13], null, s21, v21, v[10:11]
	s_wait_alu 0xfffd
	v_sub_co_ci_u32_e64 v10, null, v11, v7, vcc_lo
	scratch_store_b32 off, v3, off offset:136 ; 4-byte Folded Spill
	s_lshl_b64 s[20:21], s[20:21], 10
	v_sub_co_ci_u32_e64 v3, null, v12, v7, s18
	scratch_store_b32 off, v3, off offset:140 ; 4-byte Folded Spill
	v_or_b32_e32 v3, 8, v6
	scratch_store_b32 off, v3, off offset:144 ; 4-byte Folded Spill
	v_add_nc_u32_e32 v3, v196, v22
	s_clause 0x1
	scratch_store_b32 off, v10, off offset:132
	scratch_store_b32 off, v3, off offset:16
	v_lshlrev_b64_e32 v[3:4], 4, v[4:5]
	scratch_store_b64 off, v[3:4], off offset:148 ; 8-byte Folded Spill
	s_branch .LBB124_4
.LBB124_2:                              ;   in Loop: Header=BB124_4 Depth=1
	s_wait_alu 0xfffe
	s_or_b32 exec_lo, exec_lo, s18
.LBB124_3:                              ;   in Loop: Header=BB124_4 Depth=1
	s_add_co_i32 s34, s34, 0x10000
	s_delay_alu instid0(SALU_CYCLE_1)
	s_cmp_lt_u32 s34, s33
	s_cbranch_scc0 .LBB124_155
.LBB124_4:                              ; =>This Loop Header: Depth=1
                                        ;     Child Loop BB124_77 Depth 2
	s_and_not1_b32 vcc_lo, exec_lo, s61
	s_wait_alu 0xfffe
	s_cbranch_vccnz .LBB124_3
; %bb.5:                                ;   in Loop: Header=BB124_4 Depth=1
	v_cmp_ne_u32_e32 vcc_lo, 1, v205
	s_cbranch_vccnz .LBB124_3
; %bb.6:                                ;   in Loop: Header=BB124_4 Depth=1
	scratch_load_b32 v2, off, off           ; 4-byte Folded Reload
	s_mul_u64 s[52:53], s[30:31], s[34:35]
	s_wait_alu 0xfffe
	s_lshl_b64 s[52:53], s[52:53], 4
	s_wait_loadcnt 0x0
	s_wait_alu 0xfffe
	v_add_co_u32 v41, vcc_lo, v2, s52
	scratch_load_b32 v2, off, off offset:4  ; 4-byte Folded Reload
	s_wait_loadcnt 0x0
	s_wait_alu 0xfffd
	v_add_co_ci_u32_e64 v42, null, s53, v2, vcc_lo
	s_and_saveexec_b32 s18, s0
	s_cbranch_execz .LBB124_11
; %bb.7:                                ;   in Loop: Header=BB124_4 Depth=1
	s_and_saveexec_b32 s52, s56
	s_wait_alu 0xfffe
	s_xor_b32 s52, exec_lo, s52
; %bb.8:                                ;   in Loop: Header=BB124_4 Depth=1
	v_dual_mov_b32 v2, v1 :: v_dual_mov_b32 v3, v1
	v_mov_b32_e32 v4, v1
	ds_store_b128 v179, v[1:4]
; %bb.9:                                ;   in Loop: Header=BB124_4 Depth=1
	s_wait_alu 0xfffe
	s_and_not1_saveexec_b32 s52, s52
	s_cbranch_execz .LBB124_11
; %bb.10:                               ;   in Loop: Header=BB124_4 Depth=1
	global_load_b128 v[2:5], v[41:42], off
	s_wait_loadcnt 0x0
	ds_store_2addr_b64 v179, v[2:3], v[4:5] offset1:1
.LBB124_11:                             ;   in Loop: Header=BB124_4 Depth=1
	s_wait_alu 0xfffe
	s_or_b32 exec_lo, exec_lo, s18
	scratch_load_b32 v2, off, off offset:8  ; 4-byte Folded Reload
	s_mul_u64 s[52:53], s[22:23], s[34:35]
	s_mov_b32 s18, -1
	s_wait_alu 0xfffe
	s_lshl_b64 s[52:53], s[52:53], 4
	s_wait_loadcnt 0x0
	s_wait_alu 0xfffe
	v_add_co_u32 v5, vcc_lo, v2, s52
	scratch_load_b32 v2, off, off offset:12 ; 4-byte Folded Reload
	s_wait_loadcnt 0x0
	s_wait_alu 0xfffd
	v_add_co_ci_u32_e64 v6, null, s53, v2, vcc_lo
	s_and_b32 vcc_lo, exec_lo, s37
                                        ; implicit-def: $vgpr2_vgpr3
	s_wait_alu 0xfffe
	s_cbranch_vccz .LBB124_23
; %bb.12:                               ;   in Loop: Header=BB124_4 Depth=1
	s_and_saveexec_b32 s18, s2
	s_wait_alu 0xfffe
	s_xor_b32 s18, exec_lo, s18
; %bb.13:                               ;   in Loop: Header=BB124_4 Depth=1
	v_dual_mov_b32 v2, v1 :: v_dual_mov_b32 v3, v1
	v_mov_b32_e32 v4, v1
	ds_store_b128 v184, v[1:4]
; %bb.14:                               ;   in Loop: Header=BB124_4 Depth=1
	s_wait_alu 0xfffe
	s_or_saveexec_b32 s18, s18
	v_add_co_u32 v2, vcc_lo, v5, v175
	s_wait_alu 0xfffd
	v_add_co_ci_u32_e64 v3, null, v6, v176, vcc_lo
	s_lshl_b64 s[52:53], s[26:27], 4
	s_wait_alu 0xfffe
	v_add_co_u32 v2, vcc_lo, v2, s52
	s_wait_alu 0xfffd
	v_add_co_ci_u32_e64 v3, null, s53, v3, vcc_lo
	s_delay_alu instid0(VALU_DEP_2) | instskip(SKIP_1) | instid1(VALU_DEP_2)
	v_add_co_u32 v2, vcc_lo, v2, -16
	s_wait_alu 0xfffd
	v_add_co_ci_u32_e64 v3, null, -1, v3, vcc_lo
	s_delay_alu instid0(VALU_DEP_2) | instskip(NEXT) | instid1(VALU_DEP_2)
	v_cndmask_b32_e64 v7, v2, v5, s1
	v_cndmask_b32_e64 v8, v3, v6, s1
	s_xor_b32 exec_lo, exec_lo, s18
	s_cbranch_execnz .LBB124_137
; %bb.15:                               ;   in Loop: Header=BB124_4 Depth=1
	s_or_b32 exec_lo, exec_lo, s18
	s_and_saveexec_b32 s18, s3
	s_wait_alu 0xfffe
	s_xor_b32 s18, exec_lo, s18
	s_cbranch_execnz .LBB124_138
.LBB124_16:                             ;   in Loop: Header=BB124_4 Depth=1
	s_wait_alu 0xfffe
	s_and_not1_saveexec_b32 s18, s18
	s_cbranch_execnz .LBB124_139
.LBB124_17:                             ;   in Loop: Header=BB124_4 Depth=1
	s_wait_alu 0xfffe
	s_or_b32 exec_lo, exec_lo, s18
	s_and_saveexec_b32 s18, s4
	s_wait_alu 0xfffe
	s_xor_b32 s18, exec_lo, s18
	s_cbranch_execnz .LBB124_140
.LBB124_18:                             ;   in Loop: Header=BB124_4 Depth=1
	s_wait_alu 0xfffe
	s_and_not1_saveexec_b32 s18, s18
	s_cbranch_execnz .LBB124_141
.LBB124_19:                             ;   in Loop: Header=BB124_4 Depth=1
	s_wait_alu 0xfffe
	s_or_b32 exec_lo, exec_lo, s18
	s_and_saveexec_b32 s18, s5
	s_wait_alu 0xfffe
	s_xor_b32 s18, exec_lo, s18
	s_cbranch_execnz .LBB124_142
.LBB124_20:                             ;   in Loop: Header=BB124_4 Depth=1
	s_wait_alu 0xfffe
	s_and_not1_saveexec_b32 s18, s18
	s_cbranch_execz .LBB124_22
.LBB124_21:                             ;   in Loop: Header=BB124_4 Depth=1
	v_add_co_u32 v2, vcc_lo, v7, s44
	s_wait_alu 0xfffd
	v_add_co_ci_u32_e64 v3, null, s45, v8, vcc_lo
	global_load_b128 v[9:12], v[2:3], off
	s_wait_loadcnt 0x0
	ds_store_2addr_b64 v238, v[9:10], v[11:12] offset1:1
.LBB124_22:                             ;   in Loop: Header=BB124_4 Depth=1
	s_wait_alu 0xfffe
	s_or_b32 exec_lo, exec_lo, s18
	v_add_co_u32 v2, vcc_lo, v7, v240
	s_wait_alu 0xfffd
	v_add_co_ci_u32_e64 v3, null, 0, v8, vcc_lo
	s_lshl_b64 s[52:53], s[46:47], 4
	s_mov_b32 s18, 0
	s_wait_alu 0xfffe
	v_add_co_u32 v2, vcc_lo, v2, s52
	s_wait_alu 0xfffd
	v_add_co_ci_u32_e64 v3, null, s53, v3, vcc_lo
	s_delay_alu instid0(VALU_DEP_2) | instskip(SKIP_1) | instid1(VALU_DEP_2)
	v_add_co_u32 v2, vcc_lo, v2, 16
	s_wait_alu 0xfffd
	v_add_co_ci_u32_e64 v3, null, 0, v3, vcc_lo
	s_delay_alu instid0(VALU_DEP_2) | instskip(NEXT) | instid1(VALU_DEP_2)
	v_cndmask_b32_e64 v2, v2, v5, s1
	v_cndmask_b32_e64 v3, v3, v6, s1
.LBB124_23:                             ;   in Loop: Header=BB124_4 Depth=1
	s_and_b32 vcc_lo, exec_lo, s18
	s_wait_alu 0xfffe
	s_cbranch_vccz .LBB124_25
; %bb.24:                               ;   in Loop: Header=BB124_4 Depth=1
	v_add_co_u32 v2, vcc_lo, v5, s40
	s_wait_alu 0xfffd
	v_add_co_ci_u32_e64 v3, null, s41, v6, vcc_lo
	s_delay_alu instid0(VALU_DEP_2) | instskip(SKIP_1) | instid1(VALU_DEP_2)
	v_add_co_u32 v15, vcc_lo, v2, s40
	s_wait_alu 0xfffd
	v_add_co_ci_u32_e64 v16, null, s41, v3, vcc_lo
	s_delay_alu instid0(VALU_DEP_2) | instskip(SKIP_1) | instid1(VALU_DEP_2)
	v_add_co_u32 v19, vcc_lo, v15, s40
	s_wait_alu 0xfffd
	v_add_co_ci_u32_e64 v20, null, s41, v16, vcc_lo
	s_clause 0x3
	global_load_b128 v[7:10], v[5:6], off
	global_load_b128 v[11:14], v[2:3], off
	;; [unrolled: 1-line block ×4, first 2 shown]
	v_dual_mov_b32 v2, v5 :: v_dual_mov_b32 v3, v6
	s_wait_loadcnt 0x3
	ds_store_2addr_b64 v184, v[7:8], v[9:10] offset1:1
	s_wait_loadcnt 0x2
	ds_store_2addr_b64 v237, v[11:12], v[13:14] offset1:1
	;; [unrolled: 2-line block ×4, first 2 shown]
.LBB124_25:                             ;   in Loop: Header=BB124_4 Depth=1
	s_wait_storecnt_dscnt 0x0
	s_barrier_signal -1
	s_barrier_wait -1
	global_inv scope:SCOPE_SE
	s_and_saveexec_b32 s18, s6
	s_cbranch_execnz .LBB124_131
; %bb.26:                               ;   in Loop: Header=BB124_4 Depth=1
	s_wait_alu 0xfffe
	s_or_b32 exec_lo, exec_lo, s18
	s_and_saveexec_b32 s18, s7
	s_cbranch_execnz .LBB124_132
.LBB124_27:                             ;   in Loop: Header=BB124_4 Depth=1
	s_wait_alu 0xfffe
	s_or_b32 exec_lo, exec_lo, s18
	s_and_saveexec_b32 s18, s8
	s_cbranch_execnz .LBB124_133
.LBB124_28:                             ;   in Loop: Header=BB124_4 Depth=1
	s_wait_alu 0xfffe
	s_or_b32 exec_lo, exec_lo, s18
	s_and_saveexec_b32 s18, s9
	s_cbranch_execz .LBB124_30
.LBB124_29:                             ;   in Loop: Header=BB124_4 Depth=1
	ds_load_b128 v[4:7], v193
	v_add_nc_u32_e32 v8, 48, v173
	s_wait_dscnt 0x0
	ds_store_b128 v8, v[4:7]
.LBB124_30:                             ;   in Loop: Header=BB124_4 Depth=1
	s_wait_alu 0xfffe
	s_or_b32 exec_lo, exec_lo, s18
	s_wait_loadcnt_dscnt 0x0
	s_barrier_signal -1
	s_barrier_wait -1
	global_inv scope:SCOPE_SE
	ds_load_b128 v[4:7], v189
	ds_load_b128 v[8:11], v194
	ds_load_b128 v[12:15], v194 offset:16
	ds_load_b128 v[16:19], v190
	s_wait_dscnt 0x2
	v_mul_f64_e32 v[20:21], v[10:11], v[6:7]
	v_mul_f64_e32 v[6:7], v[8:9], v[6:7]
	s_wait_dscnt 0x0
	v_mul_f64_e32 v[26:27], v[14:15], v[18:19]
	v_mul_f64_e32 v[28:29], v[12:13], v[18:19]
	s_delay_alu instid0(VALU_DEP_4) | instskip(NEXT) | instid1(VALU_DEP_4)
	v_fma_f64 v[30:31], v[8:9], v[4:5], -v[20:21]
	v_fma_f64 v[32:33], v[10:11], v[4:5], v[6:7]
	ds_load_b128 v[4:7], v191
	ds_load_b128 v[8:11], v194 offset:32
	ds_load_b128 v[18:21], v194 offset:48
	ds_load_b128 v[22:25], v193
	v_fma_f64 v[12:13], v[12:13], v[16:17], -v[26:27]
	v_fma_f64 v[14:15], v[14:15], v[16:17], v[28:29]
	s_wait_loadcnt_dscnt 0x0
	s_barrier_signal -1
	s_barrier_wait -1
	global_inv scope:SCOPE_SE
	v_mul_f64_e32 v[34:35], v[10:11], v[6:7]
	v_mul_f64_e32 v[6:7], v[8:9], v[6:7]
	;; [unrolled: 1-line block ×4, first 2 shown]
	v_add_f64_e32 v[16:17], 0, v[30:31]
	v_add_f64_e32 v[26:27], 0, v[32:33]
	v_fma_f64 v[8:9], v[8:9], v[4:5], -v[34:35]
	v_fma_f64 v[4:5], v[10:11], v[4:5], v[6:7]
	s_delay_alu instid0(VALU_DEP_4) | instskip(NEXT) | instid1(VALU_DEP_4)
	v_add_f64_e32 v[6:7], v[16:17], v[12:13]
	v_add_f64_e32 v[10:11], v[26:27], v[14:15]
	v_fma_f64 v[12:13], v[18:19], v[22:23], -v[28:29]
	v_fma_f64 v[14:15], v[20:21], v[22:23], v[24:25]
	s_delay_alu instid0(VALU_DEP_4) | instskip(NEXT) | instid1(VALU_DEP_4)
	v_add_f64_e32 v[6:7], v[6:7], v[8:9]
	v_add_f64_e32 v[4:5], v[10:11], v[4:5]
	s_delay_alu instid0(VALU_DEP_2) | instskip(NEXT) | instid1(VALU_DEP_2)
	v_add_f64_e32 v[9:10], v[6:7], v[12:13]
	v_add_f64_e32 v[11:12], v[4:5], v[14:15]
	v_mov_b32_e32 v5, 0
	v_dual_mov_b32 v6, 0 :: v_dual_mov_b32 v7, 0
	v_mov_b32_e32 v8, 0
	ds_store_b128 v195, v[9:12]
	s_wait_loadcnt_dscnt 0x0
	s_barrier_signal -1
	s_barrier_wait -1
	global_inv scope:SCOPE_SE
	s_and_saveexec_b32 s18, s10
	s_cbranch_execz .LBB124_32
; %bb.31:                               ;   in Loop: Header=BB124_4 Depth=1
	ds_load_b128 v[4:7], v192
	ds_load_b128 v[8:11], v192 offset:16
	s_wait_dscnt 0x0
	v_add_f64_e32 v[12:13], v[8:9], v[4:5]
	v_add_f64_e32 v[14:15], v[10:11], v[6:7]
	ds_load_b128 v[4:7], v192 offset:32
	ds_load_b128 v[8:11], v192 offset:48
	s_wait_dscnt 0x1
	v_add_f64_e32 v[4:5], v[12:13], v[4:5]
	v_add_f64_e32 v[6:7], v[14:15], v[6:7]
	s_wait_dscnt 0x0
	s_delay_alu instid0(VALU_DEP_2) | instskip(NEXT) | instid1(VALU_DEP_2)
	v_add_f64_e32 v[12:13], v[4:5], v[8:9]
	v_add_f64_e32 v[14:15], v[6:7], v[10:11]
	ds_load_b128 v[4:7], v192 offset:64
	ds_load_b128 v[8:11], v192 offset:80
	s_wait_dscnt 0x1
	v_add_f64_e32 v[4:5], v[12:13], v[4:5]
	v_add_f64_e32 v[6:7], v[14:15], v[6:7]
	s_wait_dscnt 0x0
	s_delay_alu instid0(VALU_DEP_2) | instskip(NEXT) | instid1(VALU_DEP_2)
	;; [unrolled: 9-line block ×3, first 2 shown]
	v_add_f64_e32 v[5:6], v[4:5], v[8:9]
	v_add_f64_e32 v[7:8], v[12:13], v[10:11]
.LBB124_32:                             ;   in Loop: Header=BB124_4 Depth=1
	s_wait_alu 0xfffe
	s_or_b32 exec_lo, exec_lo, s18
	v_add_co_u32 v13, vcc_lo, v2, s48
	s_wait_alu 0xfffd
	v_add_co_ci_u32_e64 v14, null, s49, v3, vcc_lo
	s_mov_b32 s18, -1
	v_add_co_u32 v11, vcc_lo, 0x200, v13
	s_wait_alu 0xfffd
	v_add_co_ci_u32_e64 v12, null, 0, v14, vcc_lo
	s_and_b32 vcc_lo, exec_lo, s37
	s_wait_loadcnt 0x0
	s_barrier_signal -1
	s_barrier_wait -1
	global_inv scope:SCOPE_SE
                                        ; implicit-def: $vgpr9_vgpr10
	s_wait_alu 0xfffe
	s_cbranch_vccz .LBB124_44
; %bb.33:                               ;   in Loop: Header=BB124_4 Depth=1
	s_and_saveexec_b32 s18, s12
	s_wait_alu 0xfffe
	s_xor_b32 s18, exec_lo, s18
; %bb.34:                               ;   in Loop: Header=BB124_4 Depth=1
	v_dual_mov_b32 v2, v1 :: v_dual_mov_b32 v3, v1
	v_mov_b32_e32 v4, v1
	ds_store_b128 v184, v[1:4]
; %bb.35:                               ;   in Loop: Header=BB124_4 Depth=1
	s_wait_alu 0xfffe
	s_or_saveexec_b32 s18, s18
	v_add_co_u32 v2, vcc_lo, v13, v175
	s_wait_alu 0xfffd
	v_add_co_ci_u32_e64 v3, null, v14, v176, vcc_lo
	s_lshl_b64 s[52:53], s[26:27], 4
	s_wait_alu 0xfffe
	v_add_co_u32 v2, vcc_lo, v2, s52
	s_wait_alu 0xfffd
	v_add_co_ci_u32_e64 v3, null, s53, v3, vcc_lo
	s_delay_alu instid0(VALU_DEP_2) | instskip(SKIP_1) | instid1(VALU_DEP_2)
	v_add_co_u32 v2, vcc_lo, v2, -16
	s_wait_alu 0xfffd
	v_add_co_ci_u32_e64 v3, null, -1, v3, vcc_lo
	s_delay_alu instid0(VALU_DEP_2) | instskip(NEXT) | instid1(VALU_DEP_2)
	v_cndmask_b32_e64 v9, v2, v11, s11
	v_cndmask_b32_e64 v10, v3, v12, s11
	s_xor_b32 exec_lo, exec_lo, s18
	s_cbranch_execnz .LBB124_143
; %bb.36:                               ;   in Loop: Header=BB124_4 Depth=1
	s_or_b32 exec_lo, exec_lo, s18
	s_and_saveexec_b32 s18, s13
	s_wait_alu 0xfffe
	s_xor_b32 s18, exec_lo, s18
	s_cbranch_execnz .LBB124_144
.LBB124_37:                             ;   in Loop: Header=BB124_4 Depth=1
	s_wait_alu 0xfffe
	s_and_not1_saveexec_b32 s18, s18
	s_cbranch_execnz .LBB124_145
.LBB124_38:                             ;   in Loop: Header=BB124_4 Depth=1
	s_wait_alu 0xfffe
	s_or_b32 exec_lo, exec_lo, s18
	s_and_saveexec_b32 s18, s14
	s_wait_alu 0xfffe
	s_xor_b32 s18, exec_lo, s18
	s_cbranch_execnz .LBB124_146
.LBB124_39:                             ;   in Loop: Header=BB124_4 Depth=1
	s_wait_alu 0xfffe
	s_and_not1_saveexec_b32 s18, s18
	s_cbranch_execnz .LBB124_147
.LBB124_40:                             ;   in Loop: Header=BB124_4 Depth=1
	s_wait_alu 0xfffe
	s_or_b32 exec_lo, exec_lo, s18
	s_and_saveexec_b32 s18, s15
	s_wait_alu 0xfffe
	s_xor_b32 s18, exec_lo, s18
	s_cbranch_execnz .LBB124_148
.LBB124_41:                             ;   in Loop: Header=BB124_4 Depth=1
	s_wait_alu 0xfffe
	s_and_not1_saveexec_b32 s18, s18
	s_cbranch_execz .LBB124_43
.LBB124_42:                             ;   in Loop: Header=BB124_4 Depth=1
	v_add_co_u32 v2, vcc_lo, v9, s44
	s_wait_alu 0xfffd
	v_add_co_ci_u32_e64 v3, null, s45, v10, vcc_lo
	global_load_b128 v[15:18], v[2:3], off
	s_wait_loadcnt 0x0
	ds_store_2addr_b64 v238, v[15:16], v[17:18] offset1:1
.LBB124_43:                             ;   in Loop: Header=BB124_4 Depth=1
	s_wait_alu 0xfffe
	s_or_b32 exec_lo, exec_lo, s18
	v_add_co_u32 v2, vcc_lo, v9, v240
	s_wait_alu 0xfffd
	v_add_co_ci_u32_e64 v3, null, 0, v10, vcc_lo
	s_lshl_b64 s[52:53], s[46:47], 4
	s_mov_b32 s18, 0
	s_wait_alu 0xfffe
	v_add_co_u32 v2, vcc_lo, v2, s52
	s_wait_alu 0xfffd
	v_add_co_ci_u32_e64 v3, null, s53, v3, vcc_lo
	s_delay_alu instid0(VALU_DEP_2) | instskip(SKIP_1) | instid1(VALU_DEP_2)
	v_add_co_u32 v2, vcc_lo, 0x210, v2
	s_wait_alu 0xfffd
	v_add_co_ci_u32_e64 v3, null, 0, v3, vcc_lo
	s_delay_alu instid0(VALU_DEP_2) | instskip(NEXT) | instid1(VALU_DEP_2)
	v_cndmask_b32_e64 v9, v2, v11, s11
	v_cndmask_b32_e64 v10, v3, v12, s11
.LBB124_44:                             ;   in Loop: Header=BB124_4 Depth=1
	s_and_b32 vcc_lo, exec_lo, s18
	s_wait_alu 0xfffe
	s_cbranch_vccz .LBB124_46
; %bb.45:                               ;   in Loop: Header=BB124_4 Depth=1
	v_add_co_u32 v2, vcc_lo, v13, s40
	s_wait_alu 0xfffd
	v_add_co_ci_u32_e64 v3, null, s41, v14, vcc_lo
	s_delay_alu instid0(VALU_DEP_2) | instskip(SKIP_1) | instid1(VALU_DEP_2)
	v_add_co_u32 v9, vcc_lo, v2, s40
	s_wait_alu 0xfffd
	v_add_co_ci_u32_e64 v10, null, s41, v3, vcc_lo
	s_delay_alu instid0(VALU_DEP_2) | instskip(SKIP_1) | instid1(VALU_DEP_2)
	v_add_co_u32 v25, vcc_lo, v9, s40
	s_wait_alu 0xfffd
	v_add_co_ci_u32_e64 v26, null, s41, v10, vcc_lo
	s_clause 0x3
	global_load_b128 v[13:16], v[11:12], off
	global_load_b128 v[17:20], v[2:3], off offset:512
	global_load_b128 v[21:24], v[9:10], off offset:512
	;; [unrolled: 1-line block ×3, first 2 shown]
	v_dual_mov_b32 v9, v11 :: v_dual_mov_b32 v10, v12
	s_wait_loadcnt 0x3
	ds_store_2addr_b64 v184, v[13:14], v[15:16] offset1:1
	s_wait_loadcnt 0x2
	ds_store_2addr_b64 v237, v[17:18], v[19:20] offset1:1
	;; [unrolled: 2-line block ×4, first 2 shown]
.LBB124_46:                             ;   in Loop: Header=BB124_4 Depth=1
	s_wait_loadcnt_dscnt 0x0
	s_barrier_signal -1
	s_barrier_wait -1
	global_inv scope:SCOPE_SE
	s_and_saveexec_b32 s18, s6
	s_cbranch_execnz .LBB124_134
; %bb.47:                               ;   in Loop: Header=BB124_4 Depth=1
	s_wait_alu 0xfffe
	s_or_b32 exec_lo, exec_lo, s18
	s_and_saveexec_b32 s18, s7
	s_cbranch_execnz .LBB124_135
.LBB124_48:                             ;   in Loop: Header=BB124_4 Depth=1
	s_wait_alu 0xfffe
	s_or_b32 exec_lo, exec_lo, s18
	s_and_saveexec_b32 s18, s8
	s_cbranch_execnz .LBB124_136
.LBB124_49:                             ;   in Loop: Header=BB124_4 Depth=1
	s_wait_alu 0xfffe
	s_or_b32 exec_lo, exec_lo, s18
	s_and_saveexec_b32 s18, s9
	s_cbranch_execz .LBB124_51
.LBB124_50:                             ;   in Loop: Header=BB124_4 Depth=1
	ds_load_b128 v[11:14], v193
	v_add_nc_u32_e32 v2, 48, v196
	s_wait_dscnt 0x0
	ds_store_b128 v2, v[11:14]
.LBB124_51:                             ;   in Loop: Header=BB124_4 Depth=1
	s_wait_alu 0xfffe
	s_or_b32 exec_lo, exec_lo, s18
	s_wait_loadcnt_dscnt 0x0
	s_barrier_signal -1
	s_barrier_wait -1
	global_inv scope:SCOPE_SE
	ds_load_b128 v[11:14], v189
	ds_load_b128 v[15:18], v194 offset:512
	ds_load_b128 v[19:22], v194 offset:528
	ds_load_b128 v[23:26], v190
	s_wait_dscnt 0x2
	v_mul_f64_e32 v[2:3], v[17:18], v[13:14]
	v_mul_f64_e32 v[13:14], v[15:16], v[13:14]
	s_wait_dscnt 0x0
	v_mul_f64_e32 v[33:34], v[21:22], v[25:26]
	v_mul_f64_e32 v[35:36], v[19:20], v[25:26]
	s_delay_alu instid0(VALU_DEP_4) | instskip(NEXT) | instid1(VALU_DEP_4)
	v_fma_f64 v[2:3], v[15:16], v[11:12], -v[2:3]
	v_fma_f64 v[37:38], v[17:18], v[11:12], v[13:14]
	ds_load_b128 v[11:14], v191
	ds_load_b128 v[15:18], v194 offset:544
	ds_load_b128 v[25:28], v194 offset:560
	ds_load_b128 v[29:32], v193
	v_fma_f64 v[19:20], v[19:20], v[23:24], -v[33:34]
	v_fma_f64 v[21:22], v[21:22], v[23:24], v[35:36]
	s_wait_loadcnt_dscnt 0x0
	s_barrier_signal -1
	s_barrier_wait -1
	global_inv scope:SCOPE_SE
	v_mul_f64_e32 v[39:40], v[17:18], v[13:14]
	v_mul_f64_e32 v[13:14], v[15:16], v[13:14]
	;; [unrolled: 1-line block ×4, first 2 shown]
	v_add_f64_e32 v[2:3], 0, v[2:3]
	v_add_f64_e32 v[23:24], 0, v[37:38]
	v_fma_f64 v[15:16], v[15:16], v[11:12], -v[39:40]
	v_fma_f64 v[11:12], v[17:18], v[11:12], v[13:14]
	v_fma_f64 v[17:18], v[25:26], v[29:30], -v[33:34]
	v_add_f64_e32 v[2:3], v[2:3], v[19:20]
	v_add_f64_e32 v[13:14], v[23:24], v[21:22]
	v_fma_f64 v[19:20], v[27:28], v[29:30], v[31:32]
	s_delay_alu instid0(VALU_DEP_3) | instskip(NEXT) | instid1(VALU_DEP_3)
	v_add_f64_e32 v[2:3], v[2:3], v[15:16]
	v_add_f64_e32 v[13:14], v[13:14], v[11:12]
	s_delay_alu instid0(VALU_DEP_2) | instskip(NEXT) | instid1(VALU_DEP_2)
	v_add_f64_e32 v[11:12], v[2:3], v[17:18]
	v_add_f64_e32 v[13:14], v[13:14], v[19:20]
	ds_store_b128 v195, v[11:14]
	s_wait_loadcnt_dscnt 0x0
	s_barrier_signal -1
	s_barrier_wait -1
	global_inv scope:SCOPE_SE
	s_and_saveexec_b32 s18, s16
	s_cbranch_execz .LBB124_53
; %bb.52:                               ;   in Loop: Header=BB124_4 Depth=1
	ds_load_b128 v[2:5], v192
	ds_load_b128 v[11:14], v192 offset:16
	s_wait_dscnt 0x0
	v_add_f64_e32 v[6:7], v[11:12], v[2:3]
	v_add_f64_e32 v[15:16], v[13:14], v[4:5]
	ds_load_b128 v[2:5], v192 offset:32
	ds_load_b128 v[11:14], v192 offset:48
	s_wait_dscnt 0x1
	v_add_f64_e32 v[2:3], v[6:7], v[2:3]
	v_add_f64_e32 v[4:5], v[15:16], v[4:5]
	s_wait_dscnt 0x0
	s_delay_alu instid0(VALU_DEP_2) | instskip(NEXT) | instid1(VALU_DEP_2)
	v_add_f64_e32 v[6:7], v[2:3], v[11:12]
	v_add_f64_e32 v[15:16], v[4:5], v[13:14]
	ds_load_b128 v[2:5], v192 offset:64
	ds_load_b128 v[11:14], v192 offset:80
	s_wait_dscnt 0x1
	v_add_f64_e32 v[2:3], v[6:7], v[2:3]
	v_add_f64_e32 v[4:5], v[15:16], v[4:5]
	s_wait_dscnt 0x0
	s_delay_alu instid0(VALU_DEP_2) | instskip(NEXT) | instid1(VALU_DEP_2)
	;; [unrolled: 9-line block ×3, first 2 shown]
	v_add_f64_e32 v[5:6], v[2:3], v[11:12]
	v_add_f64_e32 v[7:8], v[7:8], v[13:14]
.LBB124_53:                             ;   in Loop: Header=BB124_4 Depth=1
	s_wait_alu 0xfffe
	s_or_b32 exec_lo, exec_lo, s18
	v_add_co_u32 v11, vcc_lo, 0xfffffe00, v9
	s_wait_alu 0xfffd
	v_add_co_ci_u32_e64 v12, null, -1, v10, vcc_lo
	s_and_b32 vcc_lo, exec_lo, s37
	s_mov_b32 s18, -1
	s_wait_loadcnt 0x0
	s_barrier_signal -1
	s_barrier_wait -1
	global_inv scope:SCOPE_SE
                                        ; implicit-def: $vgpr2_vgpr3
	s_wait_alu 0xfffe
	s_cbranch_vccz .LBB124_65
; %bb.54:                               ;   in Loop: Header=BB124_4 Depth=1
	s_and_saveexec_b32 s18, s12
	s_wait_alu 0xfffe
	s_xor_b32 s18, exec_lo, s18
; %bb.55:                               ;   in Loop: Header=BB124_4 Depth=1
	v_dual_mov_b32 v2, v1 :: v_dual_mov_b32 v3, v1
	v_mov_b32_e32 v4, v1
	ds_store_b128 v184, v[1:4]
; %bb.56:                               ;   in Loop: Header=BB124_4 Depth=1
	s_wait_alu 0xfffe
	s_or_saveexec_b32 s18, s18
	v_add_co_u32 v2, vcc_lo, v9, v175
	s_wait_alu 0xfffd
	v_add_co_ci_u32_e64 v3, null, v10, v176, vcc_lo
	s_lshl_b64 s[52:53], s[26:27], 4
	s_wait_alu 0xfffe
	v_add_co_u32 v2, vcc_lo, v2, s52
	s_wait_alu 0xfffd
	v_add_co_ci_u32_e64 v3, null, s53, v3, vcc_lo
	s_delay_alu instid0(VALU_DEP_2) | instskip(SKIP_1) | instid1(VALU_DEP_2)
	v_add_co_u32 v2, vcc_lo, 0xfffffdf0, v2
	s_wait_alu 0xfffd
	v_add_co_ci_u32_e64 v3, null, -1, v3, vcc_lo
	s_delay_alu instid0(VALU_DEP_2) | instskip(NEXT) | instid1(VALU_DEP_2)
	v_cndmask_b32_e64 v13, v2, v11, s1
	v_cndmask_b32_e64 v14, v3, v12, s1
	s_xor_b32 exec_lo, exec_lo, s18
	s_cbranch_execnz .LBB124_149
; %bb.57:                               ;   in Loop: Header=BB124_4 Depth=1
	s_or_b32 exec_lo, exec_lo, s18
	s_and_saveexec_b32 s18, s13
	s_wait_alu 0xfffe
	s_xor_b32 s18, exec_lo, s18
	s_cbranch_execnz .LBB124_150
.LBB124_58:                             ;   in Loop: Header=BB124_4 Depth=1
	s_wait_alu 0xfffe
	s_and_not1_saveexec_b32 s18, s18
	s_cbranch_execnz .LBB124_151
.LBB124_59:                             ;   in Loop: Header=BB124_4 Depth=1
	s_wait_alu 0xfffe
	s_or_b32 exec_lo, exec_lo, s18
	s_and_saveexec_b32 s18, s14
	s_wait_alu 0xfffe
	s_xor_b32 s18, exec_lo, s18
	s_cbranch_execnz .LBB124_152
.LBB124_60:                             ;   in Loop: Header=BB124_4 Depth=1
	s_wait_alu 0xfffe
	s_and_not1_saveexec_b32 s18, s18
	s_cbranch_execnz .LBB124_153
.LBB124_61:                             ;   in Loop: Header=BB124_4 Depth=1
	s_wait_alu 0xfffe
	s_or_b32 exec_lo, exec_lo, s18
	s_and_saveexec_b32 s18, s15
	s_wait_alu 0xfffe
	s_xor_b32 s18, exec_lo, s18
	s_cbranch_execnz .LBB124_154
.LBB124_62:                             ;   in Loop: Header=BB124_4 Depth=1
	s_wait_alu 0xfffe
	s_and_not1_saveexec_b32 s18, s18
	s_cbranch_execz .LBB124_64
.LBB124_63:                             ;   in Loop: Header=BB124_4 Depth=1
	v_add_co_u32 v2, vcc_lo, v13, s44
	s_wait_alu 0xfffd
	v_add_co_ci_u32_e64 v3, null, s45, v14, vcc_lo
	global_load_b128 v[15:18], v[2:3], off
	s_wait_loadcnt 0x0
	ds_store_2addr_b64 v238, v[15:16], v[17:18] offset1:1
.LBB124_64:                             ;   in Loop: Header=BB124_4 Depth=1
	s_wait_alu 0xfffe
	s_or_b32 exec_lo, exec_lo, s18
	v_add_co_u32 v2, vcc_lo, v13, v240
	s_wait_alu 0xfffd
	v_add_co_ci_u32_e64 v3, null, 0, v14, vcc_lo
	s_lshl_b64 s[52:53], s[46:47], 4
	s_mov_b32 s18, 0
	s_wait_alu 0xfffe
	v_add_co_u32 v2, vcc_lo, v2, s52
	s_wait_alu 0xfffd
	v_add_co_ci_u32_e64 v3, null, s53, v3, vcc_lo
	s_delay_alu instid0(VALU_DEP_2) | instskip(SKIP_1) | instid1(VALU_DEP_2)
	v_add_co_u32 v2, vcc_lo, v2, 16
	s_wait_alu 0xfffd
	v_add_co_ci_u32_e64 v3, null, 0, v3, vcc_lo
	s_delay_alu instid0(VALU_DEP_2) | instskip(NEXT) | instid1(VALU_DEP_2)
	v_cndmask_b32_e64 v2, v2, v11, s1
	v_cndmask_b32_e64 v3, v3, v12, s1
.LBB124_65:                             ;   in Loop: Header=BB124_4 Depth=1
	s_and_b32 vcc_lo, exec_lo, s18
	s_wait_alu 0xfffe
	s_cbranch_vccz .LBB124_67
; %bb.66:                               ;   in Loop: Header=BB124_4 Depth=1
	v_add_co_u32 v2, vcc_lo, v9, s40
	s_wait_alu 0xfffd
	v_add_co_ci_u32_e64 v3, null, s41, v10, vcc_lo
	s_delay_alu instid0(VALU_DEP_2) | instskip(SKIP_1) | instid1(VALU_DEP_2)
	v_add_co_u32 v9, vcc_lo, v2, s40
	s_wait_alu 0xfffd
	v_add_co_ci_u32_e64 v10, null, s41, v3, vcc_lo
	s_delay_alu instid0(VALU_DEP_2) | instskip(SKIP_1) | instid1(VALU_DEP_2)
	v_add_co_u32 v25, vcc_lo, v9, s40
	s_wait_alu 0xfffd
	v_add_co_ci_u32_e64 v26, null, s41, v10, vcc_lo
	s_clause 0x3
	global_load_b128 v[13:16], v[11:12], off
	global_load_b128 v[17:20], v[2:3], off offset:-512
	global_load_b128 v[21:24], v[9:10], off offset:-512
	;; [unrolled: 1-line block ×3, first 2 shown]
	v_dual_mov_b32 v2, v11 :: v_dual_mov_b32 v3, v12
	s_wait_loadcnt 0x3
	ds_store_2addr_b64 v184, v[13:14], v[15:16] offset1:1
	s_wait_loadcnt 0x2
	ds_store_2addr_b64 v237, v[17:18], v[19:20] offset1:1
	;; [unrolled: 2-line block ×4, first 2 shown]
.LBB124_67:                             ;   in Loop: Header=BB124_4 Depth=1
	s_wait_loadcnt_dscnt 0x0
	s_barrier_signal -1
	s_barrier_wait -1
	global_inv scope:SCOPE_SE
	scratch_load_b32 v4, off, off offset:16 ; 4-byte Folded Reload
	s_wait_loadcnt 0x0
	ds_load_b128 v[9:12], v4
	ds_load_b128 v[13:16], v197
	ds_load_b128 v[17:20], v195 offset:384
	ds_load_b128 v[21:24], v197 offset:384
	;; [unrolled: 1-line block ×6, first 2 shown]
	s_wait_dscnt 0x6
	v_mul_f64_e32 v[43:44], v[11:12], v[15:16]
	v_mul_f64_e32 v[15:16], v[9:10], v[15:16]
	s_wait_dscnt 0x2
	v_mul_f64_e32 v[45:46], v[31:32], v[27:28]
	v_mul_f64_e32 v[27:28], v[29:30], v[27:28]
	s_delay_alu instid0(VALU_DEP_4) | instskip(NEXT) | instid1(VALU_DEP_4)
	v_fma_f64 v[9:10], v[9:10], v[13:14], -v[43:44]
	v_fma_f64 v[11:12], v[11:12], v[13:14], v[15:16]
	s_wait_dscnt 0x0
	v_mul_f64_e32 v[13:14], v[35:36], v[39:40]
	v_mul_f64_e32 v[15:16], v[33:34], v[39:40]
	v_fma_f64 v[29:30], v[29:30], v[25:26], -v[45:46]
	v_fma_f64 v[25:26], v[31:32], v[25:26], v[27:28]
	v_mul_f64_e32 v[27:28], v[19:20], v[23:24]
	v_mul_f64_e32 v[23:24], v[17:18], v[23:24]
	v_add_f64_e32 v[9:10], 0, v[9:10]
	v_add_f64_e32 v[11:12], 0, v[11:12]
	v_fma_f64 v[13:14], v[33:34], v[37:38], -v[13:14]
	v_fma_f64 v[15:16], v[35:36], v[37:38], v[15:16]
	v_fma_f64 v[17:18], v[17:18], v[21:22], -v[27:28]
	v_fma_f64 v[19:20], v[19:20], v[21:22], v[23:24]
	v_add_f64_e32 v[9:10], v[9:10], v[29:30]
	v_add_f64_e32 v[11:12], v[11:12], v[25:26]
	s_delay_alu instid0(VALU_DEP_2) | instskip(NEXT) | instid1(VALU_DEP_2)
	v_add_f64_e32 v[9:10], v[9:10], v[13:14]
	v_add_f64_e32 v[11:12], v[11:12], v[15:16]
	s_delay_alu instid0(VALU_DEP_2) | instskip(NEXT) | instid1(VALU_DEP_2)
	v_add_f64_e32 v[43:44], v[9:10], v[17:18]
	v_add_f64_e32 v[45:46], v[11:12], v[19:20]
	ds_load_b128 v[33:36], v194 offset:512
	ds_load_b128 v[25:28], v194 offset:528
	ds_load_b128 v[13:16], v194 offset:544
	ds_load_b128 v[9:12], v194 offset:560
	ds_load_b128 v[37:40], v189
	ds_load_b128 v[29:32], v190
	;; [unrolled: 1-line block ×4, first 2 shown]
	s_wait_dscnt 0x0
	s_barrier_signal -1
	s_barrier_wait -1
	global_inv scope:SCOPE_SE
	ds_store_b128 v195, v[43:46]
	s_wait_loadcnt_dscnt 0x0
	s_barrier_signal -1
	s_barrier_wait -1
	global_inv scope:SCOPE_SE
	s_and_saveexec_b32 s18, s16
	s_cbranch_execz .LBB124_69
; %bb.68:                               ;   in Loop: Header=BB124_4 Depth=1
	ds_load_b128 v[43:46], v192
	ds_load_b128 v[47:50], v192 offset:16
	s_wait_dscnt 0x1
	v_add_f64_e32 v[4:5], v[5:6], v[43:44]
	v_add_f64_e32 v[6:7], v[7:8], v[45:46]
	s_wait_dscnt 0x0
	s_delay_alu instid0(VALU_DEP_2) | instskip(NEXT) | instid1(VALU_DEP_2)
	v_add_f64_e32 v[47:48], v[4:5], v[47:48]
	v_add_f64_e32 v[49:50], v[6:7], v[49:50]
	ds_load_b128 v[4:7], v192 offset:32
	ds_load_b128 v[43:46], v192 offset:48
	s_wait_dscnt 0x1
	v_add_f64_e32 v[4:5], v[47:48], v[4:5]
	v_add_f64_e32 v[6:7], v[49:50], v[6:7]
	s_wait_dscnt 0x0
	s_delay_alu instid0(VALU_DEP_2) | instskip(NEXT) | instid1(VALU_DEP_2)
	v_add_f64_e32 v[47:48], v[4:5], v[43:44]
	v_add_f64_e32 v[49:50], v[6:7], v[45:46]
	ds_load_b128 v[4:7], v192 offset:64
	;; [unrolled: 9-line block ×3, first 2 shown]
	ds_load_b128 v[43:46], v192 offset:112
	s_wait_dscnt 0x1
	v_add_f64_e32 v[4:5], v[47:48], v[4:5]
	v_add_f64_e32 v[7:8], v[49:50], v[6:7]
	s_wait_dscnt 0x0
	s_delay_alu instid0(VALU_DEP_2) | instskip(NEXT) | instid1(VALU_DEP_2)
	v_add_f64_e32 v[5:6], v[4:5], v[43:44]
	v_add_f64_e32 v[7:8], v[7:8], v[45:46]
.LBB124_69:                             ;   in Loop: Header=BB124_4 Depth=1
	s_wait_alu 0xfffe
	s_or_b32 exec_lo, exec_lo, s18
	v_mul_f64_e32 v[43:44], v[35:36], v[39:40]
	v_mul_f64_e32 v[39:40], v[33:34], v[39:40]
	;; [unrolled: 1-line block ×4, first 2 shown]
	s_wait_loadcnt 0x0
	s_barrier_signal -1
	s_barrier_wait -1
	global_inv scope:SCOPE_SE
	v_fma_f64 v[33:34], v[33:34], v[37:38], -v[43:44]
	v_fma_f64 v[35:36], v[35:36], v[37:38], v[39:40]
	v_mul_f64_e32 v[37:38], v[15:16], v[23:24]
	v_mul_f64_e32 v[23:24], v[13:14], v[23:24]
	v_fma_f64 v[25:26], v[25:26], v[29:30], -v[45:46]
	v_fma_f64 v[27:28], v[27:28], v[29:30], v[31:32]
	v_add_f64_e32 v[29:30], 0, v[33:34]
	v_add_f64_e32 v[31:32], 0, v[35:36]
	v_mul_f64_e32 v[33:34], v[11:12], v[19:20]
	v_mul_f64_e32 v[19:20], v[9:10], v[19:20]
	v_fma_f64 v[13:14], v[13:14], v[21:22], -v[37:38]
	v_fma_f64 v[15:16], v[15:16], v[21:22], v[23:24]
	v_add_f64_e32 v[21:22], v[29:30], v[25:26]
	v_add_f64_e32 v[23:24], v[31:32], v[27:28]
	v_fma_f64 v[9:10], v[9:10], v[17:18], -v[33:34]
	v_fma_f64 v[11:12], v[11:12], v[17:18], v[19:20]
	s_delay_alu instid0(VALU_DEP_4) | instskip(NEXT) | instid1(VALU_DEP_4)
	v_add_f64_e32 v[13:14], v[21:22], v[13:14]
	v_add_f64_e32 v[15:16], v[23:24], v[15:16]
	s_delay_alu instid0(VALU_DEP_2) | instskip(NEXT) | instid1(VALU_DEP_2)
	v_add_f64_e32 v[9:10], v[13:14], v[9:10]
	v_add_f64_e32 v[11:12], v[15:16], v[11:12]
	ds_store_b128 v195, v[9:12]
	s_wait_loadcnt_dscnt 0x0
	s_barrier_signal -1
	s_barrier_wait -1
	global_inv scope:SCOPE_SE
	s_and_saveexec_b32 s18, s10
	s_cbranch_execz .LBB124_71
; %bb.70:                               ;   in Loop: Header=BB124_4 Depth=1
	ds_load_b128 v[9:12], v192
	ds_load_b128 v[13:16], v192 offset:16
	s_wait_dscnt 0x1
	v_add_f64_e32 v[4:5], v[5:6], v[9:10]
	v_add_f64_e32 v[6:7], v[7:8], v[11:12]
	s_wait_dscnt 0x0
	s_delay_alu instid0(VALU_DEP_2) | instskip(NEXT) | instid1(VALU_DEP_2)
	v_add_f64_e32 v[12:13], v[4:5], v[13:14]
	v_add_f64_e32 v[14:15], v[6:7], v[15:16]
	ds_load_b128 v[4:7], v192 offset:32
	ds_load_b128 v[8:11], v192 offset:48
	s_wait_dscnt 0x1
	v_add_f64_e32 v[4:5], v[12:13], v[4:5]
	v_add_f64_e32 v[6:7], v[14:15], v[6:7]
	s_wait_dscnt 0x0
	s_delay_alu instid0(VALU_DEP_2) | instskip(NEXT) | instid1(VALU_DEP_2)
	v_add_f64_e32 v[12:13], v[4:5], v[8:9]
	v_add_f64_e32 v[14:15], v[6:7], v[10:11]
	ds_load_b128 v[4:7], v192 offset:64
	;; [unrolled: 9-line block ×3, first 2 shown]
	ds_load_b128 v[8:11], v192 offset:112
	s_wait_dscnt 0x1
	v_add_f64_e32 v[4:5], v[12:13], v[4:5]
	v_add_f64_e32 v[12:13], v[14:15], v[6:7]
	s_wait_dscnt 0x0
	s_delay_alu instid0(VALU_DEP_2) | instskip(NEXT) | instid1(VALU_DEP_2)
	v_add_f64_e32 v[5:6], v[4:5], v[8:9]
	v_add_f64_e32 v[7:8], v[12:13], v[10:11]
.LBB124_71:                             ;   in Loop: Header=BB124_4 Depth=1
	s_wait_alu 0xfffe
	s_or_b32 exec_lo, exec_lo, s18
	s_mul_u64 s[52:53], s[24:25], s[34:35]
	s_and_not1_b32 vcc_lo, exec_lo, s57
	s_wait_alu 0xfffe
	s_lshl_b64 s[52:53], s[52:53], 4
	s_wait_loadcnt 0x0
	s_wait_alu 0xfffe
	s_add_nc_u64 s[52:53], s[38:39], s[52:53]
	s_barrier_signal -1
	s_barrier_wait -1
	global_inv scope:SCOPE_SE
	s_cbranch_vccnz .LBB124_129
; %bb.72:                               ;   in Loop: Header=BB124_4 Depth=1
	scratch_load_b32 v4, off, off offset:24 ; 4-byte Folded Reload
	v_add_co_u32 v241, vcc_lo, v41, s50
	s_wait_alu 0xfffd
	v_add_co_ci_u32_e64 v242, null, s51, v42, vcc_lo
	s_mov_b32 s62, ttmp9
	s_mov_b32 s54, s60
	s_wait_loadcnt 0x0
	v_add_co_u32 v243, vcc_lo, v2, v4
	scratch_load_b32 v4, off, off offset:20 ; 4-byte Folded Reload
	s_wait_loadcnt 0x0
	s_wait_alu 0xfffd
	v_add_co_ci_u32_e64 v244, null, v3, v4, vcc_lo
	scratch_load_b32 v4, off, off offset:28 ; 4-byte Folded Reload
	s_wait_loadcnt 0x0
	v_add_co_u32 v245, vcc_lo, v2, v4
	scratch_load_b32 v4, off, off offset:32 ; 4-byte Folded Reload
	s_wait_loadcnt 0x0
	s_wait_alu 0xfffd
	v_add_co_ci_u32_e64 v246, null, v3, v4, vcc_lo
	scratch_load_b32 v4, off, off offset:36 ; 4-byte Folded Reload
	;; [unrolled: 7-line block ×15, first 2 shown]
	s_wait_loadcnt 0x0
	v_add_co_u32 v223, vcc_lo, v2, v4
	scratch_load_b32 v2, off, off offset:140 ; 4-byte Folded Reload
	s_wait_loadcnt 0x0
	s_wait_alu 0xfffd
	v_add_co_ci_u32_e64 v224, null, v3, v2, vcc_lo
	s_wait_alu 0xfffe
	s_cmp_eq_u32 s58, s62
	s_cselect_b32 s63, s19, 0
	s_and_saveexec_b32 s18, s0
	s_cbranch_execz .LBB124_77
.LBB124_73:                             ;   in Loop: Header=BB124_4 Depth=1
	s_wait_alu 0xfffe
	v_cmp_le_i32_e32 vcc_lo, s63, v177
	s_cmp_lg_u32 s63, 0
	s_cselect_b32 s55, -1, 0
	s_wait_alu 0xfffe
	s_and_b32 s55, s55, vcc_lo
	s_wait_alu 0xfffe
	s_and_saveexec_b32 s64, s55
	s_wait_alu 0xfffe
	s_xor_b32 s55, exec_lo, s64
; %bb.74:                               ;   in Loop: Header=BB124_4 Depth=1
	v_dual_mov_b32 v2, v1 :: v_dual_mov_b32 v3, v1
	v_mov_b32_e32 v4, v1
	ds_store_b128 v0, v[1:4]
; %bb.75:                               ;   in Loop: Header=BB124_4 Depth=1
	s_wait_alu 0xfffe
	s_and_not1_saveexec_b32 s55, s55
	s_cbranch_execz .LBB124_77
; %bb.76:                               ;   in Loop: Header=BB124_4 Depth=1
	s_ashr_i32 s55, s54, 31
	s_wait_alu 0xfffe
	s_mul_u64 s[64:65], s[28:29], s[54:55]
	s_wait_alu 0xfffe
	s_lshl_b64 s[64:65], s[64:65], 4
	s_wait_alu 0xfffe
	v_add_co_u32 v2, vcc_lo, v241, s64
	s_wait_alu 0xfffd
	v_add_co_ci_u32_e64 v3, null, s65, v242, vcc_lo
	global_load_b128 v[9:12], v[2:3], off
	s_wait_loadcnt 0x0
	ds_store_2addr_b64 v0, v[9:10], v[11:12] offset1:1
.LBB124_77:                             ;   Parent Loop BB124_4 Depth=1
                                        ; =>  This Inner Loop Header: Depth=2
	s_wait_alu 0xfffe
	s_or_b32 exec_lo, exec_lo, s18
	s_cmp_eq_u32 s63, 0
	v_add_co_u32 v2, vcc_lo, v243, v178
	s_cselect_b32 s55, -1, 0
	s_cmp_lg_u32 s63, 0
	s_wait_alu 0xfffd
	v_add_co_ci_u32_e64 v3, null, 0, v244, vcc_lo
	s_cselect_b32 s18, -1, 0
	s_wait_dscnt 0x0
	s_wait_alu 0xfffe
	s_and_b32 vcc_lo, exec_lo, s18
	s_barrier_signal -1
	s_barrier_wait -1
	global_inv scope:SCOPE_SE
	s_wait_alu 0xfffe
	s_cbranch_vccz .LBB124_85
; %bb.78:                               ;   in Loop: Header=BB124_77 Depth=2
	v_mov_b32_e32 v9, 0
	v_dual_mov_b32 v10, 0 :: v_dual_mov_b32 v13, 0
	v_dual_mov_b32 v15, 0 :: v_dual_mov_b32 v14, 0
	v_mov_b32_e32 v16, 0
	s_mov_b32 s64, exec_lo
	v_cmpx_gt_i32_e64 s63, v198
	s_cbranch_execz .LBB124_80
; %bb.79:                               ;   in Loop: Header=BB124_77 Depth=2
	global_load_b128 v[13:16], v[2:3], off offset:-8
.LBB124_80:                             ;   in Loop: Header=BB124_77 Depth=2
	s_wait_alu 0xfffe
	s_or_b32 exec_lo, exec_lo, s64
	v_mov_b32_e32 v11, 0
	v_or_b32_e32 v4, 1, v198
	v_mov_b32_e32 v12, 0
	s_mov_b32 s64, exec_lo
	s_delay_alu instid0(VALU_DEP_2)
	v_cmpx_gt_i32_e64 s63, v4
	s_cbranch_execz .LBB124_82
; %bb.81:                               ;   in Loop: Header=BB124_77 Depth=2
	v_add_co_u32 v9, vcc_lo, v251, v178
	s_wait_alu 0xfffd
	v_add_co_ci_u32_e64 v10, null, 0, v252, vcc_lo
	global_load_b128 v[9:12], v[9:10], off offset:-8
.LBB124_82:                             ;   in Loop: Header=BB124_77 Depth=2
	s_wait_alu 0xfffe
	s_or_b32 exec_lo, exec_lo, s64
	v_mov_b32_e32 v17, 0
	v_dual_mov_b32 v18, 0 :: v_dual_mov_b32 v19, 0
	v_or_b32_e32 v4, 2, v198
	v_mov_b32_e32 v20, 0
	s_mov_b32 s64, exec_lo
	s_delay_alu instid0(VALU_DEP_2)
	v_cmpx_gt_i32_e64 s63, v4
	s_cbranch_execz .LBB124_84
; %bb.83:                               ;   in Loop: Header=BB124_77 Depth=2
	v_add_co_u32 v17, vcc_lo, v247, v178
	s_wait_alu 0xfffd
	v_add_co_ci_u32_e64 v18, null, 0, v248, vcc_lo
	global_load_b128 v[17:20], v[17:18], off
.LBB124_84:                             ;   in Loop: Header=BB124_77 Depth=2
	s_wait_alu 0xfffe
	s_or_b32 exec_lo, exec_lo, s64
	v_or_b32_e32 v4, 3, v198
	s_delay_alu instid0(VALU_DEP_1)
	v_cmp_gt_i32_e64 s64, s63, v4
	s_branch .LBB124_87
.LBB124_85:                             ;   in Loop: Header=BB124_77 Depth=2
	s_mov_b32 s64, 0
                                        ; implicit-def: $vgpr19_vgpr20
                                        ; implicit-def: $vgpr11_vgpr12
                                        ; implicit-def: $vgpr15_vgpr16
	s_cbranch_execz .LBB124_87
; %bb.86:                               ;   in Loop: Header=BB124_77 Depth=2
	s_wait_loadcnt 0x0
	v_add_co_u32 v9, vcc_lo, v251, v178
	s_wait_alu 0xfffd
	v_add_co_ci_u32_e64 v10, null, 0, v252, vcc_lo
	v_add_co_u32 v17, vcc_lo, v247, v178
	s_wait_alu 0xfffd
	v_add_co_ci_u32_e64 v18, null, 0, v248, vcc_lo
	global_load_b128 v[13:16], v[2:3], off offset:-8
	global_load_b128 v[9:12], v[9:10], off offset:-8
	global_load_b128 v[17:20], v[17:18], off
	s_wait_alu 0xfffe
	s_or_b32 s64, s64, exec_lo
.LBB124_87:                             ;   in Loop: Header=BB124_77 Depth=2
	v_mov_b32_e32 v21, 0
	v_dual_mov_b32 v22, 0 :: v_dual_mov_b32 v23, 0
	v_mov_b32_e32 v24, 0
	s_wait_alu 0xfffe
	s_and_saveexec_b32 s65, s64
	s_cbranch_execz .LBB124_89
; %bb.88:                               ;   in Loop: Header=BB124_77 Depth=2
	v_add_co_u32 v2, vcc_lo, v255, v178
	s_wait_alu 0xfffd
	v_add_co_ci_u32_e64 v3, null, 0, v206, vcc_lo
	global_load_b128 v[21:24], v[2:3], off offset:-8
.LBB124_89:                             ;   in Loop: Header=BB124_77 Depth=2
	s_wait_alu 0xfffe
	s_or_b32 exec_lo, exec_lo, s65
	ds_load_b128 v[29:32], v179
	ds_load_b128 v[25:28], v199
	v_cndmask_b32_e64 v4, 0, 1, s18
	s_wait_loadcnt_dscnt 0x1
	v_mul_f64_e32 v[2:3], v[15:16], v[31:32]
	v_mul_f64_e32 v[33:34], v[13:14], v[31:32]
	;; [unrolled: 1-line block ×8, first 2 shown]
	v_fma_f64 v[41:42], v[13:14], v[29:30], -v[2:3]
	v_fma_f64 v[43:44], v[15:16], v[29:30], v[33:34]
	v_fma_f64 v[45:46], v[9:10], v[29:30], -v[35:36]
	v_fma_f64 v[47:48], v[11:12], v[29:30], v[37:38]
	;; [unrolled: 2-line block ×4, first 2 shown]
	ds_load_b128 v[37:40], v199 offset:16
	ds_load_b128 v[33:36], v199 offset:32
	;; [unrolled: 1-line block ×3, first 2 shown]
	v_add_co_u32 v2, vcc_lo, v209, v178
	s_wait_alu 0xfffd
	v_add_co_ci_u32_e64 v3, null, 0, v210, vcc_lo
	s_and_not1_b32 vcc_lo, exec_lo, s18
	ds_store_b128 v200, v[41:44]
	ds_store_b128 v200, v[45:48] offset:1072
	ds_store_b128 v200, v[49:52] offset:2144
	;; [unrolled: 1-line block ×3, first 2 shown]
	s_wait_dscnt 0x0
	s_barrier_signal -1
	s_barrier_wait -1
	global_inv scope:SCOPE_SE
	ds_load_b128 v[97:100], v201
	ds_load_b128 v[93:96], v201 offset:16
	ds_load_b128 v[89:92], v201 offset:32
	;; [unrolled: 1-line block ×3, first 2 shown]
	s_wait_loadcnt_dscnt 0x0
	s_barrier_signal -1
	s_barrier_wait -1
	global_inv scope:SCOPE_SE
	s_wait_alu 0xfffe
	s_cbranch_vccnz .LBB124_97
; %bb.90:                               ;   in Loop: Header=BB124_77 Depth=2
	v_mov_b32_e32 v41, 0
	v_mov_b32_e32 v45, 0
	;; [unrolled: 1-line block ×3, first 2 shown]
	v_dual_mov_b32 v42, 0 :: v_dual_add_nc_u32 v43, 16, v198
	v_mov_b32_e32 v46, 0
	v_mov_b32_e32 v48, 0
	s_mov_b32 s18, exec_lo
	s_delay_alu instid0(VALU_DEP_3)
	v_cmpx_gt_i32_e64 s63, v43
	s_cbranch_execz .LBB124_92
; %bb.91:                               ;   in Loop: Header=BB124_77 Depth=2
	global_load_b128 v[45:48], v[2:3], off offset:-8
.LBB124_92:                             ;   in Loop: Header=BB124_77 Depth=2
	s_wait_alu 0xfffe
	s_or_b32 exec_lo, exec_lo, s18
	v_mov_b32_e32 v43, 0
	v_dual_mov_b32 v44, 0 :: v_dual_add_nc_u32 v49, 17, v198
	s_mov_b32 s18, exec_lo
	s_delay_alu instid0(VALU_DEP_1)
	v_cmpx_gt_i32_e64 s63, v49
	s_cbranch_execz .LBB124_94
; %bb.93:                               ;   in Loop: Header=BB124_77 Depth=2
	v_add_co_u32 v41, vcc_lo, v213, v178
	s_wait_alu 0xfffd
	v_add_co_ci_u32_e64 v42, null, 0, v214, vcc_lo
	global_load_b128 v[41:44], v[41:42], off offset:-8
.LBB124_94:                             ;   in Loop: Header=BB124_77 Depth=2
	s_wait_alu 0xfffe
	s_or_b32 exec_lo, exec_lo, s18
	v_mov_b32_e32 v49, 0
	v_mov_b32_e32 v51, 0
	v_dual_mov_b32 v50, 0 :: v_dual_add_nc_u32 v53, 18, v198
	v_mov_b32_e32 v52, 0
	s_mov_b32 s18, exec_lo
	s_delay_alu instid0(VALU_DEP_2)
	v_cmpx_gt_i32_e64 s63, v53
	s_cbranch_execz .LBB124_96
; %bb.95:                               ;   in Loop: Header=BB124_77 Depth=2
	v_add_co_u32 v49, vcc_lo, v217, v178
	s_wait_alu 0xfffd
	v_add_co_ci_u32_e64 v50, null, 0, v218, vcc_lo
	global_load_b128 v[49:52], v[49:50], off offset:-8
.LBB124_96:                             ;   in Loop: Header=BB124_77 Depth=2
	s_wait_alu 0xfffe
	s_or_b32 exec_lo, exec_lo, s18
	v_add_nc_u32_e32 v53, 19, v198
	s_delay_alu instid0(VALU_DEP_1)
	v_cmp_gt_i32_e64 s18, s63, v53
	s_branch .LBB124_99
.LBB124_97:                             ;   in Loop: Header=BB124_77 Depth=2
	s_mov_b32 s18, 0
                                        ; implicit-def: $vgpr51_vgpr52
                                        ; implicit-def: $vgpr43_vgpr44
                                        ; implicit-def: $vgpr47_vgpr48
	s_cbranch_execz .LBB124_99
; %bb.98:                               ;   in Loop: Header=BB124_77 Depth=2
	s_wait_loadcnt 0x0
	v_add_co_u32 v41, vcc_lo, v213, v178
	s_wait_alu 0xfffd
	v_add_co_ci_u32_e64 v42, null, 0, v214, vcc_lo
	v_add_co_u32 v49, vcc_lo, v217, v178
	s_wait_alu 0xfffd
	v_add_co_ci_u32_e64 v50, null, 0, v218, vcc_lo
	global_load_b128 v[45:48], v[2:3], off offset:-8
	global_load_b128 v[41:44], v[41:42], off offset:-8
	;; [unrolled: 1-line block ×3, first 2 shown]
	s_wait_alu 0xfffe
	s_or_b32 s18, s18, exec_lo
.LBB124_99:                             ;   in Loop: Header=BB124_77 Depth=2
	v_mov_b32_e32 v53, 0
	v_dual_mov_b32 v54, 0 :: v_dual_mov_b32 v55, 0
	v_mov_b32_e32 v56, 0
	s_wait_alu 0xfffe
	s_and_saveexec_b32 s64, s18
	s_cbranch_execz .LBB124_101
; %bb.100:                              ;   in Loop: Header=BB124_77 Depth=2
	v_add_co_u32 v2, vcc_lo, v221, v178
	s_wait_alu 0xfffd
	v_add_co_ci_u32_e64 v3, null, 0, v222, vcc_lo
	global_load_b128 v[53:56], v[2:3], off offset:-8
.LBB124_101:                            ;   in Loop: Header=BB124_77 Depth=2
	s_wait_alu 0xfffe
	s_or_b32 exec_lo, exec_lo, s64
	ds_load_b128 v[61:64], v179
	ds_load_b128 v[57:60], v199 offset:256
	v_cmp_ne_u32_e32 vcc_lo, 1, v4
	s_and_b32 vcc_lo, exec_lo, vcc_lo
	s_wait_loadcnt_dscnt 0x1
	v_mul_f64_e32 v[2:3], v[47:48], v[63:64]
	v_mul_f64_e32 v[65:66], v[45:46], v[63:64]
	;; [unrolled: 1-line block ×8, first 2 shown]
	v_fma_f64 v[73:74], v[45:46], v[61:62], -v[2:3]
	v_fma_f64 v[75:76], v[47:48], v[61:62], v[65:66]
	v_fma_f64 v[77:78], v[41:42], v[61:62], -v[67:68]
	v_fma_f64 v[79:80], v[43:44], v[61:62], v[69:70]
	v_fma_f64 v[81:82], v[49:50], v[61:62], -v[71:72]
	v_fma_f64 v[83:84], v[51:52], v[61:62], v[83:84]
	v_fma_f64 v[101:102], v[53:54], v[61:62], -v[101:102]
	v_fma_f64 v[103:104], v[55:56], v[61:62], v[63:64]
	ds_load_b128 v[69:72], v199 offset:272
	ds_load_b128 v[65:68], v199 offset:288
	;; [unrolled: 1-line block ×3, first 2 shown]
	v_add_co_u32 v2, s18, v223, v178
	s_wait_alu 0xf1ff
	v_add_co_ci_u32_e64 v3, null, 0, v224, s18
	ds_store_b128 v200, v[73:76]
	ds_store_b128 v200, v[77:80] offset:1072
	ds_store_b128 v200, v[81:84] offset:2144
	;; [unrolled: 1-line block ×3, first 2 shown]
	s_wait_dscnt 0x0
	s_barrier_signal -1
	s_barrier_wait -1
	global_inv scope:SCOPE_SE
	ds_load_b128 v[145:148], v201
	ds_load_b128 v[141:144], v201 offset:16
	ds_load_b128 v[137:140], v201 offset:32
	;; [unrolled: 1-line block ×3, first 2 shown]
	s_wait_loadcnt_dscnt 0x0
	s_barrier_signal -1
	s_barrier_wait -1
	global_inv scope:SCOPE_SE
	s_wait_alu 0xfffe
	s_cbranch_vccnz .LBB124_109
; %bb.102:                              ;   in Loop: Header=BB124_77 Depth=2
	v_mov_b32_e32 v73, 0
	v_mov_b32_e32 v77, 0
	;; [unrolled: 1-line block ×3, first 2 shown]
	v_dual_mov_b32 v74, 0 :: v_dual_add_nc_u32 v75, 32, v198
	v_mov_b32_e32 v78, 0
	v_mov_b32_e32 v80, 0
	s_mov_b32 s18, exec_lo
	s_delay_alu instid0(VALU_DEP_3)
	v_cmpx_gt_i32_e64 s63, v75
	s_cbranch_execz .LBB124_104
; %bb.103:                              ;   in Loop: Header=BB124_77 Depth=2
	global_load_b128 v[77:80], v[2:3], off offset:-8
.LBB124_104:                            ;   in Loop: Header=BB124_77 Depth=2
	s_wait_alu 0xfffe
	s_or_b32 exec_lo, exec_lo, s18
	v_mov_b32_e32 v75, 0
	v_dual_mov_b32 v76, 0 :: v_dual_add_nc_u32 v81, 33, v198
	s_mov_b32 s18, exec_lo
	s_delay_alu instid0(VALU_DEP_1)
	v_cmpx_gt_i32_e64 s63, v81
	s_cbranch_execz .LBB124_106
; %bb.105:                              ;   in Loop: Header=BB124_77 Depth=2
	v_add_co_u32 v73, vcc_lo, v219, v178
	s_wait_alu 0xfffd
	v_add_co_ci_u32_e64 v74, null, 0, v220, vcc_lo
	global_load_b128 v[73:76], v[73:74], off
.LBB124_106:                            ;   in Loop: Header=BB124_77 Depth=2
	s_wait_alu 0xfffe
	s_or_b32 exec_lo, exec_lo, s18
	v_mov_b32_e32 v81, 0
	v_mov_b32_e32 v83, 0
	v_dual_mov_b32 v82, 0 :: v_dual_add_nc_u32 v101, 34, v198
	v_mov_b32_e32 v84, 0
	s_mov_b32 s18, exec_lo
	s_delay_alu instid0(VALU_DEP_2)
	v_cmpx_gt_i32_e64 s63, v101
	s_cbranch_execz .LBB124_108
; %bb.107:                              ;   in Loop: Header=BB124_77 Depth=2
	v_add_co_u32 v81, vcc_lo, v215, v178
	s_wait_alu 0xfffd
	v_add_co_ci_u32_e64 v82, null, 0, v216, vcc_lo
	global_load_b128 v[81:84], v[81:82], off
.LBB124_108:                            ;   in Loop: Header=BB124_77 Depth=2
	s_wait_alu 0xfffe
	s_or_b32 exec_lo, exec_lo, s18
	v_add_nc_u32_e32 v101, 35, v198
	s_delay_alu instid0(VALU_DEP_1)
	v_cmp_gt_i32_e64 s18, s63, v101
	s_branch .LBB124_111
.LBB124_109:                            ;   in Loop: Header=BB124_77 Depth=2
	s_mov_b32 s18, 0
                                        ; implicit-def: $vgpr83_vgpr84
                                        ; implicit-def: $vgpr75_vgpr76
                                        ; implicit-def: $vgpr79_vgpr80
	s_cbranch_execz .LBB124_111
; %bb.110:                              ;   in Loop: Header=BB124_77 Depth=2
	s_wait_loadcnt 0x0
	v_add_co_u32 v73, vcc_lo, v219, v178
	s_wait_alu 0xfffd
	v_add_co_ci_u32_e64 v74, null, 0, v220, vcc_lo
	v_add_co_u32 v81, vcc_lo, v215, v178
	s_wait_alu 0xfffd
	v_add_co_ci_u32_e64 v82, null, 0, v216, vcc_lo
	global_load_b128 v[77:80], v[2:3], off offset:-8
	global_load_b128 v[73:76], v[73:74], off
	global_load_b128 v[81:84], v[81:82], off
	s_wait_alu 0xfffe
	s_or_b32 s18, s18, exec_lo
.LBB124_111:                            ;   in Loop: Header=BB124_77 Depth=2
	v_mov_b32_e32 v101, 0
	v_dual_mov_b32 v102, 0 :: v_dual_mov_b32 v103, 0
	v_mov_b32_e32 v104, 0
	s_wait_alu 0xfffe
	s_and_saveexec_b32 s64, s18
	s_cbranch_execz .LBB124_113
; %bb.112:                              ;   in Loop: Header=BB124_77 Depth=2
	v_add_co_u32 v2, vcc_lo, v211, v178
	s_wait_alu 0xfffd
	v_add_co_ci_u32_e64 v3, null, 0, v212, vcc_lo
	global_load_b128 v[101:104], v[2:3], off
.LBB124_113:                            ;   in Loop: Header=BB124_77 Depth=2
	s_wait_alu 0xfffe
	s_or_b32 exec_lo, exec_lo, s64
	ds_load_b128 v[109:112], v179
	ds_load_b128 v[105:108], v199 offset:512
	v_cmp_ne_u32_e32 vcc_lo, 1, v4
	s_and_b32 vcc_lo, exec_lo, vcc_lo
	s_wait_loadcnt_dscnt 0x1
	v_mul_f64_e32 v[2:3], v[79:80], v[111:112]
	v_mul_f64_e32 v[115:116], v[77:78], v[111:112]
	;; [unrolled: 1-line block ×5, first 2 shown]
	v_fma_f64 v[113:114], v[77:78], v[109:110], -v[2:3]
	v_mul_f64_e32 v[2:3], v[81:82], v[111:112]
	v_fma_f64 v[115:116], v[79:80], v[109:110], v[115:116]
	v_fma_f64 v[117:118], v[73:74], v[109:110], -v[117:118]
	v_fma_f64 v[119:120], v[75:76], v[109:110], v[119:120]
	v_fma_f64 v[121:122], v[81:82], v[109:110], -v[121:122]
	ds_store_b128 v200, v[113:116]
	ds_store_b128 v200, v[117:120] offset:1072
	v_fma_f64 v[123:124], v[83:84], v[109:110], v[2:3]
	v_mul_f64_e32 v[2:3], v[103:104], v[111:112]
	v_mul_f64_e32 v[111:112], v[101:102], v[111:112]
	s_delay_alu instid0(VALU_DEP_2) | instskip(NEXT) | instid1(VALU_DEP_2)
	v_fma_f64 v[125:126], v[101:102], v[109:110], -v[2:3]
	v_fma_f64 v[127:128], v[103:104], v[109:110], v[111:112]
	ds_load_b128 v[113:116], v199 offset:528
	ds_load_b128 v[109:112], v199 offset:544
	ds_store_b128 v200, v[121:124] offset:2144
	ds_load_b128 v[117:120], v199 offset:560
	v_add_co_u32 v2, s18, v207, v178
	s_wait_alu 0xf1ff
	v_add_co_ci_u32_e64 v3, null, 0, v208, s18
	ds_store_b128 v200, v[125:128] offset:3216
	s_wait_dscnt 0x0
	s_barrier_signal -1
	s_barrier_wait -1
	global_inv scope:SCOPE_SE
	ds_load_b128 v[169:172], v201
	ds_load_b128 v[165:168], v201 offset:16
	ds_load_b128 v[161:164], v201 offset:32
	;; [unrolled: 1-line block ×3, first 2 shown]
	s_wait_loadcnt_dscnt 0x0
	s_barrier_signal -1
	s_barrier_wait -1
	global_inv scope:SCOPE_SE
	s_wait_alu 0xfffe
	s_cbranch_vccnz .LBB124_121
; %bb.114:                              ;   in Loop: Header=BB124_77 Depth=2
	v_dual_mov_b32 v121, 0 :: v_dual_add_nc_u32 v4, 48, v198
	v_dual_mov_b32 v122, 0 :: v_dual_mov_b32 v125, 0
	v_dual_mov_b32 v126, 0 :: v_dual_mov_b32 v127, 0
	v_mov_b32_e32 v128, 0
	s_mov_b32 s18, exec_lo
	v_cmpx_gt_i32_e64 s63, v4
	s_cbranch_execz .LBB124_116
; %bb.115:                              ;   in Loop: Header=BB124_77 Depth=2
	global_load_b128 v[125:128], v[2:3], off
.LBB124_116:                            ;   in Loop: Header=BB124_77 Depth=2
	s_wait_alu 0xfffe
	s_or_b32 exec_lo, exec_lo, s18
	v_dual_mov_b32 v123, 0 :: v_dual_add_nc_u32 v4, 49, v198
	v_mov_b32_e32 v124, 0
	s_mov_b32 s18, exec_lo
	s_delay_alu instid0(VALU_DEP_2)
	v_cmpx_gt_i32_e64 s63, v4
	s_cbranch_execz .LBB124_118
; %bb.117:                              ;   in Loop: Header=BB124_77 Depth=2
	v_add_co_u32 v121, vcc_lo, v253, v178
	s_wait_alu 0xfffd
	v_add_co_ci_u32_e64 v122, null, 0, v254, vcc_lo
	global_load_b128 v[121:124], v[121:122], off
.LBB124_118:                            ;   in Loop: Header=BB124_77 Depth=2
	s_wait_alu 0xfffe
	s_or_b32 exec_lo, exec_lo, s18
	v_dual_mov_b32 v129, 0 :: v_dual_add_nc_u32 v4, 50, v198
	v_dual_mov_b32 v130, 0 :: v_dual_mov_b32 v131, 0
	v_mov_b32_e32 v132, 0
	s_mov_b32 s18, exec_lo
	s_delay_alu instid0(VALU_DEP_3)
	v_cmpx_gt_i32_e64 s63, v4
	s_cbranch_execz .LBB124_120
; %bb.119:                              ;   in Loop: Header=BB124_77 Depth=2
	v_add_co_u32 v129, vcc_lo, v249, v178
	s_wait_alu 0xfffd
	v_add_co_ci_u32_e64 v130, null, 0, v250, vcc_lo
	global_load_b128 v[129:132], v[129:130], off
.LBB124_120:                            ;   in Loop: Header=BB124_77 Depth=2
	s_wait_alu 0xfffe
	s_or_b32 exec_lo, exec_lo, s18
	v_add_nc_u32_e32 v4, 51, v198
	s_delay_alu instid0(VALU_DEP_1)
	v_cmp_gt_i32_e64 s18, s63, v4
	s_branch .LBB124_123
.LBB124_121:                            ;   in Loop: Header=BB124_77 Depth=2
	s_mov_b32 s18, 0
                                        ; implicit-def: $vgpr131_vgpr132
                                        ; implicit-def: $vgpr123_vgpr124
                                        ; implicit-def: $vgpr127_vgpr128
	s_cbranch_execz .LBB124_123
; %bb.122:                              ;   in Loop: Header=BB124_77 Depth=2
	s_wait_loadcnt 0x0
	v_add_co_u32 v121, vcc_lo, v253, v178
	s_wait_alu 0xfffd
	v_add_co_ci_u32_e64 v122, null, 0, v254, vcc_lo
	v_add_co_u32 v129, vcc_lo, v249, v178
	s_wait_alu 0xfffd
	v_add_co_ci_u32_e64 v130, null, 0, v250, vcc_lo
	global_load_b128 v[125:128], v[2:3], off
	global_load_b128 v[121:124], v[121:122], off
	;; [unrolled: 1-line block ×3, first 2 shown]
	s_wait_alu 0xfffe
	s_or_b32 s18, s18, exec_lo
.LBB124_123:                            ;   in Loop: Header=BB124_77 Depth=2
	v_mov_b32_e32 v149, 0
	v_dual_mov_b32 v150, 0 :: v_dual_mov_b32 v151, 0
	v_mov_b32_e32 v152, 0
	s_wait_alu 0xfffe
	s_and_saveexec_b32 s64, s18
	s_cbranch_execz .LBB124_125
; %bb.124:                              ;   in Loop: Header=BB124_77 Depth=2
	v_add_co_u32 v2, vcc_lo, v245, v178
	s_wait_alu 0xfffd
	v_add_co_ci_u32_e64 v3, null, 0, v246, vcc_lo
	global_load_b128 v[149:152], v[2:3], off
.LBB124_125:                            ;   in Loop: Header=BB124_77 Depth=2
	s_wait_alu 0xfffe
	s_or_b32 exec_lo, exec_lo, s64
	ds_load_b128 v[225:228], v179
	ds_load_b128 v[153:156], v199 offset:768
	v_cmp_gt_i32_e32 vcc_lo, s63, v177
	s_or_b32 s18, s55, vcc_lo
	s_wait_alu 0xfffe
	s_and_b32 s55, s17, s18
	s_wait_loadcnt_dscnt 0x1
	v_mul_f64_e32 v[2:3], v[127:128], v[227:228]
	v_mul_f64_e32 v[180:181], v[125:126], v[227:228]
	;; [unrolled: 1-line block ×4, first 2 shown]
	s_delay_alu instid0(VALU_DEP_4)
	v_fma_f64 v[229:230], v[125:126], v[225:226], -v[2:3]
	v_mul_f64_e32 v[2:3], v[123:124], v[227:228]
	v_fma_f64 v[231:232], v[127:128], v[225:226], v[180:181]
	v_mul_f64_e32 v[180:181], v[121:122], v[227:228]
	v_fma_f64 v[182:183], v[131:132], v[225:226], v[182:183]
	v_fma_f64 v[187:188], v[151:152], v[225:226], v[187:188]
	v_fma_f64 v[233:234], v[121:122], v[225:226], -v[2:3]
	v_mul_f64_e32 v[2:3], v[131:132], v[227:228]
	v_fma_f64 v[235:236], v[123:124], v[225:226], v[180:181]
	s_delay_alu instid0(VALU_DEP_2) | instskip(SKIP_1) | instid1(VALU_DEP_1)
	v_fma_f64 v[180:181], v[129:130], v[225:226], -v[2:3]
	v_mul_f64_e32 v[2:3], v[151:152], v[227:228]
	v_fma_f64 v[185:186], v[149:150], v[225:226], -v[2:3]
	v_add_f64_e32 v[2:3], 0, v[169:170]
	v_add_f64_e32 v[169:170], 0, v[171:172]
	ds_store_b128 v200, v[229:232]
	ds_store_b128 v200, v[233:236] offset:1072
	ds_store_b128 v200, v[180:183] offset:2144
	;; [unrolled: 1-line block ×3, first 2 shown]
	v_add_f64_e32 v[2:3], v[2:3], v[165:166]
	v_add_f64_e32 v[165:166], v[169:170], v[167:168]
	s_delay_alu instid0(VALU_DEP_2) | instskip(NEXT) | instid1(VALU_DEP_2)
	v_add_f64_e32 v[2:3], v[2:3], v[161:162]
	v_add_f64_e32 v[161:162], v[165:166], v[163:164]
	s_delay_alu instid0(VALU_DEP_2) | instskip(SKIP_2) | instid1(VALU_DEP_4)
	v_add_f64_e32 v[157:158], v[2:3], v[157:158]
	v_add_f64_e32 v[2:3], 0, v[97:98]
	;; [unrolled: 1-line block ×4, first 2 shown]
	s_delay_alu instid0(VALU_DEP_3) | instskip(NEXT) | instid1(VALU_DEP_3)
	v_add_f64_e32 v[2:3], v[2:3], v[93:94]
	v_add_f64_e32 v[93:94], v[97:98], v[95:96]
	s_delay_alu instid0(VALU_DEP_2) | instskip(NEXT) | instid1(VALU_DEP_2)
	v_add_f64_e32 v[2:3], v[2:3], v[89:90]
	v_add_f64_e32 v[89:90], v[93:94], v[91:92]
	s_delay_alu instid0(VALU_DEP_2) | instskip(SKIP_2) | instid1(VALU_DEP_4)
	v_add_f64_e32 v[97:98], v[2:3], v[85:86]
	v_add_f64_e32 v[85:86], 0, v[147:148]
	;; [unrolled: 1-line block ×4, first 2 shown]
	s_delay_alu instid0(VALU_DEP_3) | instskip(NEXT) | instid1(VALU_DEP_3)
	v_add_f64_e32 v[85:86], v[85:86], v[143:144]
	v_add_f64_e32 v[2:3], v[2:3], v[141:142]
	s_delay_alu instid0(VALU_DEP_2) | instskip(NEXT) | instid1(VALU_DEP_2)
	v_add_f64_e32 v[85:86], v[85:86], v[139:140]
	v_add_f64_e32 v[2:3], v[2:3], v[137:138]
	s_delay_alu instid0(VALU_DEP_2)
	v_add_f64_e32 v[135:136], v[85:86], v[135:136]
	ds_load_b128 v[93:96], v199 offset:784
	ds_load_b128 v[89:92], v199 offset:800
	ds_load_b128 v[85:88], v199 offset:816
	s_wait_dscnt 0x0
	s_barrier_signal -1
	s_barrier_wait -1
	global_inv scope:SCOPE_SE
	ds_load_b128 v[137:140], v201
	ds_load_b128 v[141:144], v201 offset:16
	v_add_f64_e32 v[133:134], v[2:3], v[133:134]
	s_wait_dscnt 0x1
	v_add_f64_e32 v[2:3], 0, v[137:138]
	v_add_f64_e32 v[137:138], 0, v[139:140]
	s_wait_dscnt 0x0
	s_delay_alu instid0(VALU_DEP_2) | instskip(NEXT) | instid1(VALU_DEP_2)
	v_add_f64_e32 v[2:3], v[2:3], v[141:142]
	v_add_f64_e32 v[145:146], v[137:138], v[143:144]
	ds_load_b128 v[137:140], v201 offset:32
	ds_load_b128 v[141:144], v201 offset:48
	s_wait_loadcnt_dscnt 0x0
	s_barrier_signal -1
	s_barrier_wait -1
	global_inv scope:SCOPE_SE
	ds_store_b128 v239, v[97:100]
	ds_store_b128 v239, v[133:136] offset:256
	ds_store_b128 v239, v[157:160] offset:512
	v_add_f64_e32 v[2:3], v[2:3], v[137:138]
	v_add_f64_e32 v[139:140], v[145:146], v[139:140]
	s_delay_alu instid0(VALU_DEP_2) | instskip(NEXT) | instid1(VALU_DEP_2)
	v_add_f64_e32 v[137:138], v[2:3], v[141:142]
	v_add_f64_e32 v[139:140], v[139:140], v[143:144]
	ds_store_b128 v239, v[137:140] offset:768
	s_wait_loadcnt_dscnt 0x0
	s_barrier_signal -1
	s_barrier_wait -1
	global_inv scope:SCOPE_SE
	s_wait_alu 0xfffe
	s_and_saveexec_b32 s18, s55
	s_cbranch_execz .LBB124_127
; %bb.126:                              ;   in Loop: Header=BB124_77 Depth=2
	ds_load_b128 v[97:100], v202
	ds_load_b128 v[133:136], v202 offset:16
	s_wait_dscnt 0x0
	v_add_f64_e32 v[2:3], v[133:134], v[97:98]
	v_add_f64_e32 v[137:138], v[135:136], v[99:100]
	ds_load_b128 v[97:100], v202 offset:32
	ds_load_b128 v[133:136], v202 offset:48
	s_wait_dscnt 0x1
	v_add_f64_e32 v[2:3], v[2:3], v[97:98]
	v_add_f64_e32 v[97:98], v[137:138], v[99:100]
	s_wait_dscnt 0x0
	s_delay_alu instid0(VALU_DEP_2) | instskip(NEXT) | instid1(VALU_DEP_2)
	v_add_f64_e32 v[2:3], v[2:3], v[133:134]
	v_add_f64_e32 v[137:138], v[97:98], v[135:136]
	ds_load_b128 v[97:100], v202 offset:64
	ds_load_b128 v[133:136], v202 offset:80
	s_wait_dscnt 0x1
	v_add_f64_e32 v[2:3], v[2:3], v[97:98]
	v_add_f64_e32 v[97:98], v[137:138], v[99:100]
	s_wait_dscnt 0x0
	s_delay_alu instid0(VALU_DEP_2) | instskip(NEXT) | instid1(VALU_DEP_2)
	;; [unrolled: 9-line block ×6, first 2 shown]
	v_add_f64_e32 v[2:3], v[2:3], v[133:134]
	v_add_f64_e32 v[137:138], v[97:98], v[135:136]
	ds_load_b128 v[97:100], v202 offset:224
	ds_load_b128 v[133:136], v203
	s_wait_dscnt 0x1
	v_add_f64_e32 v[2:3], v[2:3], v[97:98]
	v_add_f64_e32 v[99:100], v[137:138], v[99:100]
	s_wait_dscnt 0x0
	s_delay_alu instid0(VALU_DEP_2) | instskip(NEXT) | instid1(VALU_DEP_2)
	v_add_f64_e32 v[97:98], v[2:3], v[133:134]
	v_add_f64_e32 v[99:100], v[99:100], v[135:136]
	v_add_nc_u32_e32 v2, s54, v177
	s_delay_alu instid0(VALU_DEP_1) | instskip(NEXT) | instid1(VALU_DEP_1)
	v_ashrrev_i32_e32 v3, 31, v2
	v_lshlrev_b64_e32 v[2:3], 4, v[2:3]
	s_delay_alu instid0(VALU_DEP_1) | instskip(SKIP_1) | instid1(VALU_DEP_2)
	v_add_co_u32 v2, vcc_lo, s52, v2
	s_wait_alu 0xfffd
	v_add_co_ci_u32_e64 v3, null, s53, v3, vcc_lo
	global_store_b128 v[2:3], v[97:100], off
.LBB124_127:                            ;   in Loop: Header=BB124_77 Depth=2
	s_wait_alu 0xfffe
	s_or_b32 exec_lo, exec_lo, s18
	v_mul_f64_e32 v[2:3], v[15:16], v[27:28]
	v_add_co_u32 v243, vcc_lo, v243, s20
	s_wait_alu 0xfffd
	v_add_co_ci_u32_e64 v244, null, s21, v244, vcc_lo
	v_add_co_u32 v245, vcc_lo, v245, s20
	s_wait_alu 0xfffd
	v_add_co_ci_u32_e64 v246, null, s21, v246, vcc_lo
	;; [unrolled: 3-line block ×9, first 2 shown]
	v_add_co_u32 v211, vcc_lo, v211, s20
	v_fma_f64 v[2:3], v[13:14], v[25:26], -v[2:3]
	v_mul_f64_e32 v[13:14], v[13:14], v[27:28]
	v_mul_f64_e32 v[27:28], v[43:44], v[71:72]
	s_wait_alu 0xfffd
	v_add_co_ci_u32_e64 v212, null, s21, v212, vcc_lo
	v_add_co_u32 v213, vcc_lo, v213, s20
	s_wait_alu 0xfffd
	v_add_co_ci_u32_e64 v214, null, s21, v214, vcc_lo
	v_add_co_u32 v215, vcc_lo, v215, s20
	;; [unrolled: 3-line block ×6, first 2 shown]
	s_wait_alu 0xfffd
	v_add_co_ci_u32_e64 v224, null, s21, v224, vcc_lo
	s_add_co_i32 s55, s62, 2
	s_add_co_i32 s18, s62, 1
	s_add_co_i32 s54, s54, 64
	s_wait_alu 0xfffe
	s_cmp_ge_u32 s55, s36
	s_wait_loadcnt 0x0
	s_wait_storecnt 0x0
	s_barrier_signal -1
	s_barrier_wait -1
	global_inv scope:SCOPE_SE
	v_add_f64_e32 v[2:3], v[5:6], v[2:3]
	v_fma_f64 v[13:14], v[15:16], v[25:26], v[13:14]
	v_mul_f64_e32 v[15:16], v[11:12], v[39:40]
	v_mul_f64_e32 v[25:26], v[45:46], v[59:60]
	v_fma_f64 v[27:28], v[41:42], v[69:70], -v[27:28]
	s_delay_alu instid0(VALU_DEP_4) | instskip(NEXT) | instid1(VALU_DEP_4)
	v_add_f64_e32 v[4:5], v[7:8], v[13:14]
	v_fma_f64 v[15:16], v[9:10], v[37:38], -v[15:16]
	v_mul_f64_e32 v[9:10], v[9:10], v[39:40]
	v_fma_f64 v[25:26], v[47:48], v[57:58], v[25:26]
	v_mul_f64_e32 v[39:40], v[79:80], v[107:108]
	s_delay_alu instid0(VALU_DEP_4) | instskip(NEXT) | instid1(VALU_DEP_4)
	v_add_f64_e32 v[2:3], v[2:3], v[15:16]
	v_fma_f64 v[9:10], v[11:12], v[37:38], v[9:10]
	v_mul_f64_e32 v[11:12], v[19:20], v[35:36]
	v_mul_f64_e32 v[37:38], v[53:54], v[63:64]
	v_fma_f64 v[39:40], v[77:78], v[105:106], -v[39:40]
	s_delay_alu instid0(VALU_DEP_4) | instskip(NEXT) | instid1(VALU_DEP_4)
	v_add_f64_e32 v[4:5], v[4:5], v[9:10]
	v_fma_f64 v[11:12], v[17:18], v[33:34], -v[11:12]
	v_mul_f64_e32 v[17:18], v[17:18], v[35:36]
	v_mul_f64_e32 v[35:36], v[55:56], v[63:64]
	v_fma_f64 v[37:38], v[55:56], v[61:62], v[37:38]
	v_mul_f64_e32 v[55:56], v[127:128], v[155:156]
	v_mul_f64_e32 v[63:64], v[131:132], v[91:92]
	v_add_f64_e32 v[2:3], v[2:3], v[11:12]
	v_fma_f64 v[17:18], v[19:20], v[33:34], v[17:18]
	v_mul_f64_e32 v[19:20], v[23:24], v[31:32]
	v_mul_f64_e32 v[33:34], v[49:50], v[67:68]
	v_fma_f64 v[35:36], v[53:54], v[61:62], -v[35:36]
	v_mul_f64_e32 v[53:54], v[101:102], v[119:120]
	v_fma_f64 v[55:56], v[125:126], v[153:154], -v[55:56]
	;; [unrolled: 2-line block ×3, first 2 shown]
	v_add_f64_e32 v[4:5], v[4:5], v[17:18]
	v_fma_f64 v[19:20], v[21:22], v[29:30], -v[19:20]
	v_mul_f64_e32 v[21:22], v[21:22], v[31:32]
	v_mul_f64_e32 v[31:32], v[51:52], v[67:68]
	v_fma_f64 v[33:34], v[51:52], v[65:66], v[33:34]
	v_mul_f64_e32 v[51:52], v[103:104], v[119:120]
	v_fma_f64 v[53:54], v[103:104], v[117:118], v[53:54]
	v_fma_f64 v[61:62], v[123:124], v[93:94], v[61:62]
	v_mul_f64_e32 v[67:68], v[151:152], v[87:88]
	v_add_f64_e32 v[2:3], v[2:3], v[19:20]
	v_fma_f64 v[21:22], v[23:24], v[29:30], v[21:22]
	v_mul_f64_e32 v[23:24], v[47:48], v[59:60]
	v_mul_f64_e32 v[29:30], v[41:42], v[71:72]
	v_fma_f64 v[31:32], v[49:50], v[65:66], -v[31:32]
	v_mul_f64_e32 v[41:42], v[77:78], v[107:108]
	v_mul_f64_e32 v[47:48], v[83:84], v[111:112]
	;; [unrolled: 1-line block ×3, first 2 shown]
	v_fma_f64 v[51:52], v[101:102], v[117:118], -v[51:52]
	v_mul_f64_e32 v[59:60], v[123:124], v[95:96]
	v_mul_f64_e32 v[65:66], v[129:130], v[91:92]
	v_fma_f64 v[67:68], v[149:150], v[85:86], -v[67:68]
	v_add_f64_e32 v[4:5], v[4:5], v[21:22]
	v_fma_f64 v[23:24], v[45:46], v[57:58], -v[23:24]
	v_fma_f64 v[29:30], v[43:44], v[69:70], v[29:30]
	v_mul_f64_e32 v[43:44], v[75:76], v[115:116]
	v_fma_f64 v[41:42], v[79:80], v[105:106], v[41:42]
	v_mul_f64_e32 v[45:46], v[73:74], v[115:116]
	v_fma_f64 v[47:48], v[81:82], v[109:110], -v[47:48]
	v_fma_f64 v[49:50], v[83:84], v[109:110], v[49:50]
	v_mul_f64_e32 v[57:58], v[125:126], v[155:156]
	v_fma_f64 v[59:60], v[121:122], v[93:94], -v[59:60]
	v_fma_f64 v[65:66], v[131:132], v[89:90], v[65:66]
	v_mul_f64_e32 v[69:70], v[149:150], v[87:88]
	v_add_f64_e32 v[4:5], v[4:5], v[25:26]
	v_add_f64_e32 v[2:3], v[2:3], v[23:24]
	v_fma_f64 v[43:44], v[73:74], v[113:114], -v[43:44]
	v_fma_f64 v[45:46], v[75:76], v[113:114], v[45:46]
	v_fma_f64 v[57:58], v[127:128], v[153:154], v[57:58]
	;; [unrolled: 1-line block ×3, first 2 shown]
	v_add_f64_e32 v[4:5], v[4:5], v[29:30]
	v_add_f64_e32 v[2:3], v[2:3], v[27:28]
	s_delay_alu instid0(VALU_DEP_2) | instskip(NEXT) | instid1(VALU_DEP_2)
	v_add_f64_e32 v[4:5], v[4:5], v[33:34]
	v_add_f64_e32 v[2:3], v[2:3], v[31:32]
	s_delay_alu instid0(VALU_DEP_2) | instskip(NEXT) | instid1(VALU_DEP_2)
	;; [unrolled: 3-line block ×10, first 2 shown]
	v_add_f64_e32 v[7:8], v[7:8], v[69:70]
	v_add_f64_e32 v[5:6], v[2:3], v[67:68]
	s_cbranch_scc1 .LBB124_129
; %bb.128:                              ;   in Loop: Header=BB124_77 Depth=2
	s_mov_b32 s62, s18
	s_wait_alu 0xfffe
	s_cmp_eq_u32 s58, s62
	s_cselect_b32 s63, s19, 0
	s_and_saveexec_b32 s18, s0
	s_cbranch_execnz .LBB124_73
	s_branch .LBB124_77
.LBB124_129:                            ;   in Loop: Header=BB124_4 Depth=1
	ds_store_b128 v174, v[5:8]
	s_wait_loadcnt_dscnt 0x0
	s_barrier_signal -1
	s_barrier_wait -1
	global_inv scope:SCOPE_SE
	s_and_saveexec_b32 s18, s59
	s_cbranch_execz .LBB124_2
; %bb.130:                              ;   in Loop: Header=BB124_4 Depth=1
	ds_load_b128 v[2:5], v178 offset:1072
	ds_load_b128 v[6:9], v178
	s_wait_dscnt 0x0
	v_add_f64_e32 v[10:11], v[2:3], v[6:7]
	v_add_f64_e32 v[12:13], v[4:5], v[8:9]
	ds_load_b128 v[2:5], v178 offset:2144
	ds_load_b128 v[6:9], v178 offset:3216
	s_wait_dscnt 0x1
	v_add_f64_e32 v[2:3], v[10:11], v[2:3]
	v_add_f64_e32 v[4:5], v[12:13], v[4:5]
	s_wait_dscnt 0x0
	s_delay_alu instid0(VALU_DEP_2)
	v_add_f64_e32 v[2:3], v[2:3], v[6:7]
	scratch_load_b64 v[6:7], off, off offset:148 ; 8-byte Folded Reload
	v_add_f64_e32 v[4:5], v[4:5], v[8:9]
	s_wait_loadcnt 0x0
	s_wait_alu 0xfffe
	v_add_co_u32 v6, vcc_lo, s52, v6
	s_wait_alu 0xfffd
	v_add_co_ci_u32_e64 v7, null, s53, v7, vcc_lo
	global_store_b128 v[6:7], v[2:5], off
	s_branch .LBB124_2
.LBB124_131:                            ;   in Loop: Header=BB124_4 Depth=1
	ds_load_b128 v[4:7], v189
	s_wait_dscnt 0x0
	ds_store_b128 v173, v[4:7]
	s_wait_alu 0xfffe
	s_or_b32 exec_lo, exec_lo, s18
	s_and_saveexec_b32 s18, s7
	s_cbranch_execz .LBB124_27
.LBB124_132:                            ;   in Loop: Header=BB124_4 Depth=1
	ds_load_b128 v[4:7], v190
	v_add_nc_u32_e32 v8, 16, v173
	s_wait_dscnt 0x0
	ds_store_b128 v8, v[4:7]
	s_wait_alu 0xfffe
	s_or_b32 exec_lo, exec_lo, s18
	s_and_saveexec_b32 s18, s8
	s_cbranch_execz .LBB124_28
.LBB124_133:                            ;   in Loop: Header=BB124_4 Depth=1
	ds_load_b128 v[4:7], v191
	v_add_nc_u32_e32 v8, 32, v173
	s_wait_dscnt 0x0
	ds_store_b128 v8, v[4:7]
	s_wait_alu 0xfffe
	s_or_b32 exec_lo, exec_lo, s18
	s_and_saveexec_b32 s18, s9
	s_cbranch_execnz .LBB124_29
	s_branch .LBB124_30
.LBB124_134:                            ;   in Loop: Header=BB124_4 Depth=1
	ds_load_b128 v[11:14], v189
	s_wait_dscnt 0x0
	ds_store_b128 v196, v[11:14]
	s_wait_alu 0xfffe
	s_or_b32 exec_lo, exec_lo, s18
	s_and_saveexec_b32 s18, s7
	s_cbranch_execz .LBB124_48
.LBB124_135:                            ;   in Loop: Header=BB124_4 Depth=1
	ds_load_b128 v[11:14], v190
	v_add_nc_u32_e32 v2, 16, v196
	s_wait_dscnt 0x0
	ds_store_b128 v2, v[11:14]
	s_wait_alu 0xfffe
	s_or_b32 exec_lo, exec_lo, s18
	s_and_saveexec_b32 s18, s8
	s_cbranch_execz .LBB124_49
.LBB124_136:                            ;   in Loop: Header=BB124_4 Depth=1
	ds_load_b128 v[11:14], v191
	v_add_nc_u32_e32 v2, 32, v196
	s_wait_dscnt 0x0
	ds_store_b128 v2, v[11:14]
	s_wait_alu 0xfffe
	s_or_b32 exec_lo, exec_lo, s18
	s_and_saveexec_b32 s18, s9
	s_cbranch_execnz .LBB124_50
	s_branch .LBB124_51
.LBB124_137:                            ;   in Loop: Header=BB124_4 Depth=1
	global_load_b128 v[9:12], v[7:8], off
	s_wait_loadcnt 0x0
	ds_store_2addr_b64 v184, v[9:10], v[11:12] offset1:1
	s_or_b32 exec_lo, exec_lo, s18
	s_and_saveexec_b32 s18, s3
	s_wait_alu 0xfffe
	s_xor_b32 s18, exec_lo, s18
	s_cbranch_execz .LBB124_16
.LBB124_138:                            ;   in Loop: Header=BB124_4 Depth=1
	v_dual_mov_b32 v2, v1 :: v_dual_mov_b32 v3, v1
	v_mov_b32_e32 v4, v1
	ds_store_b128 v237, v[1:4]
	s_wait_alu 0xfffe
	s_and_not1_saveexec_b32 s18, s18
	s_cbranch_execz .LBB124_17
.LBB124_139:                            ;   in Loop: Header=BB124_4 Depth=1
	v_add_co_u32 v2, vcc_lo, v7, s40
	s_wait_alu 0xfffd
	v_add_co_ci_u32_e64 v3, null, s41, v8, vcc_lo
	global_load_b128 v[9:12], v[2:3], off
	s_wait_loadcnt 0x0
	ds_store_2addr_b64 v237, v[9:10], v[11:12] offset1:1
	s_wait_alu 0xfffe
	s_or_b32 exec_lo, exec_lo, s18
	s_and_saveexec_b32 s18, s4
	s_wait_alu 0xfffe
	s_xor_b32 s18, exec_lo, s18
	s_cbranch_execz .LBB124_18
.LBB124_140:                            ;   in Loop: Header=BB124_4 Depth=1
	v_dual_mov_b32 v2, v1 :: v_dual_mov_b32 v3, v1
	v_mov_b32_e32 v4, v1
	ds_store_b128 v204, v[1:4]
	s_wait_alu 0xfffe
	s_and_not1_saveexec_b32 s18, s18
	s_cbranch_execz .LBB124_19
.LBB124_141:                            ;   in Loop: Header=BB124_4 Depth=1
	v_add_co_u32 v2, vcc_lo, v7, s42
	s_wait_alu 0xfffd
	v_add_co_ci_u32_e64 v3, null, s43, v8, vcc_lo
	global_load_b128 v[9:12], v[2:3], off
	s_wait_loadcnt 0x0
	ds_store_2addr_b64 v204, v[9:10], v[11:12] offset1:1
	s_wait_alu 0xfffe
	s_or_b32 exec_lo, exec_lo, s18
	s_and_saveexec_b32 s18, s5
	s_wait_alu 0xfffe
	s_xor_b32 s18, exec_lo, s18
	s_cbranch_execz .LBB124_20
.LBB124_142:                            ;   in Loop: Header=BB124_4 Depth=1
	v_dual_mov_b32 v2, v1 :: v_dual_mov_b32 v3, v1
	v_mov_b32_e32 v4, v1
	ds_store_b128 v238, v[1:4]
	s_wait_alu 0xfffe
	s_and_not1_saveexec_b32 s18, s18
	s_cbranch_execnz .LBB124_21
	s_branch .LBB124_22
.LBB124_143:                            ;   in Loop: Header=BB124_4 Depth=1
	global_load_b128 v[15:18], v[9:10], off
	s_wait_loadcnt 0x0
	ds_store_2addr_b64 v184, v[15:16], v[17:18] offset1:1
	s_or_b32 exec_lo, exec_lo, s18
	s_and_saveexec_b32 s18, s13
	s_wait_alu 0xfffe
	s_xor_b32 s18, exec_lo, s18
	s_cbranch_execz .LBB124_37
.LBB124_144:                            ;   in Loop: Header=BB124_4 Depth=1
	v_dual_mov_b32 v2, v1 :: v_dual_mov_b32 v3, v1
	v_mov_b32_e32 v4, v1
	ds_store_b128 v237, v[1:4]
	s_wait_alu 0xfffe
	s_and_not1_saveexec_b32 s18, s18
	s_cbranch_execz .LBB124_38
.LBB124_145:                            ;   in Loop: Header=BB124_4 Depth=1
	v_add_co_u32 v2, vcc_lo, v9, s40
	s_wait_alu 0xfffd
	v_add_co_ci_u32_e64 v3, null, s41, v10, vcc_lo
	global_load_b128 v[15:18], v[2:3], off
	s_wait_loadcnt 0x0
	ds_store_2addr_b64 v237, v[15:16], v[17:18] offset1:1
	s_wait_alu 0xfffe
	s_or_b32 exec_lo, exec_lo, s18
	s_and_saveexec_b32 s18, s14
	s_wait_alu 0xfffe
	s_xor_b32 s18, exec_lo, s18
	s_cbranch_execz .LBB124_39
.LBB124_146:                            ;   in Loop: Header=BB124_4 Depth=1
	v_dual_mov_b32 v2, v1 :: v_dual_mov_b32 v3, v1
	v_mov_b32_e32 v4, v1
	ds_store_b128 v204, v[1:4]
	s_wait_alu 0xfffe
	s_and_not1_saveexec_b32 s18, s18
	s_cbranch_execz .LBB124_40
.LBB124_147:                            ;   in Loop: Header=BB124_4 Depth=1
	v_add_co_u32 v2, vcc_lo, v9, s42
	s_wait_alu 0xfffd
	v_add_co_ci_u32_e64 v3, null, s43, v10, vcc_lo
	global_load_b128 v[15:18], v[2:3], off
	s_wait_loadcnt 0x0
	ds_store_2addr_b64 v204, v[15:16], v[17:18] offset1:1
	s_wait_alu 0xfffe
	s_or_b32 exec_lo, exec_lo, s18
	s_and_saveexec_b32 s18, s15
	s_wait_alu 0xfffe
	s_xor_b32 s18, exec_lo, s18
	s_cbranch_execz .LBB124_41
.LBB124_148:                            ;   in Loop: Header=BB124_4 Depth=1
	v_dual_mov_b32 v2, v1 :: v_dual_mov_b32 v3, v1
	v_mov_b32_e32 v4, v1
	ds_store_b128 v238, v[1:4]
	s_wait_alu 0xfffe
	s_and_not1_saveexec_b32 s18, s18
	s_cbranch_execnz .LBB124_42
	s_branch .LBB124_43
.LBB124_149:                            ;   in Loop: Header=BB124_4 Depth=1
	global_load_b128 v[15:18], v[13:14], off
	s_wait_loadcnt 0x0
	ds_store_2addr_b64 v184, v[15:16], v[17:18] offset1:1
	s_or_b32 exec_lo, exec_lo, s18
	s_and_saveexec_b32 s18, s13
	s_wait_alu 0xfffe
	s_xor_b32 s18, exec_lo, s18
	s_cbranch_execz .LBB124_58
.LBB124_150:                            ;   in Loop: Header=BB124_4 Depth=1
	v_dual_mov_b32 v2, v1 :: v_dual_mov_b32 v3, v1
	v_mov_b32_e32 v4, v1
	ds_store_b128 v237, v[1:4]
	s_wait_alu 0xfffe
	s_and_not1_saveexec_b32 s18, s18
	s_cbranch_execz .LBB124_59
.LBB124_151:                            ;   in Loop: Header=BB124_4 Depth=1
	v_add_co_u32 v2, vcc_lo, v13, s40
	s_wait_alu 0xfffd
	v_add_co_ci_u32_e64 v3, null, s41, v14, vcc_lo
	global_load_b128 v[15:18], v[2:3], off
	s_wait_loadcnt 0x0
	ds_store_2addr_b64 v237, v[15:16], v[17:18] offset1:1
	s_wait_alu 0xfffe
	s_or_b32 exec_lo, exec_lo, s18
	s_and_saveexec_b32 s18, s14
	s_wait_alu 0xfffe
	s_xor_b32 s18, exec_lo, s18
	s_cbranch_execz .LBB124_60
.LBB124_152:                            ;   in Loop: Header=BB124_4 Depth=1
	v_dual_mov_b32 v2, v1 :: v_dual_mov_b32 v3, v1
	v_mov_b32_e32 v4, v1
	ds_store_b128 v204, v[1:4]
	s_wait_alu 0xfffe
	s_and_not1_saveexec_b32 s18, s18
	s_cbranch_execz .LBB124_61
.LBB124_153:                            ;   in Loop: Header=BB124_4 Depth=1
	v_add_co_u32 v2, vcc_lo, v13, s42
	s_wait_alu 0xfffd
	v_add_co_ci_u32_e64 v3, null, s43, v14, vcc_lo
	global_load_b128 v[15:18], v[2:3], off
	s_wait_loadcnt 0x0
	ds_store_2addr_b64 v204, v[15:16], v[17:18] offset1:1
	s_wait_alu 0xfffe
	s_or_b32 exec_lo, exec_lo, s18
	s_and_saveexec_b32 s18, s15
	s_wait_alu 0xfffe
	s_xor_b32 s18, exec_lo, s18
	s_cbranch_execz .LBB124_62
.LBB124_154:                            ;   in Loop: Header=BB124_4 Depth=1
	v_dual_mov_b32 v2, v1 :: v_dual_mov_b32 v3, v1
	v_mov_b32_e32 v4, v1
	ds_store_b128 v238, v[1:4]
	s_wait_alu 0xfffe
	s_and_not1_saveexec_b32 s18, s18
	s_cbranch_execnz .LBB124_63
	s_branch .LBB124_64
.LBB124_155:
	s_nop 0
	s_sendmsg sendmsg(MSG_DEALLOC_VGPRS)
	s_endpgm
	.section	.rodata,"a",@progbits
	.p2align	6, 0x0
	.amdhsa_kernel _ZL26rocblas_hemvn_kernel_upperILb0ELi64ELi4ELi33ELi32ELi16El19rocblas_complex_numIdEPKS1_PS1_EviT6_lT7_lT5_lS6_lS7_lS5_lT8_i
		.amdhsa_group_segment_fixed_size 19200
		.amdhsa_private_segment_fixed_size 160
		.amdhsa_kernarg_size 392
		.amdhsa_user_sgpr_count 2
		.amdhsa_user_sgpr_dispatch_ptr 0
		.amdhsa_user_sgpr_queue_ptr 0
		.amdhsa_user_sgpr_kernarg_segment_ptr 1
		.amdhsa_user_sgpr_dispatch_id 0
		.amdhsa_user_sgpr_private_segment_size 0
		.amdhsa_wavefront_size32 1
		.amdhsa_uses_dynamic_stack 0
		.amdhsa_enable_private_segment 1
		.amdhsa_system_sgpr_workgroup_id_x 1
		.amdhsa_system_sgpr_workgroup_id_y 0
		.amdhsa_system_sgpr_workgroup_id_z 1
		.amdhsa_system_sgpr_workgroup_info 0
		.amdhsa_system_vgpr_workitem_id 1
		.amdhsa_next_free_vgpr 256
		.amdhsa_next_free_sgpr 66
		.amdhsa_reserve_vcc 1
		.amdhsa_float_round_mode_32 0
		.amdhsa_float_round_mode_16_64 0
		.amdhsa_float_denorm_mode_32 3
		.amdhsa_float_denorm_mode_16_64 3
		.amdhsa_fp16_overflow 0
		.amdhsa_workgroup_processor_mode 1
		.amdhsa_memory_ordered 1
		.amdhsa_forward_progress 1
		.amdhsa_inst_pref_size 106
		.amdhsa_round_robin_scheduling 0
		.amdhsa_exception_fp_ieee_invalid_op 0
		.amdhsa_exception_fp_denorm_src 0
		.amdhsa_exception_fp_ieee_div_zero 0
		.amdhsa_exception_fp_ieee_overflow 0
		.amdhsa_exception_fp_ieee_underflow 0
		.amdhsa_exception_fp_ieee_inexact 0
		.amdhsa_exception_int_div_zero 0
	.end_amdhsa_kernel
	.section	.text._ZL26rocblas_hemvn_kernel_upperILb0ELi64ELi4ELi33ELi32ELi16El19rocblas_complex_numIdEPKS1_PS1_EviT6_lT7_lT5_lS6_lS7_lS5_lT8_i,"axG",@progbits,_ZL26rocblas_hemvn_kernel_upperILb0ELi64ELi4ELi33ELi32ELi16El19rocblas_complex_numIdEPKS1_PS1_EviT6_lT7_lT5_lS6_lS7_lS5_lT8_i,comdat
.Lfunc_end124:
	.size	_ZL26rocblas_hemvn_kernel_upperILb0ELi64ELi4ELi33ELi32ELi16El19rocblas_complex_numIdEPKS1_PS1_EviT6_lT7_lT5_lS6_lS7_lS5_lT8_i, .Lfunc_end124-_ZL26rocblas_hemvn_kernel_upperILb0ELi64ELi4ELi33ELi32ELi16El19rocblas_complex_numIdEPKS1_PS1_EviT6_lT7_lT5_lS6_lS7_lS5_lT8_i
                                        ; -- End function
	.set _ZL26rocblas_hemvn_kernel_upperILb0ELi64ELi4ELi33ELi32ELi16El19rocblas_complex_numIdEPKS1_PS1_EviT6_lT7_lT5_lS6_lS7_lS5_lT8_i.num_vgpr, 256
	.set _ZL26rocblas_hemvn_kernel_upperILb0ELi64ELi4ELi33ELi32ELi16El19rocblas_complex_numIdEPKS1_PS1_EviT6_lT7_lT5_lS6_lS7_lS5_lT8_i.num_agpr, 0
	.set _ZL26rocblas_hemvn_kernel_upperILb0ELi64ELi4ELi33ELi32ELi16El19rocblas_complex_numIdEPKS1_PS1_EviT6_lT7_lT5_lS6_lS7_lS5_lT8_i.numbered_sgpr, 66
	.set _ZL26rocblas_hemvn_kernel_upperILb0ELi64ELi4ELi33ELi32ELi16El19rocblas_complex_numIdEPKS1_PS1_EviT6_lT7_lT5_lS6_lS7_lS5_lT8_i.num_named_barrier, 0
	.set _ZL26rocblas_hemvn_kernel_upperILb0ELi64ELi4ELi33ELi32ELi16El19rocblas_complex_numIdEPKS1_PS1_EviT6_lT7_lT5_lS6_lS7_lS5_lT8_i.private_seg_size, 160
	.set _ZL26rocblas_hemvn_kernel_upperILb0ELi64ELi4ELi33ELi32ELi16El19rocblas_complex_numIdEPKS1_PS1_EviT6_lT7_lT5_lS6_lS7_lS5_lT8_i.uses_vcc, 1
	.set _ZL26rocblas_hemvn_kernel_upperILb0ELi64ELi4ELi33ELi32ELi16El19rocblas_complex_numIdEPKS1_PS1_EviT6_lT7_lT5_lS6_lS7_lS5_lT8_i.uses_flat_scratch, 1
	.set _ZL26rocblas_hemvn_kernel_upperILb0ELi64ELi4ELi33ELi32ELi16El19rocblas_complex_numIdEPKS1_PS1_EviT6_lT7_lT5_lS6_lS7_lS5_lT8_i.has_dyn_sized_stack, 0
	.set _ZL26rocblas_hemvn_kernel_upperILb0ELi64ELi4ELi33ELi32ELi16El19rocblas_complex_numIdEPKS1_PS1_EviT6_lT7_lT5_lS6_lS7_lS5_lT8_i.has_recursion, 0
	.set _ZL26rocblas_hemvn_kernel_upperILb0ELi64ELi4ELi33ELi32ELi16El19rocblas_complex_numIdEPKS1_PS1_EviT6_lT7_lT5_lS6_lS7_lS5_lT8_i.has_indirect_call, 0
	.section	.AMDGPU.csdata,"",@progbits
; Kernel info:
; codeLenInByte = 13496
; TotalNumSgprs: 68
; NumVgprs: 256
; ScratchSize: 160
; MemoryBound: 1
; FloatMode: 240
; IeeeMode: 1
; LDSByteSize: 19200 bytes/workgroup (compile time only)
; SGPRBlocks: 0
; VGPRBlocks: 31
; NumSGPRsForWavesPerEU: 68
; NumVGPRsForWavesPerEU: 256
; Occupancy: 5
; WaveLimiterHint : 1
; COMPUTE_PGM_RSRC2:SCRATCH_EN: 1
; COMPUTE_PGM_RSRC2:USER_SGPR: 2
; COMPUTE_PGM_RSRC2:TRAP_HANDLER: 0
; COMPUTE_PGM_RSRC2:TGID_X_EN: 1
; COMPUTE_PGM_RSRC2:TGID_Y_EN: 0
; COMPUTE_PGM_RSRC2:TGID_Z_EN: 1
; COMPUTE_PGM_RSRC2:TIDIG_COMP_CNT: 1
	.section	.text._ZL26rocblas_hemvn_kernel_upperILb0ELi64ELi4ELi33ELi32ELi16Ei19rocblas_complex_numIdEPKS1_PS1_EviT6_lT7_lT5_lS6_lS7_lS5_lT8_i,"axG",@progbits,_ZL26rocblas_hemvn_kernel_upperILb0ELi64ELi4ELi33ELi32ELi16Ei19rocblas_complex_numIdEPKS1_PS1_EviT6_lT7_lT5_lS6_lS7_lS5_lT8_i,comdat
	.globl	_ZL26rocblas_hemvn_kernel_upperILb0ELi64ELi4ELi33ELi32ELi16Ei19rocblas_complex_numIdEPKS1_PS1_EviT6_lT7_lT5_lS6_lS7_lS5_lT8_i ; -- Begin function _ZL26rocblas_hemvn_kernel_upperILb0ELi64ELi4ELi33ELi32ELi16Ei19rocblas_complex_numIdEPKS1_PS1_EviT6_lT7_lT5_lS6_lS7_lS5_lT8_i
	.p2align	8
	.type	_ZL26rocblas_hemvn_kernel_upperILb0ELi64ELi4ELi33ELi32ELi16Ei19rocblas_complex_numIdEPKS1_PS1_EviT6_lT7_lT5_lS6_lS7_lS5_lT8_i,@function
_ZL26rocblas_hemvn_kernel_upperILb0ELi64ELi4ELi33ELi32ELi16Ei19rocblas_complex_numIdEPKS1_PS1_EviT6_lT7_lT5_lS6_lS7_lS5_lT8_i: ; @_ZL26rocblas_hemvn_kernel_upperILb0ELi64ELi4ELi33ELi32ELi16Ei19rocblas_complex_numIdEPKS1_PS1_EviT6_lT7_lT5_lS6_lS7_lS5_lT8_i
; %bb.0:
	s_clause 0x1
	s_load_b64 s[2:3], s[0:1], 0x94
	s_load_b32 s19, s[0:1], 0x80
	s_lshr_b32 s24, ttmp7, 16
	s_wait_kmcnt 0x0
	s_lshr_b32 s4, s2, 16
	s_and_b32 s2, s2, 0xffff
	s_and_b32 s3, s3, 0xffff
	s_mul_i32 s2, s4, s2
	s_delay_alu instid0(SALU_CYCLE_1) | instskip(NEXT) | instid1(SALU_CYCLE_1)
	s_mul_i32 s2, s2, s3
	s_cmp_lg_u32 s2, 0x100
	s_cselect_b32 s2, -1, 0
	s_cmp_ge_u32 s24, s19
	s_cselect_b32 s3, -1, 0
	s_delay_alu instid0(SALU_CYCLE_1) | instskip(NEXT) | instid1(SALU_CYCLE_1)
	s_or_b32 s2, s2, s3
	s_and_b32 vcc_lo, exec_lo, s2
	s_cbranch_vccnz .LBB125_155
; %bb.1:
	s_clause 0x5
	s_load_b128 s[8:11], s[0:1], 0x8
	s_load_b32 s12, s[0:1], 0x0
	s_load_b128 s[4:7], s[0:1], 0x20
	s_load_b32 s46, s[0:1], 0x30
	s_load_b128 s[20:23], s[0:1], 0x38
	s_load_b96 s[16:18], s[0:1], 0x48
	v_bfe_u32 v12, v0, 10, 10
	v_and_b32_e32 v173, 0x3ff, v0
	s_add_nc_u64 s[28:29], s[0:1], 0x88
	s_lshl_b32 s40, ttmp9, 6
	v_and_b32_e32 v2, 31, v0
	v_lshlrev_b32_e32 v13, 6, v12
	v_add_nc_u32_e32 v3, s40, v173
	s_load_b64 s[14:15], s[0:1], 0x78
	s_mov_b32 s25, 0
	s_mov_b32 s2, ttmp9
	v_add_nc_u32_e32 v14, v13, v173
	v_lshlrev_b32_e32 v201, 2, v12
	v_lshlrev_b32_e32 v20, 4, v173
	s_wait_kmcnt 0x0
	v_cmp_neq_f64_e64 s3, s[8:9], 0
	v_cmp_neq_f64_e64 s30, s[10:11], 0
	s_clause 0x1
	s_load_b64 s[26:27], s[0:1], 0x58
	s_load_b128 s[8:11], s[0:1], 0x60
	s_load_b32 s28, s[28:29], 0x0
	v_lshrrev_b32_e32 v10, 5, v14
	v_mul_lo_u32 v4, s18, v3
	s_ashr_i32 s13, s12, 31
	s_lshl_b64 s[6:7], s[6:7], 4
	s_lshr_b32 s1, s13, 26
	v_mad_co_u64_u32 v[6:7], null, s46, v10, v[2:3]
	s_add_co_i32 s1, s12, s1
	s_add_nc_u64 s[4:5], s[4:5], s[6:7]
	v_ashrrev_i32_e32 v5, 31, v4
	s_and_not1_b32 s1, s1, 63
	s_ashr_i32 s47, s46, 31
	s_lshl_b64 s[16:17], s[16:17], 4
	s_sub_co_i32 s33, s12, s1
	v_lshlrev_b64_e32 v[4:5], 4, v[4:5]
	v_ashrrev_i32_e32 v7, 31, v6
	s_mov_b32 s29, s25
	v_lshlrev_b32_e32 v16, 2, v10
	s_wait_kmcnt 0x0
	v_cmp_neq_f64_e64 s61, s[10:11], 0
	s_add_co_i32 s6, s28, -1
	s_add_nc_u64 s[10:11], s[22:23], s[16:17]
	s_mul_u64 s[22:23], s[28:29], s[12:13]
	s_wait_alu 0xfffe
	v_add_co_u32 v1, vcc_lo, s10, v4
	v_lshlrev_b64_e32 v[6:7], 4, v[6:7]
	v_cmp_neq_f64_e64 s42, s[8:9], 1.0
	s_mul_i32 s8, s46, s40
	scratch_store_b32 off, v1, off offset:12 ; 4-byte Folded Spill
	v_add_co_ci_u32_e64 v1, null, s11, v5, vcc_lo
	v_or_b32_e32 v19, 1, v16
	v_lshlrev_b32_e32 v18, 6, v10
	v_cmp_gt_u32_e64 s10, 32, v14
	scratch_store_b32 off, v1, off offset:16 ; 4-byte Folded Spill
	v_cmp_gt_u32_e64 s17, 64, v14
	s_or_b32 s43, s3, s30
	s_cmp_eq_u32 ttmp9, s6
	v_add_nc_u32_e32 v5, 8, v10
	s_cselect_b32 s30, s33, 0
	v_add_nc_u32_e32 v11, 16, v10
	s_cmp_lg_u32 s30, 0
	v_cmp_gt_i32_e32 vcc_lo, s30, v173
	s_cselect_b32 s29, -1, 0
	s_cmp_eq_u32 s30, 0
	v_add_nc_u32_e32 v15, 24, v10
	s_cselect_b32 s1, -1, 0
	s_ashr_i32 s41, s40, 31
	s_or_b32 s60, s1, vcc_lo
	s_wait_alu 0xfffe
	s_lshl_b64 s[6:7], s[40:41], 4
	s_ashr_i32 s9, s8, 31
	s_add_nc_u64 s[4:5], s[4:5], s[6:7]
	s_wait_alu 0xfffe
	s_lshl_b64 s[8:9], s[8:9], 4
	v_add_co_u32 v1, vcc_lo, s4, v6
	s_wait_alu 0xfffd
	v_add_co_ci_u32_e64 v4, null, s5, v7, vcc_lo
	s_ashr_i32 s3, ttmp9, 31
	s_wait_alu 0xfffe
	v_add_co_u32 v1, vcc_lo, v1, s8
	s_mul_u64 s[2:3], s[12:13], s[2:3]
	v_cmp_le_i32_e64 s4, s30, v11
	s_lshl_b64 s[2:3], s[2:3], 4
	scratch_store_b32 off, v1, off offset:20 ; 4-byte Folded Spill
	s_wait_alu 0xfffd
	v_add_co_ci_u32_e64 v1, null, s9, v4, vcc_lo
	v_lshlrev_b32_e32 v4, 4, v2
	s_add_nc_u64 s[34:35], s[14:15], s[2:3]
	s_sub_co_i32 s15, s30, 32
	v_cmp_le_i32_e64 s3, s30, v5
	v_cmp_le_i32_e64 s12, s15, v10
	v_mad_u32_u24 v251, 0x210, v10, v4
	v_lshl_or_b32 v17, v2, 9, v4
	v_mad_u32_u24 v182, 0x840, v10, v4
	v_mad_u32_u24 v209, 0x210, v19, v4
	v_mul_u32_u24_e32 v4, 33, v2
	v_cmp_le_i32_e64 s13, s15, v5
	v_add_nc_u32_e32 v17, v17, v18
	v_cmp_le_i32_e64 s14, s15, v11
	v_cmp_eq_u32_e64 s16, 1, v10
	v_lshlrev_b32_e32 v196, 4, v4
	v_or_b32_e32 v4, 32, v2
	scratch_store_b32 off, v17, off         ; 4-byte Folded Spill
	v_or_b32_e32 v17, 2, v16
	v_mul_i32_i24_e32 v5, 0xffffffd0, v10
	v_cmp_le_i32_e64 s5, s30, v15
	v_cmp_gt_i32_e64 s11, s30, v4
	v_lshrrev_b32_e32 v4, 4, v14
	v_add_nc_u32_e32 v14, 64, v3
	scratch_store_b32 off, v1, off offset:24 ; 4-byte Folded Spill
	v_mov_b32_e32 v1, 0
	v_cmp_gt_u32_e64 s8, v17, v2
	v_lshlrev_b32_e32 v17, 4, v10
	v_sub_co_u32 v8, s2, 0, v2
	v_cmp_gt_u32_e64 s6, v16, v2
	v_cmp_ge_u32_e64 s7, v16, v2
	v_or_b32_e32 v16, 3, v16
	v_sub_co_ci_u32_e64 v9, null, 0, 0, s2
	v_cmp_le_i32_e64 s2, s30, v10
	v_mad_co_u64_u32 v[10:11], null, s46, v201, v[173:174]
	v_add_nc_u32_e32 v195, v196, v17
	v_cmp_le_i32_e64 s15, s15, v15
	v_add_nc_u32_e32 v202, 0x4700, v17
	v_and_b32_e32 v15, 15, v0
	v_lshlrev_b32_e32 v17, 6, v4
	v_cmp_gt_u32_e64 s9, v16, v2
	v_and_b32_e32 v16, 48, v0
	v_cmp_eq_u32_e64 s0, 0, v12
	v_mad_u32_u24 v204, 0x10c0, v12, v20
	v_mad_u32_u24 v205, 0x430, v15, v17
	v_mul_i32_i24_e32 v17, 0xffffffd0, v4
	v_mad_u32_u24 v4, 0x430, v12, v20
	v_cndmask_b32_e64 v12, 0, 1, s43
	v_ashrrev_i32_e32 v11, 31, v10
	v_add_nc_u32_e32 v0, 0x4300, v13
	v_lshlrev_b32_e32 v13, 4, v16
	s_lshl_b32 s44, s46, 5
	s_clause 0x1
	scratch_store_b32 off, v4, off offset:28
	scratch_store_b32 off, v12, off offset:4
	s_ashr_i32 s45, s44, 31
	v_add_co_u32 v12, vcc_lo, s44, v10
	v_mad_u32_u24 v206, 0x430, v15, v13
	s_wait_alu 0xfffd
	v_add_co_ci_u32_e64 v13, null, s45, v11, vcc_lo
	s_lshl_b32 s36, s46, 3
	s_lshl_b32 s48, s46, 4
	s_mul_i32 s38, s46, 24
	s_mul_i32 s40, s18, s40
	s_add_co_i32 s64, ttmp9, 1
	v_lshlrev_b64_e32 v[10:11], 4, v[10:11]
	s_xor_b32 s56, s60, -1
	s_ashr_i32 s31, s30, 31
	s_ashr_i32 s37, s36, 31
	;; [unrolled: 1-line block ×4, first 2 shown]
	s_wait_alu 0xfffe
	s_ashr_i32 s41, s40, 31
	s_cmp_lt_u32 s64, s28
	v_lshlrev_b64_e32 v[12:13], 4, v[12:13]
	v_or_b32_e32 v16, 0xf0, v20
	s_cselect_b32 s57, -1, 0
	v_sub_co_u32 v211, vcc_lo, 0, v6
	s_lshl_b64 s[44:45], s[44:45], 4
	s_wait_alu 0xfffd
	v_sub_co_ci_u32_e64 v212, null, 0, v7, vcc_lo
	s_wait_alu 0xfffe
	v_add_co_u32 v6, vcc_lo, s44, v10
	v_mad_u32_u24 v207, 0x430, v15, v16
	s_wait_alu 0xfffd
	v_add_co_ci_u32_e64 v7, null, s45, v11, vcc_lo
	scratch_store_b32 off, v14, off offset:36 ; 4-byte Folded Spill
	v_mad_co_i64_i32 v[14:15], null, s48, 48, v[12:13]
	s_mul_i32 s54, s46, 3
	v_or_b32_e32 v6, 8, v6
	s_ashr_i32 s55, s54, 31
	scratch_store_b32 off, v7, off offset:48 ; 4-byte Folded Spill
	s_lshl_b64 s[54:55], s[54:55], 4
	s_lshl_b32 s52, s46, 1
	scratch_store_b32 off, v6, off offset:52 ; 4-byte Folded Spill
	v_add_co_u32 v6, vcc_lo, v14, s54
	s_or_b32 s76, s43, s42
	s_lshl_b64 s[42:43], s[46:47], 7
	s_lshl_b64 s[62:63], s[46:47], 4
	scratch_store_b32 off, v6, off offset:56 ; 4-byte Folded Spill
	s_wait_alu 0xfffd
	v_add_co_ci_u32_e64 v6, null, s55, v15, vcc_lo
	s_lshl_b64 s[46:47], s[46:47], 5
	s_mul_i32 s77, s18, s64
	s_wait_alu 0xfffe
	s_add_nc_u64 s[66:67], s[46:47], s[44:45]
	scratch_store_b32 off, v6, off offset:60 ; 4-byte Folded Spill
	v_add_co_u32 v6, vcc_lo, s66, v10
	s_mul_u64 s[64:65], s[48:49], 48
	s_ashr_i32 s53, s52, 31
	s_add_nc_u64 s[46:47], s[64:65], s[46:47]
	scratch_store_b32 off, v6, off offset:64 ; 4-byte Folded Spill
	s_wait_alu 0xfffd
	v_add_co_ci_u32_e64 v6, null, s67, v11, vcc_lo
	s_add_nc_u64 s[64:65], s[62:63], s[44:45]
	s_lshl_b64 s[52:53], s[52:53], 4
	s_lshl_b32 s59, s18, 6
	scratch_store_b32 off, v6, off offset:68 ; 4-byte Folded Spill
	s_wait_alu 0xfffe
	v_add_co_u32 v6, vcc_lo, s46, v12
	s_wait_alu 0xfffd
	v_add_co_ci_u32_e64 v7, null, s47, v13, vcc_lo
	s_add_nc_u64 s[46:47], s[44:45], s[52:53]
	v_or_b32_e32 v6, 8, v6
	v_add_nc_u32_e32 v208, v196, v18
	scratch_store_b32 off, v7, off offset:72 ; 4-byte Folded Spill
	v_add_co_u32 v7, vcc_lo, s64, v10
	scratch_store_b32 off, v6, off offset:76 ; 4-byte Folded Spill
	s_wait_alu 0xfffd
	v_add_co_ci_u32_e64 v6, null, s65, v11, vcc_lo
	v_ashrrev_i32_e32 v4, 31, v3
	v_cmp_gt_i32_e64 s1, s30, v2
	v_add_nc_u32_e32 v5, v208, v5
	scratch_store_b32 off, v6, off offset:80 ; 4-byte Folded Spill
	v_or_b32_e32 v6, 8, v7
	v_add_co_u32 v7, s18, v14, s52
	v_lshlrev_b32_e32 v2, 4, v2
	v_lshlrev_b64_e32 v[3:4], 4, v[3:4]
	scratch_store_b32 off, v6, off offset:84 ; 4-byte Folded Spill
	s_wait_alu 0xfffe
	v_add_co_u32 v6, vcc_lo, s46, v10
	s_lshl_b64 s[70:71], s[48:49], 5
	v_lshlrev_b64_e32 v[178:179], 4, v[8:9]
	s_add_nc_u64 s[72:73], s[70:71], s[44:45]
	v_or_b32_e32 v6, 8, v6
	scratch_store_b32 off, v7, off offset:88 ; 4-byte Folded Spill
	v_add_co_ci_u32_e64 v7, null, s53, v15, s18
	s_add_nc_u64 s[74:75], s[72:73], s[54:55]
	scratch_store_b32 off, v6, off offset:100 ; 4-byte Folded Spill
	v_add_nc_u32_e32 v183, 0x4700, v20
	scratch_store_b32 off, v7, off offset:92 ; 4-byte Folded Spill
	s_wait_alu 0xfffd
	v_add_co_ci_u32_e64 v7, null, s47, v11, vcc_lo
	s_add_nc_u64 s[46:47], s[44:45], s[54:55]
	v_add_nc_u32_e32 v253, 0x4700, v18
	s_wait_alu 0xfffe
	v_add_co_u32 v6, vcc_lo, s46, v10
	scratch_store_b32 off, v7, off offset:96 ; 4-byte Folded Spill
	v_add_co_u32 v7, s18, v14, s62
	s_clause 0x1
	scratch_store_b32 off, v7, off offset:104
	scratch_store_b64 off, v[14:15], off offset:40
	s_wait_alu 0xf1ff
	v_add_co_ci_u32_e64 v7, null, s63, v15, s18
	v_or_b32_e32 v6, 8, v6
	v_add_nc_u32_e32 v203, 0x4300, v20
	v_add_nc_u32_e32 v252, v205, v17
	s_clause 0x4
	scratch_store_b32 off, v7, off offset:108
	scratch_store_b32 off, v5, off offset:32
	;; [unrolled: 1-line block ×3, first 2 shown]
	scratch_store_b64 off, v[3:4], off offset:200
	scratch_store_b32 off, v2, off offset:8
	s_wait_alu 0xfffd
	v_add_co_ci_u32_e64 v7, null, s47, v11, vcc_lo
	s_lshl_b64 s[46:47], s[48:49], 4
	s_sub_nc_u64 s[50:51], 0, s[40:41]
	s_wait_alu 0xfffe
	s_add_nc_u64 s[68:69], s[44:45], s[46:47]
	s_add_nc_u64 s[64:65], s[64:65], s[46:47]
	v_add_co_u32 v6, vcc_lo, s68, v10
	s_add_co_i32 s58, s28, -2
	s_and_b32 s60, s0, s60
	s_sub_nc_u64 s[40:41], 0, s[30:31]
	v_or_b32_e32 v6, 8, v6
	scratch_store_b32 off, v7, off offset:112 ; 4-byte Folded Spill
	s_wait_alu 0xfffd
	v_add_co_ci_u32_e64 v7, null, s69, v11, vcc_lo
	s_or_b32 s61, s76, s61
	scratch_store_b32 off, v6, off offset:124 ; 4-byte Folded Spill
	s_wait_alu 0xfffe
	v_add_co_u32 v6, vcc_lo, s64, v10
	s_lshl_b64 s[48:49], s[48:49], 6
	s_lshl_b64 s[50:51], s[50:51], 4
	v_or_b32_e32 v6, 8, v6
	scratch_store_b32 off, v7, off offset:120 ; 4-byte Folded Spill
	v_add_co_u32 v7, s18, s74, v10
	s_clause 0x1
	scratch_store_b32 off, v6, off offset:140
	scratch_store_b32 off, v7, off offset:128
	s_wait_alu 0xf1ff
	v_add_co_ci_u32_e64 v7, null, s75, v11, s18
	scratch_store_b32 off, v7, off offset:132 ; 4-byte Folded Spill
	s_wait_alu 0xfffd
	v_add_co_ci_u32_e64 v7, null, s65, v11, vcc_lo
	s_add_nc_u64 s[64:65], s[66:67], s[70:71]
	s_add_nc_u64 s[70:71], s[68:69], s[52:53]
	s_wait_alu 0xfffe
	v_add_co_u32 v6, vcc_lo, s64, v10
	s_wait_alu 0xfffd
	v_add_co_ci_u32_e64 v12, null, s65, v11, vcc_lo
	scratch_store_b32 off, v7, off offset:136 ; 4-byte Folded Spill
	v_or_b32_e32 v6, 8, v6
	v_add_co_u32 v7, s18, s70, v10
	scratch_store_b32 off, v12, off offset:144 ; 4-byte Folded Spill
	s_add_nc_u64 s[52:53], s[72:73], s[52:53]
	scratch_store_b32 off, v6, off offset:148 ; 4-byte Folded Spill
	v_add_co_ci_u32_e64 v6, null, s71, v11, s18
	scratch_store_b32 off, v6, off offset:152 ; 4-byte Folded Spill
	v_or_b32_e32 v6, 8, v7
	v_add_co_u32 v7, s18, s72, v10
	scratch_store_b32 off, v6, off offset:156 ; 4-byte Folded Spill
	s_wait_alu 0xfffe
	v_add_co_u32 v6, vcc_lo, s52, v10
	scratch_store_b32 off, v6, off offset:160 ; 4-byte Folded Spill
	s_wait_alu 0xfffd
	v_add_co_ci_u32_e64 v6, null, s53, v11, vcc_lo
	s_add_nc_u64 s[52:53], s[66:67], s[46:47]
	scratch_store_b32 off, v6, off offset:164 ; 4-byte Folded Spill
	s_wait_alu 0xfffe
	v_add_co_u32 v6, vcc_lo, s52, v10
	scratch_store_b32 off, v6, off offset:168 ; 4-byte Folded Spill
	s_wait_alu 0xfffd
	v_add_co_ci_u32_e64 v6, null, s53, v11, vcc_lo
	s_add_nc_u64 s[52:53], s[72:73], s[62:63]
	s_lshl_b32 s62, s77, 6
	scratch_store_b32 off, v6, off offset:172 ; 4-byte Folded Spill
	s_wait_alu 0xfffe
	v_add_co_u32 v6, vcc_lo, s52, v10
	scratch_store_b32 off, v6, off offset:176 ; 4-byte Folded Spill
	s_wait_alu 0xfffd
	v_add_co_ci_u32_e64 v6, null, s53, v11, vcc_lo
	s_add_nc_u64 s[52:53], s[68:69], s[54:55]
	scratch_store_b32 off, v6, off offset:180 ; 4-byte Folded Spill
	s_wait_alu 0xfffe
	v_add_co_u32 v6, vcc_lo, s52, v10
	s_wait_alu 0xfffd
	v_add_co_ci_u32_e64 v10, null, s53, v11, vcc_lo
	s_delay_alu instid0(VALU_DEP_2)
	v_or_b32_e32 v6, 8, v6
	s_clause 0x1
	scratch_store_b32 off, v10, off offset:184
	scratch_store_b32 off, v6, off offset:188
	v_add_co_ci_u32_e64 v6, null, s73, v11, s18
	scratch_store_b32 off, v6, off offset:192 ; 4-byte Folded Spill
	v_or_b32_e32 v6, 8, v7
	scratch_store_b32 off, v6, off offset:196 ; 4-byte Folded Spill
	s_branch .LBB125_4
.LBB125_2:                              ;   in Loop: Header=BB125_4 Depth=1
	s_wait_alu 0xfffe
	s_or_b32 exec_lo, exec_lo, s18
.LBB125_3:                              ;   in Loop: Header=BB125_4 Depth=1
	s_add_co_i32 s24, s24, 0x10000
	s_delay_alu instid0(SALU_CYCLE_1)
	s_cmp_lt_u32 s24, s19
	s_cbranch_scc0 .LBB125_155
.LBB125_4:                              ; =>This Loop Header: Depth=1
                                        ;     Child Loop BB125_77 Depth 2
	s_and_not1_b32 vcc_lo, exec_lo, s61
	s_wait_alu 0xfffe
	s_cbranch_vccnz .LBB125_3
; %bb.5:                                ;   in Loop: Header=BB125_4 Depth=1
	scratch_load_b32 v2, off, off offset:4  ; 4-byte Folded Reload
	s_wait_loadcnt 0x0
	v_cmp_ne_u32_e32 vcc_lo, 1, v2
	s_cbranch_vccnz .LBB125_3
; %bb.6:                                ;   in Loop: Header=BB125_4 Depth=1
	scratch_load_b32 v2, off, off offset:12 ; 4-byte Folded Reload
	s_mul_u64 s[52:53], s[26:27], s[24:25]
	s_wait_alu 0xfffe
	s_lshl_b64 s[52:53], s[52:53], 4
	s_wait_loadcnt 0x0
	s_wait_alu 0xfffe
	v_add_co_u32 v41, vcc_lo, v2, s52
	scratch_load_b32 v2, off, off offset:16 ; 4-byte Folded Reload
	s_wait_loadcnt 0x0
	s_wait_alu 0xfffd
	v_add_co_ci_u32_e64 v42, null, s53, v2, vcc_lo
	s_and_saveexec_b32 s18, s0
	s_cbranch_execz .LBB125_11
; %bb.7:                                ;   in Loop: Header=BB125_4 Depth=1
	s_and_saveexec_b32 s52, s56
	s_wait_alu 0xfffe
	s_xor_b32 s52, exec_lo, s52
; %bb.8:                                ;   in Loop: Header=BB125_4 Depth=1
	v_dual_mov_b32 v2, v1 :: v_dual_mov_b32 v3, v1
	v_mov_b32_e32 v4, v1
	ds_store_b128 v183, v[1:4]
; %bb.9:                                ;   in Loop: Header=BB125_4 Depth=1
	s_wait_alu 0xfffe
	s_and_not1_saveexec_b32 s52, s52
	s_cbranch_execz .LBB125_11
; %bb.10:                               ;   in Loop: Header=BB125_4 Depth=1
	global_load_b128 v[2:5], v[41:42], off
	s_wait_loadcnt 0x0
	ds_store_2addr_b64 v183, v[2:3], v[4:5] offset1:1
.LBB125_11:                             ;   in Loop: Header=BB125_4 Depth=1
	s_wait_alu 0xfffe
	s_or_b32 exec_lo, exec_lo, s18
	scratch_load_b32 v2, off, off offset:20 ; 4-byte Folded Reload
	s_mul_u64 s[52:53], s[20:21], s[24:25]
	s_mov_b32 s18, -1
	s_wait_alu 0xfffe
	s_lshl_b64 s[52:53], s[52:53], 4
	s_wait_loadcnt 0x0
	s_wait_alu 0xfffe
	v_add_co_u32 v5, vcc_lo, v2, s52
	scratch_load_b32 v2, off, off offset:24 ; 4-byte Folded Reload
	s_wait_loadcnt 0x0
	s_wait_alu 0xfffd
	v_add_co_ci_u32_e64 v6, null, s53, v2, vcc_lo
	s_and_b32 vcc_lo, exec_lo, s29
                                        ; implicit-def: $vgpr2_vgpr3
	s_wait_alu 0xfffe
	s_cbranch_vccz .LBB125_23
; %bb.12:                               ;   in Loop: Header=BB125_4 Depth=1
	s_and_saveexec_b32 s18, s2
	s_wait_alu 0xfffe
	s_xor_b32 s18, exec_lo, s18
; %bb.13:                               ;   in Loop: Header=BB125_4 Depth=1
	v_dual_mov_b32 v2, v1 :: v_dual_mov_b32 v3, v1
	v_mov_b32_e32 v4, v1
	ds_store_b128 v251, v[1:4]
; %bb.14:                               ;   in Loop: Header=BB125_4 Depth=1
	s_wait_alu 0xfffe
	s_or_saveexec_b32 s18, s18
	v_add_co_u32 v2, vcc_lo, v5, v178
	s_wait_alu 0xfffd
	v_add_co_ci_u32_e64 v3, null, v6, v179, vcc_lo
	s_lshl_b64 s[52:53], s[30:31], 4
	s_wait_alu 0xfffe
	v_add_co_u32 v2, vcc_lo, v2, s52
	s_wait_alu 0xfffd
	v_add_co_ci_u32_e64 v3, null, s53, v3, vcc_lo
	s_delay_alu instid0(VALU_DEP_2) | instskip(SKIP_1) | instid1(VALU_DEP_2)
	v_add_co_u32 v2, vcc_lo, v2, -16
	s_wait_alu 0xfffd
	v_add_co_ci_u32_e64 v3, null, -1, v3, vcc_lo
	s_delay_alu instid0(VALU_DEP_2) | instskip(NEXT) | instid1(VALU_DEP_2)
	v_cndmask_b32_e64 v7, v2, v5, s1
	v_cndmask_b32_e64 v8, v3, v6, s1
	s_xor_b32 exec_lo, exec_lo, s18
	s_cbranch_execnz .LBB125_137
; %bb.15:                               ;   in Loop: Header=BB125_4 Depth=1
	s_or_b32 exec_lo, exec_lo, s18
	s_and_saveexec_b32 s18, s3
	s_wait_alu 0xfffe
	s_xor_b32 s18, exec_lo, s18
	s_cbranch_execnz .LBB125_138
.LBB125_16:                             ;   in Loop: Header=BB125_4 Depth=1
	s_wait_alu 0xfffe
	s_and_not1_saveexec_b32 s18, s18
	s_cbranch_execnz .LBB125_139
.LBB125_17:                             ;   in Loop: Header=BB125_4 Depth=1
	s_wait_alu 0xfffe
	s_or_b32 exec_lo, exec_lo, s18
	s_and_saveexec_b32 s18, s4
	s_wait_alu 0xfffe
	s_xor_b32 s18, exec_lo, s18
	s_cbranch_execnz .LBB125_140
.LBB125_18:                             ;   in Loop: Header=BB125_4 Depth=1
	s_wait_alu 0xfffe
	s_and_not1_saveexec_b32 s18, s18
	s_cbranch_execnz .LBB125_141
.LBB125_19:                             ;   in Loop: Header=BB125_4 Depth=1
	s_wait_alu 0xfffe
	s_or_b32 exec_lo, exec_lo, s18
	s_and_saveexec_b32 s18, s5
	s_wait_alu 0xfffe
	s_xor_b32 s18, exec_lo, s18
	s_cbranch_execnz .LBB125_142
.LBB125_20:                             ;   in Loop: Header=BB125_4 Depth=1
	s_wait_alu 0xfffe
	s_and_not1_saveexec_b32 s18, s18
	s_cbranch_execz .LBB125_22
.LBB125_21:                             ;   in Loop: Header=BB125_4 Depth=1
	s_lshl_b64 s[52:53], s[38:39], 4
	s_wait_alu 0xfffe
	v_add_co_u32 v2, vcc_lo, v7, s52
	s_wait_alu 0xfffd
	v_add_co_ci_u32_e64 v3, null, s53, v8, vcc_lo
	global_load_b128 v[9:12], v[2:3], off
	v_add_nc_u32_e32 v2, 0x3180, v251
	s_wait_loadcnt 0x0
	ds_store_2addr_b64 v2, v[9:10], v[11:12] offset1:1
.LBB125_22:                             ;   in Loop: Header=BB125_4 Depth=1
	s_wait_alu 0xfffe
	s_or_b32 exec_lo, exec_lo, s18
	scratch_load_b32 v2, off, off offset:8  ; 4-byte Folded Reload
	s_lshl_b64 s[52:53], s[40:41], 4
	s_mov_b32 s18, 0
	s_wait_loadcnt 0x0
	v_add_co_u32 v2, vcc_lo, v7, v2
	s_wait_alu 0xfffd
	v_add_co_ci_u32_e64 v3, null, 0, v8, vcc_lo
	s_wait_alu 0xfffe
	s_delay_alu instid0(VALU_DEP_2) | instskip(SKIP_1) | instid1(VALU_DEP_2)
	v_add_co_u32 v2, vcc_lo, v2, s52
	s_wait_alu 0xfffd
	v_add_co_ci_u32_e64 v3, null, s53, v3, vcc_lo
	s_delay_alu instid0(VALU_DEP_2) | instskip(SKIP_1) | instid1(VALU_DEP_2)
	v_add_co_u32 v2, vcc_lo, v2, 16
	s_wait_alu 0xfffd
	v_add_co_ci_u32_e64 v3, null, 0, v3, vcc_lo
	s_delay_alu instid0(VALU_DEP_2) | instskip(NEXT) | instid1(VALU_DEP_2)
	v_cndmask_b32_e64 v2, v2, v5, s1
	v_cndmask_b32_e64 v3, v3, v6, s1
.LBB125_23:                             ;   in Loop: Header=BB125_4 Depth=1
	s_and_b32 vcc_lo, exec_lo, s18
	s_wait_alu 0xfffe
	s_cbranch_vccz .LBB125_25
; %bb.24:                               ;   in Loop: Header=BB125_4 Depth=1
	s_lshl_b64 s[52:53], s[36:37], 4
	v_add_nc_u32_e32 v4, 0x1080, v251
	s_wait_alu 0xfffe
	v_add_co_u32 v2, vcc_lo, v5, s52
	s_wait_alu 0xfffd
	v_add_co_ci_u32_e64 v3, null, s53, v6, vcc_lo
	s_delay_alu instid0(VALU_DEP_2) | instskip(SKIP_1) | instid1(VALU_DEP_2)
	v_add_co_u32 v15, vcc_lo, v2, s42
	s_wait_alu 0xfffd
	v_add_co_ci_u32_e64 v16, null, s43, v3, vcc_lo
	s_delay_alu instid0(VALU_DEP_2) | instskip(SKIP_1) | instid1(VALU_DEP_2)
	v_add_co_u32 v19, vcc_lo, v15, s42
	s_wait_alu 0xfffd
	v_add_co_ci_u32_e64 v20, null, s43, v16, vcc_lo
	s_clause 0x3
	global_load_b128 v[7:10], v[5:6], off
	global_load_b128 v[11:14], v[2:3], off
	global_load_b128 v[15:18], v[15:16], off
	global_load_b128 v[19:22], v[19:20], off
	v_dual_mov_b32 v2, v5 :: v_dual_mov_b32 v3, v6
	s_wait_loadcnt 0x3
	ds_store_2addr_b64 v251, v[7:8], v[9:10] offset1:1
	s_wait_loadcnt 0x2
	ds_store_2addr_b64 v4, v[11:12], v[13:14] offset1:1
	v_add_nc_u32_e32 v4, 0x2100, v251
	s_wait_loadcnt 0x1
	ds_store_2addr_b64 v4, v[15:16], v[17:18] offset1:1
	v_add_nc_u32_e32 v4, 0x3180, v251
	s_wait_loadcnt 0x0
	ds_store_2addr_b64 v4, v[19:20], v[21:22] offset1:1
.LBB125_25:                             ;   in Loop: Header=BB125_4 Depth=1
	s_wait_storecnt_dscnt 0x0
	s_barrier_signal -1
	s_barrier_wait -1
	global_inv scope:SCOPE_SE
	s_and_saveexec_b32 s18, s6
	s_cbranch_execnz .LBB125_131
; %bb.26:                               ;   in Loop: Header=BB125_4 Depth=1
	s_wait_alu 0xfffe
	s_or_b32 exec_lo, exec_lo, s18
	s_and_saveexec_b32 s18, s7
	s_cbranch_execnz .LBB125_132
.LBB125_27:                             ;   in Loop: Header=BB125_4 Depth=1
	s_wait_alu 0xfffe
	s_or_b32 exec_lo, exec_lo, s18
	s_and_saveexec_b32 s18, s8
	s_cbranch_execnz .LBB125_133
.LBB125_28:                             ;   in Loop: Header=BB125_4 Depth=1
	s_wait_alu 0xfffe
	s_or_b32 exec_lo, exec_lo, s18
	s_and_saveexec_b32 s18, s9
	s_cbranch_execz .LBB125_30
.LBB125_29:                             ;   in Loop: Header=BB125_4 Depth=1
	scratch_load_b32 v8, off, off           ; 4-byte Folded Reload
	v_add_nc_u32_e32 v4, 0x420, v209
	ds_load_b128 v[4:7], v4
	s_wait_loadcnt 0x0
	v_add_nc_u32_e32 v8, 48, v8
	s_wait_dscnt 0x0
	ds_store_b128 v8, v[4:7]
.LBB125_30:                             ;   in Loop: Header=BB125_4 Depth=1
	s_wait_alu 0xfffe
	s_or_b32 exec_lo, exec_lo, s18
	s_wait_loadcnt_dscnt 0x0
	s_barrier_signal -1
	s_barrier_wait -1
	global_inv scope:SCOPE_SE
	ds_load_b128 v[4:7], v182
	ds_load_b128 v[8:11], v253
	ds_load_b128 v[12:15], v253 offset:16
	ds_load_b128 v[16:19], v209
	v_add_nc_u32_e32 v22, 0x420, v209
	s_wait_dscnt 0x2
	v_mul_f64_e32 v[20:21], v[10:11], v[6:7]
	v_mul_f64_e32 v[6:7], v[8:9], v[6:7]
	s_wait_dscnt 0x0
	v_mul_f64_e32 v[26:27], v[14:15], v[18:19]
	v_mul_f64_e32 v[28:29], v[12:13], v[18:19]
	s_delay_alu instid0(VALU_DEP_4) | instskip(NEXT) | instid1(VALU_DEP_4)
	v_fma_f64 v[30:31], v[8:9], v[4:5], -v[20:21]
	v_fma_f64 v[32:33], v[10:11], v[4:5], v[6:7]
	v_add_nc_u32_e32 v4, 0x210, v209
	ds_load_b128 v[4:7], v4
	ds_load_b128 v[8:11], v253 offset:32
	ds_load_b128 v[18:21], v253 offset:48
	v_fma_f64 v[12:13], v[12:13], v[16:17], -v[26:27]
	v_fma_f64 v[14:15], v[14:15], v[16:17], v[28:29]
	ds_load_b128 v[22:25], v22
	s_wait_loadcnt_dscnt 0x0
	s_barrier_signal -1
	s_barrier_wait -1
	global_inv scope:SCOPE_SE
	v_mul_f64_e32 v[34:35], v[10:11], v[6:7]
	v_mul_f64_e32 v[6:7], v[8:9], v[6:7]
	v_mul_f64_e32 v[28:29], v[20:21], v[24:25]
	v_mul_f64_e32 v[24:25], v[18:19], v[24:25]
	v_add_f64_e32 v[16:17], 0, v[30:31]
	v_add_f64_e32 v[26:27], 0, v[32:33]
	v_fma_f64 v[8:9], v[8:9], v[4:5], -v[34:35]
	v_fma_f64 v[4:5], v[10:11], v[4:5], v[6:7]
	s_delay_alu instid0(VALU_DEP_4) | instskip(NEXT) | instid1(VALU_DEP_4)
	v_add_f64_e32 v[6:7], v[16:17], v[12:13]
	v_add_f64_e32 v[10:11], v[26:27], v[14:15]
	v_fma_f64 v[12:13], v[18:19], v[22:23], -v[28:29]
	v_fma_f64 v[14:15], v[20:21], v[22:23], v[24:25]
	s_delay_alu instid0(VALU_DEP_4) | instskip(NEXT) | instid1(VALU_DEP_4)
	v_add_f64_e32 v[6:7], v[6:7], v[8:9]
	v_add_f64_e32 v[4:5], v[10:11], v[4:5]
	s_delay_alu instid0(VALU_DEP_2) | instskip(NEXT) | instid1(VALU_DEP_2)
	v_add_f64_e32 v[9:10], v[6:7], v[12:13]
	v_add_f64_e32 v[11:12], v[4:5], v[14:15]
	v_mov_b32_e32 v5, 0
	v_dual_mov_b32 v7, 0 :: v_dual_mov_b32 v6, 0
	v_mov_b32_e32 v8, 0
	ds_store_b128 v195, v[9:12]
	s_wait_loadcnt_dscnt 0x0
	s_barrier_signal -1
	s_barrier_wait -1
	global_inv scope:SCOPE_SE
	s_and_saveexec_b32 s18, s10
	s_cbranch_execz .LBB125_32
; %bb.31:                               ;   in Loop: Header=BB125_4 Depth=1
	ds_load_b128 v[4:7], v196
	ds_load_b128 v[8:11], v196 offset:16
	s_wait_dscnt 0x0
	v_add_f64_e32 v[12:13], v[8:9], v[4:5]
	v_add_f64_e32 v[14:15], v[10:11], v[6:7]
	ds_load_b128 v[4:7], v196 offset:32
	ds_load_b128 v[8:11], v196 offset:48
	s_wait_dscnt 0x1
	v_add_f64_e32 v[4:5], v[12:13], v[4:5]
	v_add_f64_e32 v[6:7], v[14:15], v[6:7]
	s_wait_dscnt 0x0
	s_delay_alu instid0(VALU_DEP_2) | instskip(NEXT) | instid1(VALU_DEP_2)
	v_add_f64_e32 v[12:13], v[4:5], v[8:9]
	v_add_f64_e32 v[14:15], v[6:7], v[10:11]
	ds_load_b128 v[4:7], v196 offset:64
	ds_load_b128 v[8:11], v196 offset:80
	s_wait_dscnt 0x1
	v_add_f64_e32 v[4:5], v[12:13], v[4:5]
	v_add_f64_e32 v[6:7], v[14:15], v[6:7]
	s_wait_dscnt 0x0
	s_delay_alu instid0(VALU_DEP_2) | instskip(NEXT) | instid1(VALU_DEP_2)
	;; [unrolled: 9-line block ×3, first 2 shown]
	v_add_f64_e32 v[5:6], v[4:5], v[8:9]
	v_add_f64_e32 v[7:8], v[12:13], v[10:11]
.LBB125_32:                             ;   in Loop: Header=BB125_4 Depth=1
	s_wait_alu 0xfffe
	s_or_b32 exec_lo, exec_lo, s18
	v_add_co_u32 v13, vcc_lo, v2, s44
	s_wait_alu 0xfffd
	v_add_co_ci_u32_e64 v14, null, s45, v3, vcc_lo
	s_mov_b32 s18, -1
	v_add_co_u32 v11, vcc_lo, 0x200, v13
	s_wait_alu 0xfffd
	v_add_co_ci_u32_e64 v12, null, 0, v14, vcc_lo
	s_and_b32 vcc_lo, exec_lo, s29
	s_wait_loadcnt 0x0
	s_barrier_signal -1
	s_barrier_wait -1
	global_inv scope:SCOPE_SE
                                        ; implicit-def: $vgpr9_vgpr10
	s_wait_alu 0xfffe
	s_cbranch_vccz .LBB125_44
; %bb.33:                               ;   in Loop: Header=BB125_4 Depth=1
	s_and_saveexec_b32 s18, s12
	s_wait_alu 0xfffe
	s_xor_b32 s18, exec_lo, s18
; %bb.34:                               ;   in Loop: Header=BB125_4 Depth=1
	v_dual_mov_b32 v2, v1 :: v_dual_mov_b32 v3, v1
	v_mov_b32_e32 v4, v1
	ds_store_b128 v251, v[1:4]
; %bb.35:                               ;   in Loop: Header=BB125_4 Depth=1
	s_wait_alu 0xfffe
	s_or_saveexec_b32 s18, s18
	v_add_co_u32 v2, vcc_lo, v13, v178
	s_wait_alu 0xfffd
	v_add_co_ci_u32_e64 v3, null, v14, v179, vcc_lo
	s_lshl_b64 s[52:53], s[30:31], 4
	s_wait_alu 0xfffe
	v_add_co_u32 v2, vcc_lo, v2, s52
	s_wait_alu 0xfffd
	v_add_co_ci_u32_e64 v3, null, s53, v3, vcc_lo
	s_delay_alu instid0(VALU_DEP_2) | instskip(SKIP_1) | instid1(VALU_DEP_2)
	v_add_co_u32 v2, vcc_lo, v2, -16
	s_wait_alu 0xfffd
	v_add_co_ci_u32_e64 v3, null, -1, v3, vcc_lo
	s_delay_alu instid0(VALU_DEP_2) | instskip(NEXT) | instid1(VALU_DEP_2)
	v_cndmask_b32_e64 v9, v2, v11, s11
	v_cndmask_b32_e64 v10, v3, v12, s11
	s_xor_b32 exec_lo, exec_lo, s18
	s_cbranch_execnz .LBB125_143
; %bb.36:                               ;   in Loop: Header=BB125_4 Depth=1
	s_or_b32 exec_lo, exec_lo, s18
	s_and_saveexec_b32 s18, s13
	s_wait_alu 0xfffe
	s_xor_b32 s18, exec_lo, s18
	s_cbranch_execnz .LBB125_144
.LBB125_37:                             ;   in Loop: Header=BB125_4 Depth=1
	s_wait_alu 0xfffe
	s_and_not1_saveexec_b32 s18, s18
	s_cbranch_execnz .LBB125_145
.LBB125_38:                             ;   in Loop: Header=BB125_4 Depth=1
	s_wait_alu 0xfffe
	s_or_b32 exec_lo, exec_lo, s18
	s_and_saveexec_b32 s18, s14
	s_wait_alu 0xfffe
	s_xor_b32 s18, exec_lo, s18
	s_cbranch_execnz .LBB125_146
.LBB125_39:                             ;   in Loop: Header=BB125_4 Depth=1
	s_wait_alu 0xfffe
	s_and_not1_saveexec_b32 s18, s18
	s_cbranch_execnz .LBB125_147
.LBB125_40:                             ;   in Loop: Header=BB125_4 Depth=1
	s_wait_alu 0xfffe
	s_or_b32 exec_lo, exec_lo, s18
	s_and_saveexec_b32 s18, s15
	s_wait_alu 0xfffe
	s_xor_b32 s18, exec_lo, s18
	s_cbranch_execnz .LBB125_148
.LBB125_41:                             ;   in Loop: Header=BB125_4 Depth=1
	s_wait_alu 0xfffe
	s_and_not1_saveexec_b32 s18, s18
	s_cbranch_execz .LBB125_43
.LBB125_42:                             ;   in Loop: Header=BB125_4 Depth=1
	s_lshl_b64 s[52:53], s[38:39], 4
	s_wait_alu 0xfffe
	v_add_co_u32 v2, vcc_lo, v9, s52
	s_wait_alu 0xfffd
	v_add_co_ci_u32_e64 v3, null, s53, v10, vcc_lo
	global_load_b128 v[15:18], v[2:3], off
	v_add_nc_u32_e32 v2, 0x3180, v251
	s_wait_loadcnt 0x0
	ds_store_2addr_b64 v2, v[15:16], v[17:18] offset1:1
.LBB125_43:                             ;   in Loop: Header=BB125_4 Depth=1
	s_wait_alu 0xfffe
	s_or_b32 exec_lo, exec_lo, s18
	scratch_load_b32 v2, off, off offset:8  ; 4-byte Folded Reload
	s_lshl_b64 s[52:53], s[40:41], 4
	s_mov_b32 s18, 0
	s_wait_loadcnt 0x0
	v_add_co_u32 v2, vcc_lo, v9, v2
	s_wait_alu 0xfffd
	v_add_co_ci_u32_e64 v3, null, 0, v10, vcc_lo
	s_wait_alu 0xfffe
	s_delay_alu instid0(VALU_DEP_2) | instskip(SKIP_1) | instid1(VALU_DEP_2)
	v_add_co_u32 v2, vcc_lo, v2, s52
	s_wait_alu 0xfffd
	v_add_co_ci_u32_e64 v3, null, s53, v3, vcc_lo
	s_delay_alu instid0(VALU_DEP_2) | instskip(SKIP_1) | instid1(VALU_DEP_2)
	v_add_co_u32 v2, vcc_lo, 0x210, v2
	s_wait_alu 0xfffd
	v_add_co_ci_u32_e64 v3, null, 0, v3, vcc_lo
	s_delay_alu instid0(VALU_DEP_2) | instskip(NEXT) | instid1(VALU_DEP_2)
	v_cndmask_b32_e64 v9, v2, v11, s11
	v_cndmask_b32_e64 v10, v3, v12, s11
.LBB125_44:                             ;   in Loop: Header=BB125_4 Depth=1
	s_and_b32 vcc_lo, exec_lo, s18
	s_wait_alu 0xfffe
	s_cbranch_vccz .LBB125_46
; %bb.45:                               ;   in Loop: Header=BB125_4 Depth=1
	s_lshl_b64 s[52:53], s[36:37], 4
	s_wait_alu 0xfffe
	v_add_co_u32 v2, vcc_lo, v13, s52
	s_wait_alu 0xfffd
	v_add_co_ci_u32_e64 v3, null, s53, v14, vcc_lo
	s_delay_alu instid0(VALU_DEP_2) | instskip(SKIP_1) | instid1(VALU_DEP_2)
	v_add_co_u32 v9, vcc_lo, v2, s42
	s_wait_alu 0xfffd
	v_add_co_ci_u32_e64 v10, null, s43, v3, vcc_lo
	s_delay_alu instid0(VALU_DEP_2) | instskip(SKIP_1) | instid1(VALU_DEP_2)
	v_add_co_u32 v25, vcc_lo, v9, s42
	s_wait_alu 0xfffd
	v_add_co_ci_u32_e64 v26, null, s43, v10, vcc_lo
	s_clause 0x3
	global_load_b128 v[13:16], v[11:12], off
	global_load_b128 v[17:20], v[2:3], off offset:512
	global_load_b128 v[21:24], v[9:10], off offset:512
	;; [unrolled: 1-line block ×3, first 2 shown]
	v_dual_mov_b32 v9, v11 :: v_dual_add_nc_u32 v2, 0x1080, v251
	v_mov_b32_e32 v10, v12
	s_wait_loadcnt 0x3
	ds_store_2addr_b64 v251, v[13:14], v[15:16] offset1:1
	s_wait_loadcnt 0x2
	ds_store_2addr_b64 v2, v[17:18], v[19:20] offset1:1
	v_add_nc_u32_e32 v2, 0x2100, v251
	s_wait_loadcnt 0x1
	ds_store_2addr_b64 v2, v[21:22], v[23:24] offset1:1
	v_add_nc_u32_e32 v2, 0x3180, v251
	s_wait_loadcnt 0x0
	ds_store_2addr_b64 v2, v[25:26], v[27:28] offset1:1
.LBB125_46:                             ;   in Loop: Header=BB125_4 Depth=1
	s_wait_loadcnt_dscnt 0x0
	s_barrier_signal -1
	s_barrier_wait -1
	global_inv scope:SCOPE_SE
	s_and_saveexec_b32 s18, s6
	s_cbranch_execnz .LBB125_134
; %bb.47:                               ;   in Loop: Header=BB125_4 Depth=1
	s_wait_alu 0xfffe
	s_or_b32 exec_lo, exec_lo, s18
	s_and_saveexec_b32 s18, s7
	s_cbranch_execnz .LBB125_135
.LBB125_48:                             ;   in Loop: Header=BB125_4 Depth=1
	s_wait_alu 0xfffe
	s_or_b32 exec_lo, exec_lo, s18
	s_and_saveexec_b32 s18, s8
	s_cbranch_execnz .LBB125_136
.LBB125_49:                             ;   in Loop: Header=BB125_4 Depth=1
	s_wait_alu 0xfffe
	s_or_b32 exec_lo, exec_lo, s18
	s_and_saveexec_b32 s18, s9
	s_cbranch_execz .LBB125_51
.LBB125_50:                             ;   in Loop: Header=BB125_4 Depth=1
	v_add_nc_u32_e32 v2, 0x420, v209
	ds_load_b128 v[11:14], v2
	v_add_nc_u32_e32 v2, 48, v208
	s_wait_dscnt 0x0
	ds_store_b128 v2, v[11:14]
.LBB125_51:                             ;   in Loop: Header=BB125_4 Depth=1
	s_wait_alu 0xfffe
	s_or_b32 exec_lo, exec_lo, s18
	s_wait_loadcnt_dscnt 0x0
	s_barrier_signal -1
	s_barrier_wait -1
	global_inv scope:SCOPE_SE
	ds_load_b128 v[11:14], v182
	ds_load_b128 v[15:18], v253 offset:512
	ds_load_b128 v[19:22], v253 offset:528
	ds_load_b128 v[23:26], v209
	v_add_nc_u32_e32 v4, 0x210, v209
	s_wait_dscnt 0x2
	v_mul_f64_e32 v[2:3], v[17:18], v[13:14]
	v_mul_f64_e32 v[13:14], v[15:16], v[13:14]
	s_wait_dscnt 0x0
	v_mul_f64_e32 v[33:34], v[21:22], v[25:26]
	v_mul_f64_e32 v[35:36], v[19:20], v[25:26]
	s_delay_alu instid0(VALU_DEP_4) | instskip(NEXT) | instid1(VALU_DEP_4)
	v_fma_f64 v[2:3], v[15:16], v[11:12], -v[2:3]
	v_fma_f64 v[37:38], v[17:18], v[11:12], v[13:14]
	ds_load_b128 v[11:14], v4
	ds_load_b128 v[15:18], v253 offset:544
	ds_load_b128 v[25:28], v253 offset:560
	v_fma_f64 v[19:20], v[19:20], v[23:24], -v[33:34]
	v_fma_f64 v[21:22], v[21:22], v[23:24], v[35:36]
	v_add_nc_u32_e32 v4, 0x420, v209
	ds_load_b128 v[29:32], v4
	s_wait_loadcnt_dscnt 0x0
	s_barrier_signal -1
	s_barrier_wait -1
	global_inv scope:SCOPE_SE
	v_mul_f64_e32 v[39:40], v[17:18], v[13:14]
	v_mul_f64_e32 v[13:14], v[15:16], v[13:14]
	;; [unrolled: 1-line block ×4, first 2 shown]
	v_add_f64_e32 v[2:3], 0, v[2:3]
	v_add_f64_e32 v[23:24], 0, v[37:38]
	v_fma_f64 v[15:16], v[15:16], v[11:12], -v[39:40]
	v_fma_f64 v[11:12], v[17:18], v[11:12], v[13:14]
	v_fma_f64 v[17:18], v[25:26], v[29:30], -v[33:34]
	v_add_f64_e32 v[2:3], v[2:3], v[19:20]
	v_add_f64_e32 v[13:14], v[23:24], v[21:22]
	v_fma_f64 v[19:20], v[27:28], v[29:30], v[31:32]
	s_delay_alu instid0(VALU_DEP_3) | instskip(NEXT) | instid1(VALU_DEP_3)
	v_add_f64_e32 v[2:3], v[2:3], v[15:16]
	v_add_f64_e32 v[13:14], v[13:14], v[11:12]
	s_delay_alu instid0(VALU_DEP_2) | instskip(NEXT) | instid1(VALU_DEP_2)
	v_add_f64_e32 v[11:12], v[2:3], v[17:18]
	v_add_f64_e32 v[13:14], v[13:14], v[19:20]
	ds_store_b128 v195, v[11:14]
	s_wait_loadcnt_dscnt 0x0
	s_barrier_signal -1
	s_barrier_wait -1
	global_inv scope:SCOPE_SE
	s_and_saveexec_b32 s18, s16
	s_cbranch_execz .LBB125_53
; %bb.52:                               ;   in Loop: Header=BB125_4 Depth=1
	ds_load_b128 v[2:5], v196
	ds_load_b128 v[11:14], v196 offset:16
	s_wait_dscnt 0x0
	v_add_f64_e32 v[6:7], v[11:12], v[2:3]
	v_add_f64_e32 v[15:16], v[13:14], v[4:5]
	ds_load_b128 v[2:5], v196 offset:32
	ds_load_b128 v[11:14], v196 offset:48
	s_wait_dscnt 0x1
	v_add_f64_e32 v[2:3], v[6:7], v[2:3]
	v_add_f64_e32 v[4:5], v[15:16], v[4:5]
	s_wait_dscnt 0x0
	s_delay_alu instid0(VALU_DEP_2) | instskip(NEXT) | instid1(VALU_DEP_2)
	v_add_f64_e32 v[6:7], v[2:3], v[11:12]
	v_add_f64_e32 v[15:16], v[4:5], v[13:14]
	ds_load_b128 v[2:5], v196 offset:64
	ds_load_b128 v[11:14], v196 offset:80
	s_wait_dscnt 0x1
	v_add_f64_e32 v[2:3], v[6:7], v[2:3]
	v_add_f64_e32 v[4:5], v[15:16], v[4:5]
	s_wait_dscnt 0x0
	s_delay_alu instid0(VALU_DEP_2) | instskip(NEXT) | instid1(VALU_DEP_2)
	;; [unrolled: 9-line block ×3, first 2 shown]
	v_add_f64_e32 v[5:6], v[2:3], v[11:12]
	v_add_f64_e32 v[7:8], v[7:8], v[13:14]
.LBB125_53:                             ;   in Loop: Header=BB125_4 Depth=1
	s_wait_alu 0xfffe
	s_or_b32 exec_lo, exec_lo, s18
	v_add_co_u32 v11, vcc_lo, 0xfffffe00, v9
	s_wait_alu 0xfffd
	v_add_co_ci_u32_e64 v12, null, -1, v10, vcc_lo
	s_and_b32 vcc_lo, exec_lo, s29
	s_mov_b32 s18, -1
	s_wait_loadcnt 0x0
	s_barrier_signal -1
	s_barrier_wait -1
	global_inv scope:SCOPE_SE
                                        ; implicit-def: $vgpr2_vgpr3
	s_wait_alu 0xfffe
	s_cbranch_vccz .LBB125_65
; %bb.54:                               ;   in Loop: Header=BB125_4 Depth=1
	s_and_saveexec_b32 s18, s12
	s_wait_alu 0xfffe
	s_xor_b32 s18, exec_lo, s18
; %bb.55:                               ;   in Loop: Header=BB125_4 Depth=1
	v_dual_mov_b32 v2, v1 :: v_dual_mov_b32 v3, v1
	v_mov_b32_e32 v4, v1
	ds_store_b128 v251, v[1:4]
; %bb.56:                               ;   in Loop: Header=BB125_4 Depth=1
	s_wait_alu 0xfffe
	s_or_saveexec_b32 s18, s18
	v_add_co_u32 v2, vcc_lo, v9, v178
	s_wait_alu 0xfffd
	v_add_co_ci_u32_e64 v3, null, v10, v179, vcc_lo
	s_lshl_b64 s[52:53], s[30:31], 4
	s_wait_alu 0xfffe
	v_add_co_u32 v2, vcc_lo, v2, s52
	s_wait_alu 0xfffd
	v_add_co_ci_u32_e64 v3, null, s53, v3, vcc_lo
	s_delay_alu instid0(VALU_DEP_2) | instskip(SKIP_1) | instid1(VALU_DEP_2)
	v_add_co_u32 v2, vcc_lo, 0xfffffdf0, v2
	s_wait_alu 0xfffd
	v_add_co_ci_u32_e64 v3, null, -1, v3, vcc_lo
	s_delay_alu instid0(VALU_DEP_2) | instskip(NEXT) | instid1(VALU_DEP_2)
	v_cndmask_b32_e64 v13, v2, v11, s1
	v_cndmask_b32_e64 v14, v3, v12, s1
	s_xor_b32 exec_lo, exec_lo, s18
	s_cbranch_execnz .LBB125_149
; %bb.57:                               ;   in Loop: Header=BB125_4 Depth=1
	s_or_b32 exec_lo, exec_lo, s18
	s_and_saveexec_b32 s18, s13
	s_wait_alu 0xfffe
	s_xor_b32 s18, exec_lo, s18
	s_cbranch_execnz .LBB125_150
.LBB125_58:                             ;   in Loop: Header=BB125_4 Depth=1
	s_wait_alu 0xfffe
	s_and_not1_saveexec_b32 s18, s18
	s_cbranch_execnz .LBB125_151
.LBB125_59:                             ;   in Loop: Header=BB125_4 Depth=1
	s_wait_alu 0xfffe
	s_or_b32 exec_lo, exec_lo, s18
	s_and_saveexec_b32 s18, s14
	s_wait_alu 0xfffe
	s_xor_b32 s18, exec_lo, s18
	s_cbranch_execnz .LBB125_152
.LBB125_60:                             ;   in Loop: Header=BB125_4 Depth=1
	s_wait_alu 0xfffe
	s_and_not1_saveexec_b32 s18, s18
	s_cbranch_execnz .LBB125_153
.LBB125_61:                             ;   in Loop: Header=BB125_4 Depth=1
	s_wait_alu 0xfffe
	s_or_b32 exec_lo, exec_lo, s18
	s_and_saveexec_b32 s18, s15
	s_wait_alu 0xfffe
	s_xor_b32 s18, exec_lo, s18
	s_cbranch_execnz .LBB125_154
.LBB125_62:                             ;   in Loop: Header=BB125_4 Depth=1
	s_wait_alu 0xfffe
	s_and_not1_saveexec_b32 s18, s18
	s_cbranch_execz .LBB125_64
.LBB125_63:                             ;   in Loop: Header=BB125_4 Depth=1
	s_lshl_b64 s[52:53], s[38:39], 4
	s_wait_alu 0xfffe
	v_add_co_u32 v2, vcc_lo, v13, s52
	s_wait_alu 0xfffd
	v_add_co_ci_u32_e64 v3, null, s53, v14, vcc_lo
	global_load_b128 v[15:18], v[2:3], off
	v_add_nc_u32_e32 v2, 0x3180, v251
	s_wait_loadcnt 0x0
	ds_store_2addr_b64 v2, v[15:16], v[17:18] offset1:1
.LBB125_64:                             ;   in Loop: Header=BB125_4 Depth=1
	s_wait_alu 0xfffe
	s_or_b32 exec_lo, exec_lo, s18
	scratch_load_b32 v2, off, off offset:8  ; 4-byte Folded Reload
	s_lshl_b64 s[52:53], s[40:41], 4
	s_mov_b32 s18, 0
	s_wait_loadcnt 0x0
	v_add_co_u32 v2, vcc_lo, v13, v2
	s_wait_alu 0xfffd
	v_add_co_ci_u32_e64 v3, null, 0, v14, vcc_lo
	s_wait_alu 0xfffe
	s_delay_alu instid0(VALU_DEP_2) | instskip(SKIP_1) | instid1(VALU_DEP_2)
	v_add_co_u32 v2, vcc_lo, v2, s52
	s_wait_alu 0xfffd
	v_add_co_ci_u32_e64 v3, null, s53, v3, vcc_lo
	s_delay_alu instid0(VALU_DEP_2) | instskip(SKIP_1) | instid1(VALU_DEP_2)
	v_add_co_u32 v2, vcc_lo, v2, 16
	s_wait_alu 0xfffd
	v_add_co_ci_u32_e64 v3, null, 0, v3, vcc_lo
	s_delay_alu instid0(VALU_DEP_2) | instskip(NEXT) | instid1(VALU_DEP_2)
	v_cndmask_b32_e64 v2, v2, v11, s1
	v_cndmask_b32_e64 v3, v3, v12, s1
.LBB125_65:                             ;   in Loop: Header=BB125_4 Depth=1
	s_and_b32 vcc_lo, exec_lo, s18
	s_wait_alu 0xfffe
	s_cbranch_vccz .LBB125_67
; %bb.66:                               ;   in Loop: Header=BB125_4 Depth=1
	s_lshl_b64 s[52:53], s[36:37], 4
	v_add_nc_u32_e32 v4, 0x1080, v251
	s_wait_alu 0xfffe
	v_add_co_u32 v2, vcc_lo, v9, s52
	s_wait_alu 0xfffd
	v_add_co_ci_u32_e64 v3, null, s53, v10, vcc_lo
	s_delay_alu instid0(VALU_DEP_2) | instskip(SKIP_1) | instid1(VALU_DEP_2)
	v_add_co_u32 v9, vcc_lo, v2, s42
	s_wait_alu 0xfffd
	v_add_co_ci_u32_e64 v10, null, s43, v3, vcc_lo
	s_delay_alu instid0(VALU_DEP_2) | instskip(SKIP_1) | instid1(VALU_DEP_2)
	v_add_co_u32 v25, vcc_lo, v9, s42
	s_wait_alu 0xfffd
	v_add_co_ci_u32_e64 v26, null, s43, v10, vcc_lo
	s_clause 0x3
	global_load_b128 v[13:16], v[11:12], off
	global_load_b128 v[17:20], v[2:3], off offset:-512
	global_load_b128 v[21:24], v[9:10], off offset:-512
	;; [unrolled: 1-line block ×3, first 2 shown]
	v_dual_mov_b32 v2, v11 :: v_dual_mov_b32 v3, v12
	s_wait_loadcnt 0x3
	ds_store_2addr_b64 v251, v[13:14], v[15:16] offset1:1
	s_wait_loadcnt 0x2
	ds_store_2addr_b64 v4, v[17:18], v[19:20] offset1:1
	v_add_nc_u32_e32 v4, 0x2100, v251
	s_wait_loadcnt 0x1
	ds_store_2addr_b64 v4, v[21:22], v[23:24] offset1:1
	v_add_nc_u32_e32 v4, 0x3180, v251
	s_wait_loadcnt 0x0
	ds_store_2addr_b64 v4, v[25:26], v[27:28] offset1:1
.LBB125_67:                             ;   in Loop: Header=BB125_4 Depth=1
	s_wait_loadcnt_dscnt 0x0
	s_barrier_signal -1
	s_barrier_wait -1
	global_inv scope:SCOPE_SE
	scratch_load_b32 v4, off, off offset:32 ; 4-byte Folded Reload
	s_wait_loadcnt 0x0
	ds_load_b128 v[9:12], v4
	ds_load_b128 v[13:16], v202
	ds_load_b128 v[17:20], v195 offset:384
	ds_load_b128 v[21:24], v202 offset:384
	;; [unrolled: 1-line block ×6, first 2 shown]
	v_add_nc_u32_e32 v4, 0x210, v209
	s_wait_dscnt 0x6
	v_mul_f64_e32 v[43:44], v[11:12], v[15:16]
	v_mul_f64_e32 v[15:16], v[9:10], v[15:16]
	s_wait_dscnt 0x2
	v_mul_f64_e32 v[45:46], v[31:32], v[27:28]
	v_mul_f64_e32 v[27:28], v[29:30], v[27:28]
	s_delay_alu instid0(VALU_DEP_4) | instskip(NEXT) | instid1(VALU_DEP_4)
	v_fma_f64 v[9:10], v[9:10], v[13:14], -v[43:44]
	v_fma_f64 v[11:12], v[11:12], v[13:14], v[15:16]
	s_wait_dscnt 0x0
	v_mul_f64_e32 v[13:14], v[35:36], v[39:40]
	v_mul_f64_e32 v[15:16], v[33:34], v[39:40]
	v_fma_f64 v[29:30], v[29:30], v[25:26], -v[45:46]
	v_fma_f64 v[25:26], v[31:32], v[25:26], v[27:28]
	v_mul_f64_e32 v[27:28], v[19:20], v[23:24]
	v_mul_f64_e32 v[23:24], v[17:18], v[23:24]
	v_add_f64_e32 v[9:10], 0, v[9:10]
	v_add_f64_e32 v[11:12], 0, v[11:12]
	v_fma_f64 v[13:14], v[33:34], v[37:38], -v[13:14]
	v_fma_f64 v[15:16], v[35:36], v[37:38], v[15:16]
	v_fma_f64 v[17:18], v[17:18], v[21:22], -v[27:28]
	v_fma_f64 v[19:20], v[19:20], v[21:22], v[23:24]
	v_add_f64_e32 v[9:10], v[9:10], v[29:30]
	v_add_f64_e32 v[11:12], v[11:12], v[25:26]
	s_delay_alu instid0(VALU_DEP_2) | instskip(NEXT) | instid1(VALU_DEP_2)
	v_add_f64_e32 v[9:10], v[9:10], v[13:14]
	v_add_f64_e32 v[11:12], v[11:12], v[15:16]
	s_delay_alu instid0(VALU_DEP_2) | instskip(NEXT) | instid1(VALU_DEP_2)
	v_add_f64_e32 v[43:44], v[9:10], v[17:18]
	v_add_f64_e32 v[45:46], v[11:12], v[19:20]
	ds_load_b128 v[33:36], v253 offset:512
	ds_load_b128 v[25:28], v253 offset:528
	;; [unrolled: 1-line block ×4, first 2 shown]
	ds_load_b128 v[37:40], v182
	ds_load_b128 v[29:32], v209
	;; [unrolled: 1-line block ×3, first 2 shown]
	v_add_nc_u32_e32 v4, 0x420, v209
	ds_load_b128 v[17:20], v4
	s_wait_dscnt 0x0
	s_barrier_signal -1
	s_barrier_wait -1
	global_inv scope:SCOPE_SE
	ds_store_b128 v195, v[43:46]
	s_wait_loadcnt_dscnt 0x0
	s_barrier_signal -1
	s_barrier_wait -1
	global_inv scope:SCOPE_SE
	s_and_saveexec_b32 s18, s16
	s_cbranch_execz .LBB125_69
; %bb.68:                               ;   in Loop: Header=BB125_4 Depth=1
	ds_load_b128 v[43:46], v196
	ds_load_b128 v[47:50], v196 offset:16
	s_wait_dscnt 0x1
	v_add_f64_e32 v[4:5], v[5:6], v[43:44]
	v_add_f64_e32 v[6:7], v[7:8], v[45:46]
	s_wait_dscnt 0x0
	s_delay_alu instid0(VALU_DEP_2) | instskip(NEXT) | instid1(VALU_DEP_2)
	v_add_f64_e32 v[47:48], v[4:5], v[47:48]
	v_add_f64_e32 v[49:50], v[6:7], v[49:50]
	ds_load_b128 v[4:7], v196 offset:32
	ds_load_b128 v[43:46], v196 offset:48
	s_wait_dscnt 0x1
	v_add_f64_e32 v[4:5], v[47:48], v[4:5]
	v_add_f64_e32 v[6:7], v[49:50], v[6:7]
	s_wait_dscnt 0x0
	s_delay_alu instid0(VALU_DEP_2) | instskip(NEXT) | instid1(VALU_DEP_2)
	v_add_f64_e32 v[47:48], v[4:5], v[43:44]
	v_add_f64_e32 v[49:50], v[6:7], v[45:46]
	ds_load_b128 v[4:7], v196 offset:64
	;; [unrolled: 9-line block ×3, first 2 shown]
	ds_load_b128 v[43:46], v196 offset:112
	s_wait_dscnt 0x1
	v_add_f64_e32 v[4:5], v[47:48], v[4:5]
	v_add_f64_e32 v[7:8], v[49:50], v[6:7]
	s_wait_dscnt 0x0
	s_delay_alu instid0(VALU_DEP_2) | instskip(NEXT) | instid1(VALU_DEP_2)
	v_add_f64_e32 v[5:6], v[4:5], v[43:44]
	v_add_f64_e32 v[7:8], v[7:8], v[45:46]
.LBB125_69:                             ;   in Loop: Header=BB125_4 Depth=1
	s_wait_alu 0xfffe
	s_or_b32 exec_lo, exec_lo, s18
	v_mul_f64_e32 v[43:44], v[35:36], v[39:40]
	v_mul_f64_e32 v[39:40], v[33:34], v[39:40]
	;; [unrolled: 1-line block ×4, first 2 shown]
	s_wait_loadcnt 0x0
	s_barrier_signal -1
	s_barrier_wait -1
	global_inv scope:SCOPE_SE
	v_fma_f64 v[33:34], v[33:34], v[37:38], -v[43:44]
	v_fma_f64 v[35:36], v[35:36], v[37:38], v[39:40]
	v_mul_f64_e32 v[37:38], v[15:16], v[23:24]
	v_mul_f64_e32 v[23:24], v[13:14], v[23:24]
	v_fma_f64 v[25:26], v[25:26], v[29:30], -v[45:46]
	v_fma_f64 v[27:28], v[27:28], v[29:30], v[31:32]
	v_add_f64_e32 v[29:30], 0, v[33:34]
	v_add_f64_e32 v[31:32], 0, v[35:36]
	v_mul_f64_e32 v[33:34], v[11:12], v[19:20]
	v_mul_f64_e32 v[19:20], v[9:10], v[19:20]
	v_fma_f64 v[13:14], v[13:14], v[21:22], -v[37:38]
	v_fma_f64 v[15:16], v[15:16], v[21:22], v[23:24]
	v_add_f64_e32 v[21:22], v[29:30], v[25:26]
	v_add_f64_e32 v[23:24], v[31:32], v[27:28]
	v_fma_f64 v[9:10], v[9:10], v[17:18], -v[33:34]
	v_fma_f64 v[11:12], v[11:12], v[17:18], v[19:20]
	s_delay_alu instid0(VALU_DEP_4) | instskip(NEXT) | instid1(VALU_DEP_4)
	v_add_f64_e32 v[13:14], v[21:22], v[13:14]
	v_add_f64_e32 v[15:16], v[23:24], v[15:16]
	s_delay_alu instid0(VALU_DEP_2) | instskip(NEXT) | instid1(VALU_DEP_2)
	v_add_f64_e32 v[9:10], v[13:14], v[9:10]
	v_add_f64_e32 v[11:12], v[15:16], v[11:12]
	ds_store_b128 v195, v[9:12]
	s_wait_loadcnt_dscnt 0x0
	s_barrier_signal -1
	s_barrier_wait -1
	global_inv scope:SCOPE_SE
	s_and_saveexec_b32 s18, s10
	s_cbranch_execz .LBB125_71
; %bb.70:                               ;   in Loop: Header=BB125_4 Depth=1
	ds_load_b128 v[9:12], v196
	ds_load_b128 v[13:16], v196 offset:16
	s_wait_dscnt 0x1
	v_add_f64_e32 v[4:5], v[5:6], v[9:10]
	v_add_f64_e32 v[6:7], v[7:8], v[11:12]
	s_wait_dscnt 0x0
	s_delay_alu instid0(VALU_DEP_2) | instskip(NEXT) | instid1(VALU_DEP_2)
	v_add_f64_e32 v[12:13], v[4:5], v[13:14]
	v_add_f64_e32 v[14:15], v[6:7], v[15:16]
	ds_load_b128 v[4:7], v196 offset:32
	ds_load_b128 v[8:11], v196 offset:48
	s_wait_dscnt 0x1
	v_add_f64_e32 v[4:5], v[12:13], v[4:5]
	v_add_f64_e32 v[6:7], v[14:15], v[6:7]
	s_wait_dscnt 0x0
	s_delay_alu instid0(VALU_DEP_2) | instskip(NEXT) | instid1(VALU_DEP_2)
	v_add_f64_e32 v[12:13], v[4:5], v[8:9]
	v_add_f64_e32 v[14:15], v[6:7], v[10:11]
	ds_load_b128 v[4:7], v196 offset:64
	;; [unrolled: 9-line block ×3, first 2 shown]
	ds_load_b128 v[8:11], v196 offset:112
	s_wait_dscnt 0x1
	v_add_f64_e32 v[4:5], v[12:13], v[4:5]
	v_add_f64_e32 v[12:13], v[14:15], v[6:7]
	s_wait_dscnt 0x0
	s_delay_alu instid0(VALU_DEP_2) | instskip(NEXT) | instid1(VALU_DEP_2)
	v_add_f64_e32 v[5:6], v[4:5], v[8:9]
	v_add_f64_e32 v[7:8], v[12:13], v[10:11]
.LBB125_71:                             ;   in Loop: Header=BB125_4 Depth=1
	s_wait_alu 0xfffe
	s_or_b32 exec_lo, exec_lo, s18
	s_mul_u64 s[52:53], s[22:23], s[24:25]
	s_and_not1_b32 vcc_lo, exec_lo, s57
	s_wait_alu 0xfffe
	s_lshl_b64 s[52:53], s[52:53], 4
	s_wait_loadcnt 0x0
	s_wait_alu 0xfffe
	s_add_nc_u64 s[52:53], s[34:35], s[52:53]
	s_barrier_signal -1
	s_barrier_wait -1
	global_inv scope:SCOPE_SE
	s_cbranch_vccnz .LBB125_129
; %bb.72:                               ;   in Loop: Header=BB125_4 Depth=1
	scratch_load_b32 v4, off, off offset:52 ; 4-byte Folded Reload
	v_add_co_u32 v254, vcc_lo, v41, s50
	s_wait_alu 0xfffd
	v_add_co_ci_u32_e64 v255, null, s51, v42, vcc_lo
	s_mov_b32 s63, ttmp9
	s_mov_b32 s54, s62
	s_clause 0x1
	scratch_load_b64 v[9:10], off, off offset:40
	scratch_load_b32 v180, off, off offset:36
	s_wait_loadcnt 0x2
	v_add_co_u32 v210, vcc_lo, v2, v4
	scratch_load_b32 v4, off, off offset:48 ; 4-byte Folded Reload
	s_wait_loadcnt 0x0
	s_wait_alu 0xfffd
	v_add_co_ci_u32_e64 v213, null, v3, v4, vcc_lo
	scratch_load_b32 v4, off, off offset:56 ; 4-byte Folded Reload
	s_wait_loadcnt 0x0
	v_add_co_u32 v214, vcc_lo, v2, v4
	scratch_load_b32 v4, off, off offset:60 ; 4-byte Folded Reload
	s_wait_loadcnt 0x0
	s_wait_alu 0xfffd
	v_add_co_ci_u32_e64 v215, null, v3, v4, vcc_lo
	scratch_load_b32 v4, off, off offset:64 ; 4-byte Folded Reload
	;; [unrolled: 7-line block ×9, first 2 shown]
	v_add_co_u32 v230, vcc_lo, v2, v9
	s_wait_alu 0xfffd
	v_add_co_ci_u32_e64 v231, null, v3, v10, vcc_lo
	s_wait_loadcnt 0x0
	v_add_co_u32 v232, vcc_lo, v2, v4
	scratch_load_b32 v4, off, off offset:120 ; 4-byte Folded Reload
	s_wait_loadcnt 0x0
	s_wait_alu 0xfffd
	v_add_co_ci_u32_e64 v233, null, v3, v4, vcc_lo
	scratch_load_b32 v4, off, off offset:128 ; 4-byte Folded Reload
	s_wait_loadcnt 0x0
	v_add_co_u32 v234, vcc_lo, v2, v4
	scratch_load_b32 v4, off, off offset:132 ; 4-byte Folded Reload
	s_wait_loadcnt 0x0
	s_wait_alu 0xfffd
	v_add_co_ci_u32_e64 v235, null, v3, v4, vcc_lo
	scratch_load_b32 v4, off, off offset:140 ; 4-byte Folded Reload
	;; [unrolled: 7-line block ×9, first 2 shown]
	s_wait_loadcnt 0x0
	v_add_co_u32 v250, vcc_lo, v2, v4
	scratch_load_b32 v2, off, off offset:192 ; 4-byte Folded Reload
	s_wait_loadcnt 0x0
	s_wait_alu 0xfffd
	v_add_co_ci_u32_e64 v184, null, v3, v2, vcc_lo
	s_wait_alu 0xfffe
	s_cmp_eq_u32 s58, s63
	s_cselect_b32 s64, s33, 0
	s_and_saveexec_b32 s18, s0
	s_cbranch_execz .LBB125_77
.LBB125_73:                             ;   in Loop: Header=BB125_4 Depth=1
	s_wait_alu 0xfffe
	v_cmp_le_i32_e32 vcc_lo, s64, v173
	s_cmp_lg_u32 s64, 0
	s_cselect_b32 s55, -1, 0
	s_wait_alu 0xfffe
	s_and_b32 s55, s55, vcc_lo
	s_wait_alu 0xfffe
	s_and_saveexec_b32 s65, s55
	s_wait_alu 0xfffe
	s_xor_b32 s55, exec_lo, s65
; %bb.74:                               ;   in Loop: Header=BB125_4 Depth=1
	v_dual_mov_b32 v2, v1 :: v_dual_mov_b32 v3, v1
	v_mov_b32_e32 v4, v1
	ds_store_b128 v203, v[1:4]
; %bb.75:                               ;   in Loop: Header=BB125_4 Depth=1
	s_wait_alu 0xfffe
	s_and_not1_saveexec_b32 s55, s55
	s_cbranch_execz .LBB125_77
; %bb.76:                               ;   in Loop: Header=BB125_4 Depth=1
	s_ashr_i32 s55, s54, 31
	s_wait_alu 0xfffe
	s_lshl_b64 s[66:67], s[54:55], 4
	s_wait_alu 0xfffe
	v_add_co_u32 v2, vcc_lo, v254, s66
	s_wait_alu 0xfffd
	v_add_co_ci_u32_e64 v3, null, s67, v255, vcc_lo
	global_load_b128 v[9:12], v[2:3], off
	s_wait_loadcnt 0x0
	ds_store_2addr_b64 v203, v[9:10], v[11:12] offset1:1
.LBB125_77:                             ;   Parent Loop BB125_4 Depth=1
                                        ; =>  This Inner Loop Header: Depth=2
	s_wait_alu 0xfffe
	s_or_b32 exec_lo, exec_lo, s18
	s_cmp_eq_u32 s64, 0
	v_add_co_u32 v2, vcc_lo, v210, v211
	s_cselect_b32 s55, -1, 0
	s_cmp_lg_u32 s64, 0
	s_wait_alu 0xfffd
	v_add_co_ci_u32_e64 v3, null, v213, v212, vcc_lo
	s_cselect_b32 s18, -1, 0
	s_wait_dscnt 0x0
	s_wait_alu 0xfffe
	s_and_b32 vcc_lo, exec_lo, s18
	s_barrier_signal -1
	s_barrier_wait -1
	global_inv scope:SCOPE_SE
	s_wait_alu 0xfffe
	s_cbranch_vccz .LBB125_85
; %bb.78:                               ;   in Loop: Header=BB125_77 Depth=2
	v_mov_b32_e32 v9, 0
	v_dual_mov_b32 v10, 0 :: v_dual_mov_b32 v13, 0
	v_dual_mov_b32 v15, 0 :: v_dual_mov_b32 v14, 0
	v_mov_b32_e32 v16, 0
	s_mov_b32 s65, exec_lo
	v_cmpx_gt_i32_e64 s64, v201
	s_cbranch_execz .LBB125_80
; %bb.79:                               ;   in Loop: Header=BB125_77 Depth=2
	global_load_b128 v[13:16], v[2:3], off offset:-8
.LBB125_80:                             ;   in Loop: Header=BB125_77 Depth=2
	s_wait_alu 0xfffe
	s_or_b32 exec_lo, exec_lo, s65
	v_mov_b32_e32 v11, 0
	v_or_b32_e32 v4, 1, v201
	v_mov_b32_e32 v12, 0
	s_mov_b32 s65, exec_lo
	s_delay_alu instid0(VALU_DEP_2)
	v_cmpx_gt_i32_e64 s64, v4
	s_cbranch_execz .LBB125_82
; %bb.81:                               ;   in Loop: Header=BB125_77 Depth=2
	v_add_co_u32 v9, vcc_lo, v220, v211
	s_wait_alu 0xfffd
	v_add_co_ci_u32_e64 v10, null, v221, v212, vcc_lo
	global_load_b128 v[9:12], v[9:10], off offset:-8
.LBB125_82:                             ;   in Loop: Header=BB125_77 Depth=2
	s_wait_alu 0xfffe
	s_or_b32 exec_lo, exec_lo, s65
	v_mov_b32_e32 v17, 0
	v_dual_mov_b32 v18, 0 :: v_dual_mov_b32 v19, 0
	v_or_b32_e32 v4, 2, v201
	v_mov_b32_e32 v20, 0
	s_mov_b32 s65, exec_lo
	s_delay_alu instid0(VALU_DEP_2)
	v_cmpx_gt_i32_e64 s64, v4
	s_cbranch_execz .LBB125_84
; %bb.83:                               ;   in Loop: Header=BB125_77 Depth=2
	v_add_co_u32 v17, vcc_lo, v224, v211
	s_wait_alu 0xfffd
	v_add_co_ci_u32_e64 v18, null, v225, v212, vcc_lo
	global_load_b128 v[17:20], v[17:18], off offset:-8
.LBB125_84:                             ;   in Loop: Header=BB125_77 Depth=2
	s_wait_alu 0xfffe
	s_or_b32 exec_lo, exec_lo, s65
	v_or_b32_e32 v4, 3, v201
	s_delay_alu instid0(VALU_DEP_1)
	v_cmp_gt_i32_e64 s65, s64, v4
	s_branch .LBB125_87
.LBB125_85:                             ;   in Loop: Header=BB125_77 Depth=2
	s_mov_b32 s65, 0
                                        ; implicit-def: $vgpr19_vgpr20
                                        ; implicit-def: $vgpr11_vgpr12
                                        ; implicit-def: $vgpr15_vgpr16
	s_cbranch_execz .LBB125_87
; %bb.86:                               ;   in Loop: Header=BB125_77 Depth=2
	s_wait_loadcnt 0x0
	v_add_co_u32 v9, vcc_lo, v220, v211
	s_wait_alu 0xfffd
	v_add_co_ci_u32_e64 v10, null, v221, v212, vcc_lo
	v_add_co_u32 v17, vcc_lo, v216, v211
	s_wait_alu 0xfffd
	v_add_co_ci_u32_e64 v18, null, v217, v212, vcc_lo
	global_load_b128 v[13:16], v[2:3], off offset:-8
	global_load_b128 v[9:12], v[9:10], off offset:-8
	global_load_b128 v[17:20], v[17:18], off
	s_wait_alu 0xfffe
	s_or_b32 s65, s65, exec_lo
.LBB125_87:                             ;   in Loop: Header=BB125_77 Depth=2
	v_mov_b32_e32 v21, 0
	v_dual_mov_b32 v22, 0 :: v_dual_mov_b32 v23, 0
	v_mov_b32_e32 v24, 0
	s_wait_alu 0xfffe
	s_and_saveexec_b32 s66, s65
	s_cbranch_execz .LBB125_89
; %bb.88:                               ;   in Loop: Header=BB125_77 Depth=2
	v_add_co_u32 v2, vcc_lo, v228, v211
	s_wait_alu 0xfffd
	v_add_co_ci_u32_e64 v3, null, v229, v212, vcc_lo
	global_load_b128 v[21:24], v[2:3], off offset:-8
.LBB125_89:                             ;   in Loop: Header=BB125_77 Depth=2
	s_wait_alu 0xfffe
	s_or_b32 exec_lo, exec_lo, s66
	ds_load_b128 v[29:32], v183
	ds_load_b128 v[25:28], v0
	v_cndmask_b32_e64 v4, 0, 1, s18
	s_wait_loadcnt_dscnt 0x1
	v_mul_f64_e32 v[2:3], v[15:16], v[31:32]
	v_mul_f64_e32 v[33:34], v[13:14], v[31:32]
	;; [unrolled: 1-line block ×8, first 2 shown]
	v_fma_f64 v[41:42], v[13:14], v[29:30], -v[2:3]
	v_fma_f64 v[43:44], v[15:16], v[29:30], v[33:34]
	v_fma_f64 v[45:46], v[9:10], v[29:30], -v[35:36]
	v_fma_f64 v[47:48], v[11:12], v[29:30], v[37:38]
	;; [unrolled: 2-line block ×4, first 2 shown]
	ds_load_b128 v[37:40], v0 offset:16
	ds_load_b128 v[33:36], v0 offset:32
	;; [unrolled: 1-line block ×3, first 2 shown]
	v_add_co_u32 v2, vcc_lo, v232, v211
	s_wait_alu 0xfffd
	v_add_co_ci_u32_e64 v3, null, v233, v212, vcc_lo
	s_and_not1_b32 vcc_lo, exec_lo, s18
	ds_store_b128 v204, v[41:44]
	ds_store_b128 v204, v[45:48] offset:1072
	ds_store_b128 v204, v[49:52] offset:2144
	;; [unrolled: 1-line block ×3, first 2 shown]
	s_wait_dscnt 0x0
	s_barrier_signal -1
	s_barrier_wait -1
	global_inv scope:SCOPE_SE
	ds_load_b128 v[97:100], v205
	ds_load_b128 v[93:96], v205 offset:16
	ds_load_b128 v[89:92], v205 offset:32
	;; [unrolled: 1-line block ×3, first 2 shown]
	s_wait_loadcnt_dscnt 0x0
	s_barrier_signal -1
	s_barrier_wait -1
	global_inv scope:SCOPE_SE
	s_wait_alu 0xfffe
	s_cbranch_vccnz .LBB125_97
; %bb.90:                               ;   in Loop: Header=BB125_77 Depth=2
	v_mov_b32_e32 v41, 0
	v_mov_b32_e32 v45, 0
	;; [unrolled: 1-line block ×3, first 2 shown]
	v_dual_mov_b32 v42, 0 :: v_dual_add_nc_u32 v43, 16, v201
	v_mov_b32_e32 v46, 0
	v_mov_b32_e32 v48, 0
	s_mov_b32 s18, exec_lo
	s_delay_alu instid0(VALU_DEP_3)
	v_cmpx_gt_i32_e64 s64, v43
	s_cbranch_execz .LBB125_92
; %bb.91:                               ;   in Loop: Header=BB125_77 Depth=2
	global_load_b128 v[45:48], v[2:3], off offset:-8
.LBB125_92:                             ;   in Loop: Header=BB125_77 Depth=2
	s_wait_alu 0xfffe
	s_or_b32 exec_lo, exec_lo, s18
	v_mov_b32_e32 v43, 0
	v_dual_mov_b32 v44, 0 :: v_dual_add_nc_u32 v49, 17, v201
	s_mov_b32 s18, exec_lo
	s_delay_alu instid0(VALU_DEP_1)
	v_cmpx_gt_i32_e64 s64, v49
	s_cbranch_execz .LBB125_94
; %bb.93:                               ;   in Loop: Header=BB125_77 Depth=2
	v_add_co_u32 v41, vcc_lo, v236, v211
	s_wait_alu 0xfffd
	v_add_co_ci_u32_e64 v42, null, v237, v212, vcc_lo
	global_load_b128 v[41:44], v[41:42], off offset:-8
.LBB125_94:                             ;   in Loop: Header=BB125_77 Depth=2
	s_wait_alu 0xfffe
	s_or_b32 exec_lo, exec_lo, s18
	v_mov_b32_e32 v49, 0
	v_mov_b32_e32 v51, 0
	v_dual_mov_b32 v50, 0 :: v_dual_add_nc_u32 v53, 18, v201
	v_mov_b32_e32 v52, 0
	s_mov_b32 s18, exec_lo
	s_delay_alu instid0(VALU_DEP_2)
	v_cmpx_gt_i32_e64 s64, v53
	s_cbranch_execz .LBB125_96
; %bb.95:                               ;   in Loop: Header=BB125_77 Depth=2
	v_add_co_u32 v49, vcc_lo, v240, v211
	s_wait_alu 0xfffd
	v_add_co_ci_u32_e64 v50, null, v241, v212, vcc_lo
	global_load_b128 v[49:52], v[49:50], off offset:-8
.LBB125_96:                             ;   in Loop: Header=BB125_77 Depth=2
	s_wait_alu 0xfffe
	s_or_b32 exec_lo, exec_lo, s18
	v_add_nc_u32_e32 v53, 19, v201
	s_delay_alu instid0(VALU_DEP_1)
	v_cmp_gt_i32_e64 s18, s64, v53
	s_branch .LBB125_99
.LBB125_97:                             ;   in Loop: Header=BB125_77 Depth=2
	s_mov_b32 s18, 0
                                        ; implicit-def: $vgpr51_vgpr52
                                        ; implicit-def: $vgpr43_vgpr44
                                        ; implicit-def: $vgpr47_vgpr48
	s_cbranch_execz .LBB125_99
; %bb.98:                               ;   in Loop: Header=BB125_77 Depth=2
	s_wait_loadcnt 0x0
	v_add_co_u32 v41, vcc_lo, v236, v211
	s_wait_alu 0xfffd
	v_add_co_ci_u32_e64 v42, null, v237, v212, vcc_lo
	v_add_co_u32 v49, vcc_lo, v244, v211
	s_wait_alu 0xfffd
	v_add_co_ci_u32_e64 v50, null, v245, v212, vcc_lo
	global_load_b128 v[45:48], v[2:3], off offset:-8
	global_load_b128 v[41:44], v[41:42], off offset:-8
	global_load_b128 v[49:52], v[49:50], off
	s_wait_alu 0xfffe
	s_or_b32 s18, s18, exec_lo
.LBB125_99:                             ;   in Loop: Header=BB125_77 Depth=2
	v_mov_b32_e32 v53, 0
	v_dual_mov_b32 v54, 0 :: v_dual_mov_b32 v55, 0
	v_mov_b32_e32 v56, 0
	s_wait_alu 0xfffe
	s_and_saveexec_b32 s65, s18
	s_cbranch_execz .LBB125_101
; %bb.100:                              ;   in Loop: Header=BB125_77 Depth=2
	v_add_co_u32 v2, vcc_lo, v248, v211
	s_wait_alu 0xfffd
	v_add_co_ci_u32_e64 v3, null, v249, v212, vcc_lo
	global_load_b128 v[53:56], v[2:3], off offset:-8
.LBB125_101:                            ;   in Loop: Header=BB125_77 Depth=2
	s_wait_alu 0xfffe
	s_or_b32 exec_lo, exec_lo, s65
	ds_load_b128 v[61:64], v183
	ds_load_b128 v[57:60], v0 offset:256
	v_cmp_ne_u32_e32 vcc_lo, 1, v4
	s_and_b32 vcc_lo, exec_lo, vcc_lo
	s_wait_loadcnt_dscnt 0x1
	v_mul_f64_e32 v[2:3], v[47:48], v[63:64]
	v_mul_f64_e32 v[65:66], v[45:46], v[63:64]
	;; [unrolled: 1-line block ×8, first 2 shown]
	v_fma_f64 v[73:74], v[45:46], v[61:62], -v[2:3]
	v_fma_f64 v[75:76], v[47:48], v[61:62], v[65:66]
	v_fma_f64 v[77:78], v[41:42], v[61:62], -v[67:68]
	v_fma_f64 v[79:80], v[43:44], v[61:62], v[69:70]
	;; [unrolled: 2-line block ×4, first 2 shown]
	ds_load_b128 v[69:72], v0 offset:272
	ds_load_b128 v[65:68], v0 offset:288
	;; [unrolled: 1-line block ×3, first 2 shown]
	v_add_co_u32 v2, s18, v250, v211
	s_wait_alu 0xf1ff
	v_add_co_ci_u32_e64 v3, null, v184, v212, s18
	ds_store_b128 v204, v[73:76]
	ds_store_b128 v204, v[77:80] offset:1072
	ds_store_b128 v204, v[81:84] offset:2144
	;; [unrolled: 1-line block ×3, first 2 shown]
	s_wait_dscnt 0x0
	s_barrier_signal -1
	s_barrier_wait -1
	global_inv scope:SCOPE_SE
	ds_load_b128 v[145:148], v205
	ds_load_b128 v[141:144], v205 offset:16
	ds_load_b128 v[137:140], v205 offset:32
	;; [unrolled: 1-line block ×3, first 2 shown]
	s_wait_loadcnt_dscnt 0x0
	s_barrier_signal -1
	s_barrier_wait -1
	global_inv scope:SCOPE_SE
	s_wait_alu 0xfffe
	s_cbranch_vccnz .LBB125_109
; %bb.102:                              ;   in Loop: Header=BB125_77 Depth=2
	v_mov_b32_e32 v73, 0
	v_mov_b32_e32 v77, 0
	;; [unrolled: 1-line block ×3, first 2 shown]
	v_dual_mov_b32 v74, 0 :: v_dual_add_nc_u32 v75, 32, v201
	v_mov_b32_e32 v78, 0
	v_mov_b32_e32 v80, 0
	s_mov_b32 s18, exec_lo
	s_delay_alu instid0(VALU_DEP_3)
	v_cmpx_gt_i32_e64 s64, v75
	s_cbranch_execz .LBB125_104
; %bb.103:                              ;   in Loop: Header=BB125_77 Depth=2
	global_load_b128 v[77:80], v[2:3], off offset:-8
.LBB125_104:                            ;   in Loop: Header=BB125_77 Depth=2
	s_wait_alu 0xfffe
	s_or_b32 exec_lo, exec_lo, s18
	v_mov_b32_e32 v75, 0
	v_dual_mov_b32 v76, 0 :: v_dual_add_nc_u32 v81, 33, v201
	s_mov_b32 s18, exec_lo
	s_delay_alu instid0(VALU_DEP_1)
	v_cmpx_gt_i32_e64 s64, v81
	s_cbranch_execz .LBB125_106
; %bb.105:                              ;   in Loop: Header=BB125_77 Depth=2
	v_add_co_u32 v73, vcc_lo, v246, v211
	s_wait_alu 0xfffd
	v_add_co_ci_u32_e64 v74, null, v247, v212, vcc_lo
	global_load_b128 v[73:76], v[73:74], off
.LBB125_106:                            ;   in Loop: Header=BB125_77 Depth=2
	s_wait_alu 0xfffe
	s_or_b32 exec_lo, exec_lo, s18
	v_mov_b32_e32 v81, 0
	v_mov_b32_e32 v83, 0
	v_dual_mov_b32 v82, 0 :: v_dual_add_nc_u32 v101, 34, v201
	v_mov_b32_e32 v84, 0
	s_mov_b32 s18, exec_lo
	s_delay_alu instid0(VALU_DEP_2)
	v_cmpx_gt_i32_e64 s64, v101
	s_cbranch_execz .LBB125_108
; %bb.107:                              ;   in Loop: Header=BB125_77 Depth=2
	v_add_co_u32 v81, vcc_lo, v242, v211
	s_wait_alu 0xfffd
	v_add_co_ci_u32_e64 v82, null, v243, v212, vcc_lo
	global_load_b128 v[81:84], v[81:82], off
.LBB125_108:                            ;   in Loop: Header=BB125_77 Depth=2
	s_wait_alu 0xfffe
	s_or_b32 exec_lo, exec_lo, s18
	v_add_nc_u32_e32 v101, 35, v201
	s_delay_alu instid0(VALU_DEP_1)
	v_cmp_gt_i32_e64 s18, s64, v101
	s_branch .LBB125_111
.LBB125_109:                            ;   in Loop: Header=BB125_77 Depth=2
	s_mov_b32 s18, 0
                                        ; implicit-def: $vgpr83_vgpr84
                                        ; implicit-def: $vgpr75_vgpr76
                                        ; implicit-def: $vgpr79_vgpr80
	s_cbranch_execz .LBB125_111
; %bb.110:                              ;   in Loop: Header=BB125_77 Depth=2
	s_wait_loadcnt 0x0
	v_add_co_u32 v73, vcc_lo, v246, v211
	s_wait_alu 0xfffd
	v_add_co_ci_u32_e64 v74, null, v247, v212, vcc_lo
	v_add_co_u32 v81, vcc_lo, v238, v211
	s_wait_alu 0xfffd
	v_add_co_ci_u32_e64 v82, null, v239, v212, vcc_lo
	global_load_b128 v[77:80], v[2:3], off offset:-8
	global_load_b128 v[73:76], v[73:74], off
	global_load_b128 v[81:84], v[81:82], off offset:-8
	s_wait_alu 0xfffe
	s_or_b32 s18, s18, exec_lo
.LBB125_111:                            ;   in Loop: Header=BB125_77 Depth=2
	v_mov_b32_e32 v101, 0
	v_dual_mov_b32 v102, 0 :: v_dual_mov_b32 v103, 0
	v_mov_b32_e32 v104, 0
	s_wait_alu 0xfffe
	s_and_saveexec_b32 s65, s18
	s_cbranch_execz .LBB125_113
; %bb.112:                              ;   in Loop: Header=BB125_77 Depth=2
	v_add_co_u32 v2, vcc_lo, v234, v211
	s_wait_alu 0xfffd
	v_add_co_ci_u32_e64 v3, null, v235, v212, vcc_lo
	global_load_b128 v[101:104], v[2:3], off
.LBB125_113:                            ;   in Loop: Header=BB125_77 Depth=2
	s_wait_alu 0xfffe
	s_or_b32 exec_lo, exec_lo, s65
	ds_load_b128 v[109:112], v183
	ds_load_b128 v[105:108], v0 offset:512
	v_cmp_ne_u32_e32 vcc_lo, 1, v4
	s_and_b32 vcc_lo, exec_lo, vcc_lo
	s_wait_loadcnt_dscnt 0x1
	v_mul_f64_e32 v[2:3], v[79:80], v[111:112]
	v_mul_f64_e32 v[115:116], v[77:78], v[111:112]
	;; [unrolled: 1-line block ×5, first 2 shown]
	v_fma_f64 v[113:114], v[77:78], v[109:110], -v[2:3]
	v_mul_f64_e32 v[2:3], v[83:84], v[111:112]
	v_fma_f64 v[115:116], v[79:80], v[109:110], v[115:116]
	v_fma_f64 v[117:118], v[73:74], v[109:110], -v[117:118]
	v_fma_f64 v[119:120], v[75:76], v[109:110], v[119:120]
	v_fma_f64 v[127:128], v[83:84], v[109:110], v[121:122]
	ds_store_b128 v204, v[113:116]
	ds_store_b128 v204, v[117:120] offset:1072
	v_fma_f64 v[125:126], v[81:82], v[109:110], -v[2:3]
	v_mul_f64_e32 v[2:3], v[103:104], v[111:112]
	v_mul_f64_e32 v[111:112], v[101:102], v[111:112]
	ds_load_b128 v[121:124], v0 offset:528
	ds_load_b128 v[113:116], v0 offset:544
	v_fma_f64 v[129:130], v[101:102], v[109:110], -v[2:3]
	v_fma_f64 v[131:132], v[103:104], v[109:110], v[111:112]
	ds_store_b128 v204, v[125:128] offset:2144
	ds_load_b128 v[109:112], v0 offset:560
	v_add_co_u32 v2, s18, v230, v211
	s_wait_alu 0xf1ff
	v_add_co_ci_u32_e64 v3, null, v231, v212, s18
	ds_store_b128 v204, v[129:132] offset:3216
	s_wait_dscnt 0x0
	s_barrier_signal -1
	s_barrier_wait -1
	global_inv scope:SCOPE_SE
	ds_load_b128 v[169:172], v205
	ds_load_b128 v[165:168], v205 offset:16
	ds_load_b128 v[161:164], v205 offset:32
	;; [unrolled: 1-line block ×3, first 2 shown]
	s_wait_loadcnt_dscnt 0x0
	s_barrier_signal -1
	s_barrier_wait -1
	global_inv scope:SCOPE_SE
	s_wait_alu 0xfffe
	s_cbranch_vccnz .LBB125_121
; %bb.114:                              ;   in Loop: Header=BB125_77 Depth=2
	v_dual_mov_b32 v117, 0 :: v_dual_add_nc_u32 v4, 48, v201
	v_dual_mov_b32 v118, 0 :: v_dual_mov_b32 v125, 0
	v_dual_mov_b32 v126, 0 :: v_dual_mov_b32 v127, 0
	v_mov_b32_e32 v128, 0
	s_mov_b32 s18, exec_lo
	v_cmpx_gt_i32_e64 s64, v4
	s_cbranch_execz .LBB125_116
; %bb.115:                              ;   in Loop: Header=BB125_77 Depth=2
	global_load_b128 v[125:128], v[2:3], off
.LBB125_116:                            ;   in Loop: Header=BB125_77 Depth=2
	s_wait_alu 0xfffe
	s_or_b32 exec_lo, exec_lo, s18
	v_dual_mov_b32 v119, 0 :: v_dual_add_nc_u32 v4, 49, v201
	v_mov_b32_e32 v120, 0
	s_mov_b32 s18, exec_lo
	s_delay_alu instid0(VALU_DEP_2)
	v_cmpx_gt_i32_e64 s64, v4
	s_cbranch_execz .LBB125_118
; %bb.117:                              ;   in Loop: Header=BB125_77 Depth=2
	v_add_co_u32 v117, vcc_lo, v226, v211
	s_wait_alu 0xfffd
	v_add_co_ci_u32_e64 v118, null, v227, v212, vcc_lo
	global_load_b128 v[117:120], v[117:118], off
.LBB125_118:                            ;   in Loop: Header=BB125_77 Depth=2
	s_wait_alu 0xfffe
	s_or_b32 exec_lo, exec_lo, s18
	v_dual_mov_b32 v129, 0 :: v_dual_add_nc_u32 v4, 50, v201
	v_dual_mov_b32 v130, 0 :: v_dual_mov_b32 v131, 0
	v_mov_b32_e32 v132, 0
	s_mov_b32 s18, exec_lo
	s_delay_alu instid0(VALU_DEP_3)
	v_cmpx_gt_i32_e64 s64, v4
	s_cbranch_execz .LBB125_120
; %bb.119:                              ;   in Loop: Header=BB125_77 Depth=2
	v_add_co_u32 v129, vcc_lo, v222, v211
	s_wait_alu 0xfffd
	v_add_co_ci_u32_e64 v130, null, v223, v212, vcc_lo
	global_load_b128 v[129:132], v[129:130], off
.LBB125_120:                            ;   in Loop: Header=BB125_77 Depth=2
	s_wait_alu 0xfffe
	s_or_b32 exec_lo, exec_lo, s18
	v_add_nc_u32_e32 v4, 51, v201
	s_delay_alu instid0(VALU_DEP_1)
	v_cmp_gt_i32_e64 s18, s64, v4
	s_branch .LBB125_123
.LBB125_121:                            ;   in Loop: Header=BB125_77 Depth=2
	s_mov_b32 s18, 0
                                        ; implicit-def: $vgpr131_vgpr132
                                        ; implicit-def: $vgpr119_vgpr120
                                        ; implicit-def: $vgpr127_vgpr128
	s_cbranch_execz .LBB125_123
; %bb.122:                              ;   in Loop: Header=BB125_77 Depth=2
	s_wait_loadcnt 0x0
	v_add_co_u32 v117, vcc_lo, v226, v211
	s_wait_alu 0xfffd
	v_add_co_ci_u32_e64 v118, null, v227, v212, vcc_lo
	v_add_co_u32 v129, vcc_lo, v218, v211
	s_wait_alu 0xfffd
	v_add_co_ci_u32_e64 v130, null, v219, v212, vcc_lo
	global_load_b128 v[125:128], v[2:3], off
	global_load_b128 v[117:120], v[117:118], off
	global_load_b128 v[129:132], v[129:130], off offset:-8
	s_wait_alu 0xfffe
	s_or_b32 s18, s18, exec_lo
.LBB125_123:                            ;   in Loop: Header=BB125_77 Depth=2
	v_mov_b32_e32 v149, 0
	v_dual_mov_b32 v150, 0 :: v_dual_mov_b32 v151, 0
	v_mov_b32_e32 v152, 0
	s_wait_alu 0xfffe
	s_and_saveexec_b32 s65, s18
	s_cbranch_execz .LBB125_125
; %bb.124:                              ;   in Loop: Header=BB125_77 Depth=2
	v_add_co_u32 v2, vcc_lo, v214, v211
	s_wait_alu 0xfffd
	v_add_co_ci_u32_e64 v3, null, v215, v212, vcc_lo
	global_load_b128 v[149:152], v[2:3], off
.LBB125_125:                            ;   in Loop: Header=BB125_77 Depth=2
	s_wait_alu 0xfffe
	s_or_b32 exec_lo, exec_lo, s65
	ds_load_b128 v[189:192], v183
	ds_load_b128 v[153:156], v0 offset:768
	v_cmp_gt_i32_e32 vcc_lo, s64, v173
	s_or_b32 s18, s55, vcc_lo
	s_wait_alu 0xfffe
	s_and_b32 s55, s17, s18
	s_wait_loadcnt_dscnt 0x1
	v_mul_f64_e32 v[2:3], v[127:128], v[191:192]
	v_mul_f64_e32 v[193:194], v[129:130], v[191:192]
	;; [unrolled: 1-line block ×4, first 2 shown]
	s_delay_alu instid0(VALU_DEP_4)
	v_fma_f64 v[174:175], v[125:126], v[189:190], -v[2:3]
	v_mul_f64_e32 v[2:3], v[119:120], v[191:192]
	v_fma_f64 v[199:200], v[131:132], v[189:190], v[193:194]
	v_mul_f64_e32 v[193:194], v[149:150], v[191:192]
	v_fma_f64 v[176:177], v[127:128], v[189:190], v[176:177]
	v_fma_f64 v[187:188], v[119:120], v[189:190], v[187:188]
	v_fma_f64 v[185:186], v[117:118], v[189:190], -v[2:3]
	v_mul_f64_e32 v[2:3], v[131:132], v[191:192]
	v_fma_f64 v[193:194], v[151:152], v[189:190], v[193:194]
	s_delay_alu instid0(VALU_DEP_2) | instskip(SKIP_1) | instid1(VALU_DEP_1)
	v_fma_f64 v[197:198], v[129:130], v[189:190], -v[2:3]
	v_mul_f64_e32 v[2:3], v[151:152], v[191:192]
	v_fma_f64 v[191:192], v[149:150], v[189:190], -v[2:3]
	v_add_f64_e32 v[2:3], 0, v[169:170]
	v_add_f64_e32 v[169:170], 0, v[171:172]
	ds_store_b128 v204, v[174:177]
	ds_store_b128 v204, v[185:188] offset:1072
	ds_store_b128 v204, v[197:200] offset:2144
	;; [unrolled: 1-line block ×3, first 2 shown]
	v_add_f64_e32 v[2:3], v[2:3], v[165:166]
	v_add_f64_e32 v[165:166], v[169:170], v[167:168]
	s_delay_alu instid0(VALU_DEP_2) | instskip(NEXT) | instid1(VALU_DEP_2)
	v_add_f64_e32 v[2:3], v[2:3], v[161:162]
	v_add_f64_e32 v[161:162], v[165:166], v[163:164]
	s_delay_alu instid0(VALU_DEP_2) | instskip(SKIP_2) | instid1(VALU_DEP_4)
	v_add_f64_e32 v[157:158], v[2:3], v[157:158]
	v_add_f64_e32 v[2:3], 0, v[97:98]
	v_add_f64_e32 v[97:98], 0, v[99:100]
	v_add_f64_e32 v[159:160], v[161:162], v[159:160]
	s_delay_alu instid0(VALU_DEP_3) | instskip(NEXT) | instid1(VALU_DEP_3)
	v_add_f64_e32 v[2:3], v[2:3], v[93:94]
	v_add_f64_e32 v[93:94], v[97:98], v[95:96]
	s_delay_alu instid0(VALU_DEP_2) | instskip(NEXT) | instid1(VALU_DEP_2)
	v_add_f64_e32 v[2:3], v[2:3], v[89:90]
	v_add_f64_e32 v[89:90], v[93:94], v[91:92]
	s_delay_alu instid0(VALU_DEP_2) | instskip(SKIP_2) | instid1(VALU_DEP_4)
	v_add_f64_e32 v[97:98], v[2:3], v[85:86]
	v_add_f64_e32 v[85:86], 0, v[147:148]
	;; [unrolled: 1-line block ×4, first 2 shown]
	s_delay_alu instid0(VALU_DEP_3) | instskip(NEXT) | instid1(VALU_DEP_3)
	v_add_f64_e32 v[85:86], v[85:86], v[143:144]
	v_add_f64_e32 v[2:3], v[2:3], v[141:142]
	s_delay_alu instid0(VALU_DEP_2) | instskip(NEXT) | instid1(VALU_DEP_2)
	v_add_f64_e32 v[85:86], v[85:86], v[139:140]
	v_add_f64_e32 v[2:3], v[2:3], v[137:138]
	s_delay_alu instid0(VALU_DEP_2)
	v_add_f64_e32 v[135:136], v[85:86], v[135:136]
	ds_load_b128 v[93:96], v0 offset:784
	ds_load_b128 v[89:92], v0 offset:800
	;; [unrolled: 1-line block ×3, first 2 shown]
	s_wait_dscnt 0x0
	s_barrier_signal -1
	s_barrier_wait -1
	global_inv scope:SCOPE_SE
	ds_load_b128 v[137:140], v205
	ds_load_b128 v[141:144], v205 offset:16
	v_add_f64_e32 v[133:134], v[2:3], v[133:134]
	s_wait_dscnt 0x1
	v_add_f64_e32 v[2:3], 0, v[137:138]
	v_add_f64_e32 v[137:138], 0, v[139:140]
	s_wait_dscnt 0x0
	s_delay_alu instid0(VALU_DEP_2) | instskip(NEXT) | instid1(VALU_DEP_2)
	v_add_f64_e32 v[2:3], v[2:3], v[141:142]
	v_add_f64_e32 v[145:146], v[137:138], v[143:144]
	ds_load_b128 v[137:140], v205 offset:32
	ds_load_b128 v[141:144], v205 offset:48
	s_wait_loadcnt_dscnt 0x0
	s_barrier_signal -1
	s_barrier_wait -1
	global_inv scope:SCOPE_SE
	ds_store_b128 v252, v[97:100]
	ds_store_b128 v252, v[133:136] offset:256
	ds_store_b128 v252, v[157:160] offset:512
	v_add_f64_e32 v[2:3], v[2:3], v[137:138]
	v_add_f64_e32 v[139:140], v[145:146], v[139:140]
	s_delay_alu instid0(VALU_DEP_2) | instskip(NEXT) | instid1(VALU_DEP_2)
	v_add_f64_e32 v[137:138], v[2:3], v[141:142]
	v_add_f64_e32 v[139:140], v[139:140], v[143:144]
	ds_store_b128 v252, v[137:140] offset:768
	s_wait_loadcnt_dscnt 0x0
	s_barrier_signal -1
	s_barrier_wait -1
	global_inv scope:SCOPE_SE
	s_wait_alu 0xfffe
	s_and_saveexec_b32 s18, s55
	s_cbranch_execz .LBB125_127
; %bb.126:                              ;   in Loop: Header=BB125_77 Depth=2
	ds_load_b128 v[97:100], v206
	ds_load_b128 v[133:136], v206 offset:16
	v_ashrrev_i32_e32 v181, 31, v180
	s_wait_dscnt 0x0
	v_add_f64_e32 v[2:3], v[133:134], v[97:98]
	v_add_f64_e32 v[137:138], v[135:136], v[99:100]
	ds_load_b128 v[97:100], v206 offset:32
	ds_load_b128 v[133:136], v206 offset:48
	s_wait_dscnt 0x1
	v_add_f64_e32 v[2:3], v[2:3], v[97:98]
	v_add_f64_e32 v[97:98], v[137:138], v[99:100]
	s_wait_dscnt 0x0
	s_delay_alu instid0(VALU_DEP_2) | instskip(NEXT) | instid1(VALU_DEP_2)
	v_add_f64_e32 v[2:3], v[2:3], v[133:134]
	v_add_f64_e32 v[137:138], v[97:98], v[135:136]
	ds_load_b128 v[97:100], v206 offset:64
	ds_load_b128 v[133:136], v206 offset:80
	s_wait_dscnt 0x1
	v_add_f64_e32 v[2:3], v[2:3], v[97:98]
	v_add_f64_e32 v[97:98], v[137:138], v[99:100]
	s_wait_dscnt 0x0
	s_delay_alu instid0(VALU_DEP_2) | instskip(NEXT) | instid1(VALU_DEP_2)
	;; [unrolled: 9-line block ×6, first 2 shown]
	v_add_f64_e32 v[2:3], v[2:3], v[133:134]
	v_add_f64_e32 v[137:138], v[97:98], v[135:136]
	ds_load_b128 v[97:100], v206 offset:224
	ds_load_b128 v[133:136], v207
	s_wait_dscnt 0x1
	v_add_f64_e32 v[2:3], v[2:3], v[97:98]
	v_add_f64_e32 v[99:100], v[137:138], v[99:100]
	s_wait_dscnt 0x0
	s_delay_alu instid0(VALU_DEP_2) | instskip(NEXT) | instid1(VALU_DEP_2)
	v_add_f64_e32 v[97:98], v[2:3], v[133:134]
	v_add_f64_e32 v[99:100], v[99:100], v[135:136]
	v_lshlrev_b64_e32 v[2:3], 4, v[180:181]
	s_delay_alu instid0(VALU_DEP_1) | instskip(SKIP_1) | instid1(VALU_DEP_2)
	v_add_co_u32 v2, vcc_lo, s52, v2
	s_wait_alu 0xfffd
	v_add_co_ci_u32_e64 v3, null, s53, v3, vcc_lo
	global_store_b128 v[2:3], v[97:100], off
.LBB125_127:                            ;   in Loop: Header=BB125_77 Depth=2
	s_wait_alu 0xfffe
	s_or_b32 exec_lo, exec_lo, s18
	v_mul_f64_e32 v[2:3], v[15:16], v[27:28]
	v_add_co_u32 v210, vcc_lo, v210, s48
	s_wait_alu 0xfffd
	v_add_co_ci_u32_e64 v213, null, s49, v213, vcc_lo
	v_add_co_u32 v214, vcc_lo, v214, s48
	s_wait_alu 0xfffd
	v_add_co_ci_u32_e64 v215, null, s49, v215, vcc_lo
	v_add_co_u32 v216, vcc_lo, v216, s48
	s_wait_alu 0xfffd
	v_add_co_ci_u32_e64 v217, null, s49, v217, vcc_lo
	v_add_co_u32 v218, vcc_lo, v218, s48
	s_wait_alu 0xfffd
	v_add_co_ci_u32_e64 v219, null, s49, v219, vcc_lo
	v_add_co_u32 v220, vcc_lo, v220, s48
	s_wait_alu 0xfffd
	v_add_co_ci_u32_e64 v221, null, s49, v221, vcc_lo
	v_add_co_u32 v222, vcc_lo, v222, s48
	s_wait_alu 0xfffd
	v_add_co_ci_u32_e64 v223, null, s49, v223, vcc_lo
	v_add_co_u32 v224, vcc_lo, v224, s48
	s_wait_alu 0xfffd
	v_add_co_ci_u32_e64 v225, null, s49, v225, vcc_lo
	v_add_co_u32 v226, vcc_lo, v226, s48
	s_wait_alu 0xfffd
	v_add_co_ci_u32_e64 v227, null, s49, v227, vcc_lo
	v_add_co_u32 v228, vcc_lo, v228, s48
	s_wait_alu 0xfffd
	v_add_co_ci_u32_e64 v229, null, s49, v229, vcc_lo
	v_add_co_u32 v230, vcc_lo, v230, s48
	v_fma_f64 v[2:3], v[13:14], v[25:26], -v[2:3]
	v_mul_f64_e32 v[13:14], v[13:14], v[27:28]
	v_mul_f64_e32 v[27:28], v[43:44], v[71:72]
	s_wait_alu 0xfffd
	v_add_co_ci_u32_e64 v231, null, s49, v231, vcc_lo
	v_add_co_u32 v232, vcc_lo, v232, s48
	s_wait_alu 0xfffd
	v_add_co_ci_u32_e64 v233, null, s49, v233, vcc_lo
	v_add_co_u32 v234, vcc_lo, v234, s48
	;; [unrolled: 3-line block ×9, first 2 shown]
	v_fma_f64 v[13:14], v[15:16], v[25:26], v[13:14]
	v_mul_f64_e32 v[15:16], v[11:12], v[39:40]
	v_add_f64_e32 v[2:3], v[5:6], v[2:3]
	v_mul_f64_e32 v[25:26], v[45:46], v[59:60]
	v_fma_f64 v[27:28], v[41:42], v[69:70], -v[27:28]
	s_wait_alu 0xfffd
	v_add_co_ci_u32_e64 v249, null, s49, v249, vcc_lo
	v_add_co_u32 v250, vcc_lo, v250, s48
	v_add_nc_u32_e32 v180, 64, v180
	s_wait_alu 0xfffd
	v_add_co_ci_u32_e64 v184, null, s49, v184, vcc_lo
	s_add_co_i32 s55, s63, 2
	s_add_co_i32 s18, s63, 1
	;; [unrolled: 1-line block ×3, first 2 shown]
	s_wait_alu 0xfffe
	s_cmp_ge_u32 s55, s28
	s_wait_loadcnt 0x0
	s_wait_storecnt 0x0
	s_barrier_signal -1
	s_barrier_wait -1
	global_inv scope:SCOPE_SE
	v_add_f64_e32 v[4:5], v[7:8], v[13:14]
	v_fma_f64 v[15:16], v[9:10], v[37:38], -v[15:16]
	v_mul_f64_e32 v[9:10], v[9:10], v[39:40]
	v_fma_f64 v[25:26], v[47:48], v[57:58], v[25:26]
	v_mul_f64_e32 v[39:40], v[79:80], v[107:108]
	s_delay_alu instid0(VALU_DEP_4) | instskip(NEXT) | instid1(VALU_DEP_4)
	v_add_f64_e32 v[2:3], v[2:3], v[15:16]
	v_fma_f64 v[9:10], v[11:12], v[37:38], v[9:10]
	v_mul_f64_e32 v[11:12], v[19:20], v[35:36]
	v_mul_f64_e32 v[37:38], v[53:54], v[63:64]
	v_fma_f64 v[39:40], v[77:78], v[105:106], -v[39:40]
	s_delay_alu instid0(VALU_DEP_4) | instskip(NEXT) | instid1(VALU_DEP_4)
	v_add_f64_e32 v[4:5], v[4:5], v[9:10]
	v_fma_f64 v[11:12], v[17:18], v[33:34], -v[11:12]
	v_mul_f64_e32 v[17:18], v[17:18], v[35:36]
	v_mul_f64_e32 v[35:36], v[55:56], v[63:64]
	v_fma_f64 v[37:38], v[55:56], v[61:62], v[37:38]
	v_mul_f64_e32 v[55:56], v[127:128], v[155:156]
	v_mul_f64_e32 v[63:64], v[131:132], v[91:92]
	v_add_f64_e32 v[2:3], v[2:3], v[11:12]
	v_fma_f64 v[17:18], v[19:20], v[33:34], v[17:18]
	v_mul_f64_e32 v[19:20], v[23:24], v[31:32]
	v_mul_f64_e32 v[33:34], v[49:50], v[67:68]
	v_fma_f64 v[35:36], v[53:54], v[61:62], -v[35:36]
	v_mul_f64_e32 v[53:54], v[101:102], v[111:112]
	v_fma_f64 v[55:56], v[125:126], v[153:154], -v[55:56]
	v_mul_f64_e32 v[61:62], v[117:118], v[95:96]
	v_fma_f64 v[63:64], v[129:130], v[89:90], -v[63:64]
	v_add_f64_e32 v[4:5], v[4:5], v[17:18]
	v_fma_f64 v[19:20], v[21:22], v[29:30], -v[19:20]
	v_mul_f64_e32 v[21:22], v[21:22], v[31:32]
	v_mul_f64_e32 v[31:32], v[51:52], v[67:68]
	v_fma_f64 v[33:34], v[51:52], v[65:66], v[33:34]
	v_mul_f64_e32 v[51:52], v[103:104], v[111:112]
	v_fma_f64 v[53:54], v[103:104], v[109:110], v[53:54]
	v_fma_f64 v[61:62], v[119:120], v[93:94], v[61:62]
	v_mul_f64_e32 v[67:68], v[151:152], v[87:88]
	v_add_f64_e32 v[2:3], v[2:3], v[19:20]
	v_fma_f64 v[21:22], v[23:24], v[29:30], v[21:22]
	v_mul_f64_e32 v[23:24], v[47:48], v[59:60]
	v_mul_f64_e32 v[29:30], v[41:42], v[71:72]
	v_fma_f64 v[31:32], v[49:50], v[65:66], -v[31:32]
	v_mul_f64_e32 v[41:42], v[77:78], v[107:108]
	v_mul_f64_e32 v[47:48], v[83:84], v[115:116]
	;; [unrolled: 1-line block ×3, first 2 shown]
	v_fma_f64 v[51:52], v[101:102], v[109:110], -v[51:52]
	v_mul_f64_e32 v[59:60], v[119:120], v[95:96]
	v_mul_f64_e32 v[65:66], v[129:130], v[91:92]
	v_fma_f64 v[67:68], v[149:150], v[85:86], -v[67:68]
	v_add_f64_e32 v[4:5], v[4:5], v[21:22]
	v_fma_f64 v[23:24], v[45:46], v[57:58], -v[23:24]
	v_fma_f64 v[29:30], v[43:44], v[69:70], v[29:30]
	v_mul_f64_e32 v[43:44], v[75:76], v[123:124]
	v_fma_f64 v[41:42], v[79:80], v[105:106], v[41:42]
	v_mul_f64_e32 v[45:46], v[73:74], v[123:124]
	v_fma_f64 v[47:48], v[81:82], v[113:114], -v[47:48]
	v_fma_f64 v[49:50], v[83:84], v[113:114], v[49:50]
	v_mul_f64_e32 v[57:58], v[125:126], v[155:156]
	v_fma_f64 v[59:60], v[117:118], v[93:94], -v[59:60]
	v_fma_f64 v[65:66], v[131:132], v[89:90], v[65:66]
	v_mul_f64_e32 v[69:70], v[149:150], v[87:88]
	v_add_f64_e32 v[4:5], v[4:5], v[25:26]
	v_add_f64_e32 v[2:3], v[2:3], v[23:24]
	v_fma_f64 v[43:44], v[73:74], v[121:122], -v[43:44]
	v_fma_f64 v[45:46], v[75:76], v[121:122], v[45:46]
	v_fma_f64 v[57:58], v[127:128], v[153:154], v[57:58]
	;; [unrolled: 1-line block ×3, first 2 shown]
	v_add_f64_e32 v[4:5], v[4:5], v[29:30]
	v_add_f64_e32 v[2:3], v[2:3], v[27:28]
	s_delay_alu instid0(VALU_DEP_2) | instskip(NEXT) | instid1(VALU_DEP_2)
	v_add_f64_e32 v[4:5], v[4:5], v[33:34]
	v_add_f64_e32 v[2:3], v[2:3], v[31:32]
	s_delay_alu instid0(VALU_DEP_2) | instskip(NEXT) | instid1(VALU_DEP_2)
	;; [unrolled: 3-line block ×10, first 2 shown]
	v_add_f64_e32 v[7:8], v[7:8], v[69:70]
	v_add_f64_e32 v[5:6], v[2:3], v[67:68]
	s_cbranch_scc1 .LBB125_129
; %bb.128:                              ;   in Loop: Header=BB125_77 Depth=2
	s_mov_b32 s63, s18
	s_wait_alu 0xfffe
	s_cmp_eq_u32 s58, s63
	s_cselect_b32 s64, s33, 0
	s_and_saveexec_b32 s18, s0
	s_cbranch_execnz .LBB125_73
	s_branch .LBB125_77
.LBB125_129:                            ;   in Loop: Header=BB125_4 Depth=1
	scratch_load_b32 v2, off, off offset:28 ; 4-byte Folded Reload
	s_wait_loadcnt 0x0
	ds_store_b128 v2, v[5:8]
	s_wait_dscnt 0x0
	s_barrier_signal -1
	s_barrier_wait -1
	global_inv scope:SCOPE_SE
	s_and_saveexec_b32 s18, s60
	s_cbranch_execz .LBB125_2
; %bb.130:                              ;   in Loop: Header=BB125_4 Depth=1
	v_lshlrev_b32_e32 v14, 4, v173
	ds_load_b128 v[2:5], v14 offset:1072
	ds_load_b128 v[6:9], v14
	s_wait_dscnt 0x0
	v_add_f64_e32 v[10:11], v[2:3], v[6:7]
	v_add_f64_e32 v[12:13], v[4:5], v[8:9]
	ds_load_b128 v[2:5], v14 offset:2144
	ds_load_b128 v[6:9], v14 offset:3216
	s_wait_dscnt 0x1
	v_add_f64_e32 v[2:3], v[10:11], v[2:3]
	v_add_f64_e32 v[4:5], v[12:13], v[4:5]
	s_wait_dscnt 0x0
	s_delay_alu instid0(VALU_DEP_2)
	v_add_f64_e32 v[2:3], v[2:3], v[6:7]
	scratch_load_b64 v[6:7], off, off offset:200 ; 8-byte Folded Reload
	v_add_f64_e32 v[4:5], v[4:5], v[8:9]
	s_wait_loadcnt 0x0
	s_wait_alu 0xfffe
	v_add_co_u32 v6, vcc_lo, s52, v6
	s_wait_alu 0xfffd
	v_add_co_ci_u32_e64 v7, null, s53, v7, vcc_lo
	global_store_b128 v[6:7], v[2:5], off
	s_branch .LBB125_2
.LBB125_131:                            ;   in Loop: Header=BB125_4 Depth=1
	scratch_load_b32 v8, off, off           ; 4-byte Folded Reload
	ds_load_b128 v[4:7], v182
	s_wait_loadcnt_dscnt 0x0
	ds_store_b128 v8, v[4:7]
	s_wait_alu 0xfffe
	s_or_b32 exec_lo, exec_lo, s18
	s_and_saveexec_b32 s18, s7
	s_cbranch_execz .LBB125_27
.LBB125_132:                            ;   in Loop: Header=BB125_4 Depth=1
	scratch_load_b32 v8, off, off           ; 4-byte Folded Reload
	ds_load_b128 v[4:7], v209
	s_wait_loadcnt 0x0
	v_add_nc_u32_e32 v8, 16, v8
	s_wait_dscnt 0x0
	ds_store_b128 v8, v[4:7]
	s_wait_alu 0xfffe
	s_or_b32 exec_lo, exec_lo, s18
	s_and_saveexec_b32 s18, s8
	s_cbranch_execz .LBB125_28
.LBB125_133:                            ;   in Loop: Header=BB125_4 Depth=1
	scratch_load_b32 v8, off, off           ; 4-byte Folded Reload
	v_add_nc_u32_e32 v4, 0x210, v209
	ds_load_b128 v[4:7], v4
	s_wait_loadcnt 0x0
	v_add_nc_u32_e32 v8, 32, v8
	s_wait_dscnt 0x0
	ds_store_b128 v8, v[4:7]
	s_wait_alu 0xfffe
	s_or_b32 exec_lo, exec_lo, s18
	s_and_saveexec_b32 s18, s9
	s_cbranch_execnz .LBB125_29
	s_branch .LBB125_30
.LBB125_134:                            ;   in Loop: Header=BB125_4 Depth=1
	ds_load_b128 v[11:14], v182
	s_wait_dscnt 0x0
	ds_store_b128 v208, v[11:14]
	s_wait_alu 0xfffe
	s_or_b32 exec_lo, exec_lo, s18
	s_and_saveexec_b32 s18, s7
	s_cbranch_execz .LBB125_48
.LBB125_135:                            ;   in Loop: Header=BB125_4 Depth=1
	ds_load_b128 v[11:14], v209
	v_add_nc_u32_e32 v2, 16, v208
	s_wait_dscnt 0x0
	ds_store_b128 v2, v[11:14]
	s_wait_alu 0xfffe
	s_or_b32 exec_lo, exec_lo, s18
	s_and_saveexec_b32 s18, s8
	s_cbranch_execz .LBB125_49
.LBB125_136:                            ;   in Loop: Header=BB125_4 Depth=1
	v_add_nc_u32_e32 v2, 0x210, v209
	ds_load_b128 v[11:14], v2
	v_add_nc_u32_e32 v2, 32, v208
	s_wait_dscnt 0x0
	ds_store_b128 v2, v[11:14]
	s_wait_alu 0xfffe
	s_or_b32 exec_lo, exec_lo, s18
	s_and_saveexec_b32 s18, s9
	s_cbranch_execnz .LBB125_50
	s_branch .LBB125_51
.LBB125_137:                            ;   in Loop: Header=BB125_4 Depth=1
	global_load_b128 v[9:12], v[7:8], off
	s_wait_loadcnt 0x0
	ds_store_2addr_b64 v251, v[9:10], v[11:12] offset1:1
	s_or_b32 exec_lo, exec_lo, s18
	s_and_saveexec_b32 s18, s3
	s_wait_alu 0xfffe
	s_xor_b32 s18, exec_lo, s18
	s_cbranch_execz .LBB125_16
.LBB125_138:                            ;   in Loop: Header=BB125_4 Depth=1
	v_dual_mov_b32 v2, v1 :: v_dual_mov_b32 v3, v1
	v_dual_mov_b32 v4, v1 :: v_dual_add_nc_u32 v9, 0x1080, v251
	ds_store_b128 v9, v[1:4]
	s_wait_alu 0xfffe
	s_and_not1_saveexec_b32 s18, s18
	s_cbranch_execz .LBB125_17
.LBB125_139:                            ;   in Loop: Header=BB125_4 Depth=1
	s_lshl_b64 s[52:53], s[36:37], 4
	s_wait_alu 0xfffe
	v_add_co_u32 v2, vcc_lo, v7, s52
	s_wait_alu 0xfffd
	v_add_co_ci_u32_e64 v3, null, s53, v8, vcc_lo
	global_load_b128 v[9:12], v[2:3], off
	v_add_nc_u32_e32 v2, 0x1080, v251
	s_wait_loadcnt 0x0
	ds_store_2addr_b64 v2, v[9:10], v[11:12] offset1:1
	s_or_b32 exec_lo, exec_lo, s18
	s_and_saveexec_b32 s18, s4
	s_wait_alu 0xfffe
	s_xor_b32 s18, exec_lo, s18
	s_cbranch_execz .LBB125_18
.LBB125_140:                            ;   in Loop: Header=BB125_4 Depth=1
	v_dual_mov_b32 v2, v1 :: v_dual_mov_b32 v3, v1
	v_dual_mov_b32 v4, v1 :: v_dual_add_nc_u32 v9, 0x2100, v251
	ds_store_b128 v9, v[1:4]
	s_wait_alu 0xfffe
	s_and_not1_saveexec_b32 s18, s18
	s_cbranch_execz .LBB125_19
.LBB125_141:                            ;   in Loop: Header=BB125_4 Depth=1
	v_add_co_u32 v2, vcc_lo, v7, s46
	s_wait_alu 0xfffd
	v_add_co_ci_u32_e64 v3, null, s47, v8, vcc_lo
	global_load_b128 v[9:12], v[2:3], off
	v_add_nc_u32_e32 v2, 0x2100, v251
	s_wait_loadcnt 0x0
	ds_store_2addr_b64 v2, v[9:10], v[11:12] offset1:1
	s_wait_alu 0xfffe
	s_or_b32 exec_lo, exec_lo, s18
	s_and_saveexec_b32 s18, s5
	s_wait_alu 0xfffe
	s_xor_b32 s18, exec_lo, s18
	s_cbranch_execz .LBB125_20
.LBB125_142:                            ;   in Loop: Header=BB125_4 Depth=1
	v_dual_mov_b32 v2, v1 :: v_dual_mov_b32 v3, v1
	v_dual_mov_b32 v4, v1 :: v_dual_add_nc_u32 v9, 0x3180, v251
	ds_store_b128 v9, v[1:4]
	s_wait_alu 0xfffe
	s_and_not1_saveexec_b32 s18, s18
	s_cbranch_execnz .LBB125_21
	s_branch .LBB125_22
.LBB125_143:                            ;   in Loop: Header=BB125_4 Depth=1
	global_load_b128 v[15:18], v[9:10], off
	s_wait_loadcnt 0x0
	ds_store_2addr_b64 v251, v[15:16], v[17:18] offset1:1
	s_or_b32 exec_lo, exec_lo, s18
	s_and_saveexec_b32 s18, s13
	s_wait_alu 0xfffe
	s_xor_b32 s18, exec_lo, s18
	s_cbranch_execz .LBB125_37
.LBB125_144:                            ;   in Loop: Header=BB125_4 Depth=1
	v_dual_mov_b32 v2, v1 :: v_dual_mov_b32 v3, v1
	v_dual_mov_b32 v4, v1 :: v_dual_add_nc_u32 v15, 0x1080, v251
	ds_store_b128 v15, v[1:4]
	s_wait_alu 0xfffe
	s_and_not1_saveexec_b32 s18, s18
	s_cbranch_execz .LBB125_38
.LBB125_145:                            ;   in Loop: Header=BB125_4 Depth=1
	s_lshl_b64 s[52:53], s[36:37], 4
	s_wait_alu 0xfffe
	v_add_co_u32 v2, vcc_lo, v9, s52
	s_wait_alu 0xfffd
	v_add_co_ci_u32_e64 v3, null, s53, v10, vcc_lo
	global_load_b128 v[15:18], v[2:3], off
	v_add_nc_u32_e32 v2, 0x1080, v251
	s_wait_loadcnt 0x0
	ds_store_2addr_b64 v2, v[15:16], v[17:18] offset1:1
	s_or_b32 exec_lo, exec_lo, s18
	s_and_saveexec_b32 s18, s14
	s_wait_alu 0xfffe
	s_xor_b32 s18, exec_lo, s18
	s_cbranch_execz .LBB125_39
.LBB125_146:                            ;   in Loop: Header=BB125_4 Depth=1
	v_dual_mov_b32 v2, v1 :: v_dual_mov_b32 v3, v1
	v_dual_mov_b32 v4, v1 :: v_dual_add_nc_u32 v15, 0x2100, v251
	ds_store_b128 v15, v[1:4]
	s_wait_alu 0xfffe
	s_and_not1_saveexec_b32 s18, s18
	s_cbranch_execz .LBB125_40
.LBB125_147:                            ;   in Loop: Header=BB125_4 Depth=1
	v_add_co_u32 v2, vcc_lo, v9, s46
	s_wait_alu 0xfffd
	v_add_co_ci_u32_e64 v3, null, s47, v10, vcc_lo
	global_load_b128 v[15:18], v[2:3], off
	v_add_nc_u32_e32 v2, 0x2100, v251
	s_wait_loadcnt 0x0
	ds_store_2addr_b64 v2, v[15:16], v[17:18] offset1:1
	s_wait_alu 0xfffe
	s_or_b32 exec_lo, exec_lo, s18
	s_and_saveexec_b32 s18, s15
	s_wait_alu 0xfffe
	s_xor_b32 s18, exec_lo, s18
	s_cbranch_execz .LBB125_41
.LBB125_148:                            ;   in Loop: Header=BB125_4 Depth=1
	v_dual_mov_b32 v2, v1 :: v_dual_mov_b32 v3, v1
	v_dual_mov_b32 v4, v1 :: v_dual_add_nc_u32 v15, 0x3180, v251
	ds_store_b128 v15, v[1:4]
	s_wait_alu 0xfffe
	s_and_not1_saveexec_b32 s18, s18
	s_cbranch_execnz .LBB125_42
	s_branch .LBB125_43
.LBB125_149:                            ;   in Loop: Header=BB125_4 Depth=1
	global_load_b128 v[15:18], v[13:14], off
	s_wait_loadcnt 0x0
	ds_store_2addr_b64 v251, v[15:16], v[17:18] offset1:1
	s_or_b32 exec_lo, exec_lo, s18
	s_and_saveexec_b32 s18, s13
	s_wait_alu 0xfffe
	s_xor_b32 s18, exec_lo, s18
	s_cbranch_execz .LBB125_58
.LBB125_150:                            ;   in Loop: Header=BB125_4 Depth=1
	v_dual_mov_b32 v2, v1 :: v_dual_mov_b32 v3, v1
	v_dual_mov_b32 v4, v1 :: v_dual_add_nc_u32 v15, 0x1080, v251
	ds_store_b128 v15, v[1:4]
	s_wait_alu 0xfffe
	s_and_not1_saveexec_b32 s18, s18
	s_cbranch_execz .LBB125_59
.LBB125_151:                            ;   in Loop: Header=BB125_4 Depth=1
	s_lshl_b64 s[52:53], s[36:37], 4
	s_wait_alu 0xfffe
	v_add_co_u32 v2, vcc_lo, v13, s52
	s_wait_alu 0xfffd
	v_add_co_ci_u32_e64 v3, null, s53, v14, vcc_lo
	global_load_b128 v[15:18], v[2:3], off
	v_add_nc_u32_e32 v2, 0x1080, v251
	s_wait_loadcnt 0x0
	ds_store_2addr_b64 v2, v[15:16], v[17:18] offset1:1
	s_or_b32 exec_lo, exec_lo, s18
	s_and_saveexec_b32 s18, s14
	s_wait_alu 0xfffe
	s_xor_b32 s18, exec_lo, s18
	s_cbranch_execz .LBB125_60
.LBB125_152:                            ;   in Loop: Header=BB125_4 Depth=1
	v_dual_mov_b32 v2, v1 :: v_dual_mov_b32 v3, v1
	v_dual_mov_b32 v4, v1 :: v_dual_add_nc_u32 v15, 0x2100, v251
	ds_store_b128 v15, v[1:4]
	s_wait_alu 0xfffe
	s_and_not1_saveexec_b32 s18, s18
	s_cbranch_execz .LBB125_61
.LBB125_153:                            ;   in Loop: Header=BB125_4 Depth=1
	v_add_co_u32 v2, vcc_lo, v13, s46
	s_wait_alu 0xfffd
	v_add_co_ci_u32_e64 v3, null, s47, v14, vcc_lo
	global_load_b128 v[15:18], v[2:3], off
	v_add_nc_u32_e32 v2, 0x2100, v251
	s_wait_loadcnt 0x0
	ds_store_2addr_b64 v2, v[15:16], v[17:18] offset1:1
	s_wait_alu 0xfffe
	s_or_b32 exec_lo, exec_lo, s18
	s_and_saveexec_b32 s18, s15
	s_wait_alu 0xfffe
	s_xor_b32 s18, exec_lo, s18
	s_cbranch_execz .LBB125_62
.LBB125_154:                            ;   in Loop: Header=BB125_4 Depth=1
	v_dual_mov_b32 v2, v1 :: v_dual_mov_b32 v3, v1
	v_dual_mov_b32 v4, v1 :: v_dual_add_nc_u32 v15, 0x3180, v251
	ds_store_b128 v15, v[1:4]
	s_wait_alu 0xfffe
	s_and_not1_saveexec_b32 s18, s18
	s_cbranch_execnz .LBB125_63
	s_branch .LBB125_64
.LBB125_155:
	s_nop 0
	s_sendmsg sendmsg(MSG_DEALLOC_VGPRS)
	s_endpgm
	.section	.rodata,"a",@progbits
	.p2align	6, 0x0
	.amdhsa_kernel _ZL26rocblas_hemvn_kernel_upperILb0ELi64ELi4ELi33ELi32ELi16Ei19rocblas_complex_numIdEPKS1_PS1_EviT6_lT7_lT5_lS6_lS7_lS5_lT8_i
		.amdhsa_group_segment_fixed_size 19200
		.amdhsa_private_segment_fixed_size 212
		.amdhsa_kernarg_size 392
		.amdhsa_user_sgpr_count 2
		.amdhsa_user_sgpr_dispatch_ptr 0
		.amdhsa_user_sgpr_queue_ptr 0
		.amdhsa_user_sgpr_kernarg_segment_ptr 1
		.amdhsa_user_sgpr_dispatch_id 0
		.amdhsa_user_sgpr_private_segment_size 0
		.amdhsa_wavefront_size32 1
		.amdhsa_uses_dynamic_stack 0
		.amdhsa_enable_private_segment 1
		.amdhsa_system_sgpr_workgroup_id_x 1
		.amdhsa_system_sgpr_workgroup_id_y 0
		.amdhsa_system_sgpr_workgroup_id_z 1
		.amdhsa_system_sgpr_workgroup_info 0
		.amdhsa_system_vgpr_workitem_id 1
		.amdhsa_next_free_vgpr 256
		.amdhsa_next_free_sgpr 78
		.amdhsa_reserve_vcc 1
		.amdhsa_float_round_mode_32 0
		.amdhsa_float_round_mode_16_64 0
		.amdhsa_float_denorm_mode_32 3
		.amdhsa_float_denorm_mode_16_64 3
		.amdhsa_fp16_overflow 0
		.amdhsa_workgroup_processor_mode 1
		.amdhsa_memory_ordered 1
		.amdhsa_forward_progress 1
		.amdhsa_inst_pref_size 112
		.amdhsa_round_robin_scheduling 0
		.amdhsa_exception_fp_ieee_invalid_op 0
		.amdhsa_exception_fp_denorm_src 0
		.amdhsa_exception_fp_ieee_div_zero 0
		.amdhsa_exception_fp_ieee_overflow 0
		.amdhsa_exception_fp_ieee_underflow 0
		.amdhsa_exception_fp_ieee_inexact 0
		.amdhsa_exception_int_div_zero 0
	.end_amdhsa_kernel
	.section	.text._ZL26rocblas_hemvn_kernel_upperILb0ELi64ELi4ELi33ELi32ELi16Ei19rocblas_complex_numIdEPKS1_PS1_EviT6_lT7_lT5_lS6_lS7_lS5_lT8_i,"axG",@progbits,_ZL26rocblas_hemvn_kernel_upperILb0ELi64ELi4ELi33ELi32ELi16Ei19rocblas_complex_numIdEPKS1_PS1_EviT6_lT7_lT5_lS6_lS7_lS5_lT8_i,comdat
.Lfunc_end125:
	.size	_ZL26rocblas_hemvn_kernel_upperILb0ELi64ELi4ELi33ELi32ELi16Ei19rocblas_complex_numIdEPKS1_PS1_EviT6_lT7_lT5_lS6_lS7_lS5_lT8_i, .Lfunc_end125-_ZL26rocblas_hemvn_kernel_upperILb0ELi64ELi4ELi33ELi32ELi16Ei19rocblas_complex_numIdEPKS1_PS1_EviT6_lT7_lT5_lS6_lS7_lS5_lT8_i
                                        ; -- End function
	.set _ZL26rocblas_hemvn_kernel_upperILb0ELi64ELi4ELi33ELi32ELi16Ei19rocblas_complex_numIdEPKS1_PS1_EviT6_lT7_lT5_lS6_lS7_lS5_lT8_i.num_vgpr, 256
	.set _ZL26rocblas_hemvn_kernel_upperILb0ELi64ELi4ELi33ELi32ELi16Ei19rocblas_complex_numIdEPKS1_PS1_EviT6_lT7_lT5_lS6_lS7_lS5_lT8_i.num_agpr, 0
	.set _ZL26rocblas_hemvn_kernel_upperILb0ELi64ELi4ELi33ELi32ELi16Ei19rocblas_complex_numIdEPKS1_PS1_EviT6_lT7_lT5_lS6_lS7_lS5_lT8_i.numbered_sgpr, 78
	.set _ZL26rocblas_hemvn_kernel_upperILb0ELi64ELi4ELi33ELi32ELi16Ei19rocblas_complex_numIdEPKS1_PS1_EviT6_lT7_lT5_lS6_lS7_lS5_lT8_i.num_named_barrier, 0
	.set _ZL26rocblas_hemvn_kernel_upperILb0ELi64ELi4ELi33ELi32ELi16Ei19rocblas_complex_numIdEPKS1_PS1_EviT6_lT7_lT5_lS6_lS7_lS5_lT8_i.private_seg_size, 212
	.set _ZL26rocblas_hemvn_kernel_upperILb0ELi64ELi4ELi33ELi32ELi16Ei19rocblas_complex_numIdEPKS1_PS1_EviT6_lT7_lT5_lS6_lS7_lS5_lT8_i.uses_vcc, 1
	.set _ZL26rocblas_hemvn_kernel_upperILb0ELi64ELi4ELi33ELi32ELi16Ei19rocblas_complex_numIdEPKS1_PS1_EviT6_lT7_lT5_lS6_lS7_lS5_lT8_i.uses_flat_scratch, 1
	.set _ZL26rocblas_hemvn_kernel_upperILb0ELi64ELi4ELi33ELi32ELi16Ei19rocblas_complex_numIdEPKS1_PS1_EviT6_lT7_lT5_lS6_lS7_lS5_lT8_i.has_dyn_sized_stack, 0
	.set _ZL26rocblas_hemvn_kernel_upperILb0ELi64ELi4ELi33ELi32ELi16Ei19rocblas_complex_numIdEPKS1_PS1_EviT6_lT7_lT5_lS6_lS7_lS5_lT8_i.has_recursion, 0
	.set _ZL26rocblas_hemvn_kernel_upperILb0ELi64ELi4ELi33ELi32ELi16Ei19rocblas_complex_numIdEPKS1_PS1_EviT6_lT7_lT5_lS6_lS7_lS5_lT8_i.has_indirect_call, 0
	.section	.AMDGPU.csdata,"",@progbits
; Kernel info:
; codeLenInByte = 14212
; TotalNumSgprs: 80
; NumVgprs: 256
; ScratchSize: 212
; MemoryBound: 1
; FloatMode: 240
; IeeeMode: 1
; LDSByteSize: 19200 bytes/workgroup (compile time only)
; SGPRBlocks: 0
; VGPRBlocks: 31
; NumSGPRsForWavesPerEU: 80
; NumVGPRsForWavesPerEU: 256
; Occupancy: 5
; WaveLimiterHint : 1
; COMPUTE_PGM_RSRC2:SCRATCH_EN: 1
; COMPUTE_PGM_RSRC2:USER_SGPR: 2
; COMPUTE_PGM_RSRC2:TRAP_HANDLER: 0
; COMPUTE_PGM_RSRC2:TGID_X_EN: 1
; COMPUTE_PGM_RSRC2:TGID_Y_EN: 0
; COMPUTE_PGM_RSRC2:TGID_Z_EN: 1
; COMPUTE_PGM_RSRC2:TIDIG_COMP_CNT: 1
	.section	.text._ZL26rocblas_hemvn_kernel_lowerILb0ELi64ELi4ELi33ELi32ELi16ElPK19rocblas_complex_numIdES3_PS1_EviT6_lT7_lT5_lS6_lS7_lS5_lT8_i,"axG",@progbits,_ZL26rocblas_hemvn_kernel_lowerILb0ELi64ELi4ELi33ELi32ELi16ElPK19rocblas_complex_numIdES3_PS1_EviT6_lT7_lT5_lS6_lS7_lS5_lT8_i,comdat
	.globl	_ZL26rocblas_hemvn_kernel_lowerILb0ELi64ELi4ELi33ELi32ELi16ElPK19rocblas_complex_numIdES3_PS1_EviT6_lT7_lT5_lS6_lS7_lS5_lT8_i ; -- Begin function _ZL26rocblas_hemvn_kernel_lowerILb0ELi64ELi4ELi33ELi32ELi16ElPK19rocblas_complex_numIdES3_PS1_EviT6_lT7_lT5_lS6_lS7_lS5_lT8_i
	.p2align	8
	.type	_ZL26rocblas_hemvn_kernel_lowerILb0ELi64ELi4ELi33ELi32ELi16ElPK19rocblas_complex_numIdES3_PS1_EviT6_lT7_lT5_lS6_lS7_lS5_lT8_i,@function
_ZL26rocblas_hemvn_kernel_lowerILb0ELi64ELi4ELi33ELi32ELi16ElPK19rocblas_complex_numIdES3_PS1_EviT6_lT7_lT5_lS6_lS7_lS5_lT8_i: ; @_ZL26rocblas_hemvn_kernel_lowerILb0ELi64ELi4ELi33ELi32ELi16ElPK19rocblas_complex_numIdES3_PS1_EviT6_lT7_lT5_lS6_lS7_lS5_lT8_i
; %bb.0:
	s_clause 0x1
	s_load_b64 s[2:3], s[0:1], 0x84
	s_load_b32 s33, s[0:1], 0x70
	s_lshr_b32 s28, ttmp7, 16
	s_wait_kmcnt 0x0
	s_lshr_b32 s4, s2, 16
	s_and_b32 s2, s2, 0xffff
	s_and_b32 s3, s3, 0xffff
	s_mul_i32 s2, s4, s2
	s_delay_alu instid0(SALU_CYCLE_1) | instskip(NEXT) | instid1(SALU_CYCLE_1)
	s_mul_i32 s2, s2, s3
	s_cmp_lg_u32 s2, 0x100
	s_cselect_b32 s2, -1, 0
	s_cmp_ge_u32 s28, s33
	s_cselect_b32 s3, -1, 0
	s_delay_alu instid0(SALU_CYCLE_1) | instskip(NEXT) | instid1(SALU_CYCLE_1)
	s_or_b32 s2, s2, s3
	s_and_b32 vcc_lo, exec_lo, s2
	s_cbranch_vccnz .LBB126_106
; %bb.1:
	s_clause 0x2
	s_load_b32 s2, s[0:1], 0x0
	s_load_b512 s[36:51], s[0:1], 0x8
	s_load_b256 s[20:27], s[0:1], 0x48
	v_bfe_u32 v13, v0, 10, 10
	v_dual_mov_b32 v2, 0 :: v_dual_and_b32 v149, 0x3ff, v0
	s_lshl_b32 s18, ttmp9, 6
	s_add_nc_u64 s[4:5], s[0:1], 0x78
	s_delay_alu instid0(VALU_DEP_2) | instskip(NEXT) | instid1(VALU_DEP_2)
	v_lshlrev_b32_e32 v14, 6, v13
	v_add_nc_u32_e32 v3, s18, v149
	v_and_b32_e32 v1, 31, v0
	s_load_b32 s30, s[4:5], 0x0
	s_load_b64 s[4:5], s[0:1], 0x68
	v_add_nc_u32_e32 v15, v14, v149
	v_ashrrev_i32_e32 v4, 31, v3
	s_mov_b32 s31, 0
	v_lshlrev_b32_e32 v150, 4, v149
	v_add_nc_u32_e32 v177, 0x4300, v14
	v_lshrrev_b32_e32 v12, 5, v15
	v_lshlrev_b32_e32 v186, 4, v1
	s_wait_kmcnt 0x0
	s_ashr_i32 s3, s2, 31
	s_lshl_b64 s[0:1], s[50:51], 4
	v_mul_lo_u32 v9, s20, v4
	v_mul_lo_u32 v10, s21, v3
	v_mad_co_u64_u32 v[5:6], null, s20, v3, 0
	v_mad_co_u64_u32 v[7:8], null, s44, v12, v[1:2]
	s_lshr_b32 s6, s3, 26
	s_add_nc_u64 s[0:1], s[48:49], s[0:1]
	s_add_co_i32 s8, s2, s6
	s_add_co_i32 s9, s30, -1
	v_add3_u32 v6, v6, v9, v10
	s_and_not1_b32 s8, s8, 63
	v_mad_co_u64_u32 v[9:10], null, s45, v12, v[8:9]
	s_lshl_b64 s[6:7], s[42:43], 4
	v_lshlrev_b64_e32 v[5:6], 4, v[5:6]
	s_sub_co_i32 s8, s2, s8
	s_cmp_eq_u32 ttmp9, s9
	v_lshlrev_b32_e32 v17, 2, v12
	s_cselect_b32 s34, s8, 0
	v_mov_b32_e32 v8, v9
	v_add_co_u32 v151, s0, s0, v5
	s_wait_alu 0xf1ff
	v_add_co_ci_u32_e64 v152, null, s1, v6, s0
	s_delay_alu instid0(VALU_DEP_3)
	v_lshlrev_b64_e32 v[5:6], 4, v[7:8]
	v_lshlrev_b32_e32 v8, 4, v1
	s_cmp_eq_u32 s34, 0
	s_add_nc_u64 s[6:7], s[40:41], s[6:7]
	s_cselect_b32 s68, -1, 0
	s_cmp_lg_u32 s34, 0
	s_mul_u64 s[40:41], s[30:31], s[2:3]
	s_mul_i32 s2, s2, ttmp9
	v_lshl_or_b32 v18, v1, 9, v8
	v_lshlrev_b32_e32 v19, 6, v12
	v_or_b32_e32 v20, 1, v17
	s_cselect_b32 s1, -1, 0
	s_ashr_i32 s3, s2, 31
	s_ashr_i32 s19, s18, 31
	s_lshl_b64 s[2:3], s[2:3], 4
	s_wait_alu 0xfffe
	s_lshl_b64 s[8:9], s[18:19], 4
	s_add_nc_u64 s[42:43], s[4:5], s[2:3]
	s_add_nc_u64 s[2:3], s[6:7], s[8:9]
	v_mad_u32_u24 v154, 0x210, v12, v8
	v_add_nc_u32_e32 v160, v18, v19
	v_cmp_lt_u32_e64 s7, v17, v1
	v_mad_u32_u24 v161, 0x840, v12, v8
	v_or_b32_e32 v18, 2, v17
	v_mad_u32_u24 v163, 0x210, v20, v8
	v_or_b32_e32 v8, 3, v17
	v_mul_u32_u24_e32 v17, 33, v1
	v_add_nc_u32_e32 v10, 8, v12
	v_add_nc_u32_e32 v11, 16, v12
	s_sub_co_i32 s16, s34, 32
	v_cmp_le_i32_e32 vcc_lo, s34, v149
	v_lshlrev_b32_e32 v166, 4, v17
	v_lshlrev_b32_e32 v17, 2, v13
	v_cmp_le_i32_e64 s4, s34, v10
	v_cmp_le_i32_e64 s5, s34, v11
	;; [unrolled: 1-line block ×4, first 2 shown]
	v_mad_co_u64_u32 v[10:11], null, s44, v17, 0
	v_cmp_lt_u32_e64 s9, v18, v1
	v_cmp_lt_u32_e64 s10, v8, v1
	v_lshlrev_b32_e32 v18, 4, v12
	v_or_b32_e32 v8, 32, v1
	s_and_b32 s1, s1, vcc_lo
	v_add_co_u32 v5, vcc_lo, s2, v5
	s_mul_u64 s[56:57], s[44:45], s[18:19]
	v_add_co_ci_u32_e64 v6, null, s3, v6, vcc_lo
	s_lshl_b64 s[2:3], s[56:57], 4
	v_add_nc_u32_e32 v16, 24, v12
	v_add_nc_u32_e32 v170, v166, v18
	v_cmp_gt_i32_e64 s12, s34, v8
	v_mov_b32_e32 v8, v11
	s_wait_alu 0xfffe
	v_add_co_u32 v155, vcc_lo, v5, s2
	s_wait_alu 0xfffd
	v_add_co_ci_u32_e64 v156, null, s3, v6, vcc_lo
	v_sub_co_u32 v5, s3, 0, v1
	s_wait_alu 0xf1ff
	v_sub_co_ci_u32_e64 v6, null, 0, 0, s3
	v_cmp_le_i32_e64 s3, s34, v12
	v_cmp_le_i32_e64 s6, s34, v16
	;; [unrolled: 1-line block ×4, first 2 shown]
	v_cmp_eq_u32_e64 s17, 1, v12
	v_mul_i32_i24_e32 v16, 0xffffffd0, v12
	v_mad_u32_u24 v175, v12, 48, v170
	v_mad_co_u64_u32 v[11:12], null, s45, v17, v[8:9]
	v_lshrrev_b32_e32 v12, 4, v15
	v_sub_co_u32 v7, vcc_lo, 0, v7
	v_and_b32_e32 v17, 15, v0
	s_wait_alu 0xfffd
	v_sub_co_ci_u32_e64 v8, null, 0, v9, vcc_lo
	v_and_b32_e32 v0, 48, v0
	v_lshlrev_b32_e32 v9, 6, v12
	v_add_nc_u32_e32 v169, 0x4700, v19
	v_add_nc_u32_e32 v171, v166, v19
	v_or_b32_e32 v14, 0xf0, v150
	v_lshlrev_b32_e32 v0, 4, v0
	v_mad_u32_u24 v179, 0x430, v17, v9
	v_mul_i32_i24_e32 v9, 0xffffffd0, v12
	v_cmp_eq_u32_e64 s0, 0, v13
	s_mul_u64 s[18:19], s[20:21], s[18:19]
	s_lshl_b64 s[54:55], s[44:45], 5
	v_lshlrev_b64_e32 v[141:142], 4, v[5:6]
	v_lshlrev_b64_e32 v[143:144], 4, v[7:8]
	;; [unrolled: 1-line block ×4, first 2 shown]
	v_add_nc_u32_e32 v153, 0x4700, v150
	s_lshl_b64 s[48:49], s[44:45], 7
	v_add_nc_u32_e32 v157, 0x1080, v154
	s_lshl_b64 s[50:51], s[44:45], 8
	v_add_nc_u32_e32 v158, 0x2100, v154
	v_add_nc_u32_e32 v159, 0x3180, v154
	v_cmp_gt_i32_e64 s2, s34, v1
	s_ashr_i32 s35, s34, 31
	v_cmp_lt_u32_e64 s8, v20, v1
	v_add_nc_u32_e32 v162, 16, v160
	v_add_nc_u32_e32 v164, 32, v160
	;; [unrolled: 1-line block ×5, first 2 shown]
	v_cmp_gt_u32_e64 s11, 32, v15
	v_add_nc_u32_e32 v172, 16, v171
	v_add_nc_u32_e32 v173, 32, v171
	;; [unrolled: 1-line block ×3, first 2 shown]
	s_xor_b32 s29, s1, -1
	s_wait_alu 0xfffe
	s_sub_nc_u64 s[62:63], 0, s[18:19]
	v_add_nc_u32_e32 v176, 0x4300, v150
	v_mad_u32_u24 v178, 0x10c0, v13, v150
	v_cmp_gt_u32_e64 s18, 64, v15
	v_mad_u32_u24 v180, 0x430, v17, v0
	v_mad_u32_u24 v181, 0x430, v17, v14
	;; [unrolled: 1-line block ×3, first 2 shown]
	v_add_nc_u32_e32 v183, 0x4700, v18
	v_add_nc_u32_e32 v184, v169, v16
	;; [unrolled: 1-line block ×3, first 2 shown]
	s_sub_nc_u64 s[60:61], 0, s[54:55]
	s_cmp_gt_i32 ttmp9, 0
	s_sub_nc_u64 s[64:65], 0, s[56:57]
	s_mul_u64 s[52:53], s[44:45], 0x180
	s_cselect_b32 s69, -1, 0
	s_and_b32 s70, s0, s29
	s_sub_nc_u64 s[56:57], 0, s[34:35]
	s_lshl_b64 s[58:59], s[44:45], 4
	s_mul_u64 s[44:45], s[44:45], 0xd0
	s_lshl_b64 s[60:61], s[60:61], 4
	s_lshl_b64 s[62:63], s[62:63], 4
	;; [unrolled: 1-line block ×3, first 2 shown]
	s_branch .LBB126_4
.LBB126_2:                              ;   in Loop: Header=BB126_4 Depth=1
	s_wait_alu 0xfffe
	s_or_b32 exec_lo, exec_lo, s19
.LBB126_3:                              ;   in Loop: Header=BB126_4 Depth=1
	s_add_co_i32 s28, s28, 0x10000
	s_delay_alu instid0(SALU_CYCLE_1)
	s_cmp_lt_u32 s28, s33
	s_cbranch_scc0 .LBB126_106
.LBB126_4:                              ; =>This Loop Header: Depth=1
                                        ;     Child Loop BB126_76 Depth 2
	s_mov_b32 s29, s31
	s_delay_alu instid0(SALU_CYCLE_1)
	s_mul_u64 s[66:67], s[38:39], s[28:29]
	s_wait_alu 0xfffe
	s_lshl_b64 s[66:67], s[66:67], 4
	s_wait_alu 0xfffe
	s_add_nc_u64 s[66:67], s[36:37], s[66:67]
	global_load_b128 v[3:6], v2, s[66:67]
	s_wait_loadcnt 0x0
	v_cmp_neq_f64_e32 vcc_lo, 0, v[3:4]
	v_cmp_neq_f64_e64 s19, 0, v[5:6]
	s_or_b32 s30, vcc_lo, s19
	s_mov_b32 s19, -1
	s_wait_alu 0xfffe
	s_and_b32 vcc_lo, exec_lo, s30
	s_wait_alu 0xfffe
	s_cbranch_vccnz .LBB126_6
; %bb.5:                                ;   in Loop: Header=BB126_4 Depth=1
	s_mul_u64 s[66:67], s[26:27], s[28:29]
	s_wait_alu 0xfffe
	s_lshl_b64 s[66:67], s[66:67], 4
	s_wait_alu 0xfffe
	s_add_nc_u64 s[66:67], s[24:25], s[66:67]
	global_load_b128 v[3:6], v2, s[66:67]
	s_wait_loadcnt 0x0
	v_cmp_neq_f64_e32 vcc_lo, 1.0, v[3:4]
	v_cmp_neq_f64_e64 s19, 0, v[5:6]
	s_or_b32 s19, vcc_lo, s19
.LBB126_6:                              ;   in Loop: Header=BB126_4 Depth=1
	s_wait_alu 0xfffe
	s_and_not1_b32 vcc_lo, exec_lo, s19
	s_wait_alu 0xfffe
	s_cbranch_vccnz .LBB126_3
; %bb.7:                                ;   in Loop: Header=BB126_4 Depth=1
	s_and_not1_b32 vcc_lo, exec_lo, s30
	s_wait_alu 0xfffe
	s_cbranch_vccnz .LBB126_3
; %bb.8:                                ;   in Loop: Header=BB126_4 Depth=1
	s_mul_u64 s[66:67], s[22:23], s[28:29]
	s_wait_alu 0xfffe
	s_lshl_b64 s[66:67], s[66:67], 4
	s_wait_alu 0xfffe
	v_add_co_u32 v41, vcc_lo, v151, s66
	s_wait_alu 0xfffd
	v_add_co_ci_u32_e64 v42, null, s67, v152, vcc_lo
	s_and_saveexec_b32 s19, s0
	s_cbranch_execz .LBB126_13
; %bb.9:                                ;   in Loop: Header=BB126_4 Depth=1
	s_and_saveexec_b32 s30, s1
	s_wait_alu 0xfffe
	s_xor_b32 s30, exec_lo, s30
; %bb.10:                               ;   in Loop: Header=BB126_4 Depth=1
	v_dual_mov_b32 v1, v2 :: v_dual_mov_b32 v4, v2
	v_mov_b32_e32 v3, v2
	ds_store_b128 v153, v[1:4]
; %bb.11:                               ;   in Loop: Header=BB126_4 Depth=1
	s_wait_alu 0xfffe
	s_and_not1_saveexec_b32 s30, s30
	s_cbranch_execz .LBB126_13
; %bb.12:                               ;   in Loop: Header=BB126_4 Depth=1
	global_load_b128 v[3:6], v[41:42], off
	s_wait_loadcnt 0x0
	ds_store_2addr_b64 v153, v[3:4], v[5:6] offset1:1
.LBB126_13:                             ;   in Loop: Header=BB126_4 Depth=1
	s_wait_alu 0xfffe
	s_or_b32 exec_lo, exec_lo, s19
	s_mul_u64 s[66:67], s[46:47], s[28:29]
	s_mov_b32 s19, -1
	s_wait_alu 0xfffe
	s_lshl_b64 s[66:67], s[66:67], 4
	s_wait_alu 0xfffe
	v_add_co_u32 v9, vcc_lo, v155, s66
	s_wait_alu 0xfffd
	v_add_co_ci_u32_e64 v10, null, s67, v156, vcc_lo
	s_and_not1_b32 vcc_lo, exec_lo, s68
	s_wait_alu 0xfffe
	s_cbranch_vccnz .LBB126_15
; %bb.14:                               ;   in Loop: Header=BB126_4 Depth=1
	v_add_co_u32 v0, vcc_lo, v9, s48
	s_wait_alu 0xfffd
	v_add_co_ci_u32_e64 v1, null, s49, v10, vcc_lo
	s_mov_b32 s19, 0
	v_add_co_u32 v7, vcc_lo, v0, s48
	s_wait_alu 0xfffd
	v_add_co_ci_u32_e64 v8, null, s49, v1, vcc_lo
	s_delay_alu instid0(VALU_DEP_2) | instskip(SKIP_1) | instid1(VALU_DEP_2)
	v_add_co_u32 v19, vcc_lo, v7, s48
	s_wait_alu 0xfffd
	v_add_co_ci_u32_e64 v20, null, s49, v8, vcc_lo
	s_clause 0x3
	global_load_b128 v[3:6], v[9:10], off
	global_load_b128 v[11:14], v[0:1], off
	;; [unrolled: 1-line block ×4, first 2 shown]
	s_wait_loadcnt 0x3
	ds_store_2addr_b64 v154, v[3:4], v[5:6] offset1:1
	s_wait_loadcnt 0x2
	ds_store_2addr_b64 v157, v[11:12], v[13:14] offset1:1
	;; [unrolled: 2-line block ×4, first 2 shown]
.LBB126_15:                             ;   in Loop: Header=BB126_4 Depth=1
	s_wait_alu 0xfffe
	s_and_not1_b32 vcc_lo, exec_lo, s19
	s_wait_alu 0xfffe
	s_cbranch_vccnz .LBB126_27
; %bb.16:                               ;   in Loop: Header=BB126_4 Depth=1
	s_and_saveexec_b32 s19, s3
	s_wait_alu 0xfffe
	s_xor_b32 s19, exec_lo, s19
; %bb.17:                               ;   in Loop: Header=BB126_4 Depth=1
	v_dual_mov_b32 v1, v2 :: v_dual_mov_b32 v4, v2
	v_mov_b32_e32 v3, v2
	ds_store_b128 v154, v[1:4]
; %bb.18:                               ;   in Loop: Header=BB126_4 Depth=1
	s_wait_alu 0xfffe
	s_or_saveexec_b32 s19, s19
	v_add_co_u32 v0, vcc_lo, v9, v141
	s_wait_alu 0xfffd
	v_add_co_ci_u32_e64 v1, null, v10, v142, vcc_lo
	s_lshl_b64 s[66:67], s[34:35], 4
	s_wait_alu 0xfffe
	v_add_co_u32 v0, vcc_lo, v0, s66
	s_wait_alu 0xfffd
	v_add_co_ci_u32_e64 v1, null, s67, v1, vcc_lo
	s_delay_alu instid0(VALU_DEP_2) | instskip(SKIP_1) | instid1(VALU_DEP_2)
	v_add_co_u32 v0, vcc_lo, v0, -16
	s_wait_alu 0xfffd
	v_add_co_ci_u32_e64 v1, null, -1, v1, vcc_lo
	s_delay_alu instid0(VALU_DEP_2) | instskip(NEXT) | instid1(VALU_DEP_2)
	v_cndmask_b32_e64 v5, v0, v9, s2
	v_cndmask_b32_e64 v6, v1, v10, s2
	s_xor_b32 exec_lo, exec_lo, s19
	s_cbranch_execnz .LBB126_88
; %bb.19:                               ;   in Loop: Header=BB126_4 Depth=1
	s_or_b32 exec_lo, exec_lo, s19
	s_and_saveexec_b32 s19, s4
	s_wait_alu 0xfffe
	s_xor_b32 s19, exec_lo, s19
	s_cbranch_execnz .LBB126_89
.LBB126_20:                             ;   in Loop: Header=BB126_4 Depth=1
	s_wait_alu 0xfffe
	s_and_not1_saveexec_b32 s19, s19
	s_cbranch_execnz .LBB126_90
.LBB126_21:                             ;   in Loop: Header=BB126_4 Depth=1
	s_wait_alu 0xfffe
	s_or_b32 exec_lo, exec_lo, s19
	s_and_saveexec_b32 s19, s5
	s_wait_alu 0xfffe
	s_xor_b32 s19, exec_lo, s19
	s_cbranch_execnz .LBB126_91
.LBB126_22:                             ;   in Loop: Header=BB126_4 Depth=1
	s_wait_alu 0xfffe
	s_and_not1_saveexec_b32 s19, s19
	s_cbranch_execnz .LBB126_92
.LBB126_23:                             ;   in Loop: Header=BB126_4 Depth=1
	s_wait_alu 0xfffe
	s_or_b32 exec_lo, exec_lo, s19
	s_and_saveexec_b32 s19, s6
	s_wait_alu 0xfffe
	s_xor_b32 s19, exec_lo, s19
	s_cbranch_execnz .LBB126_93
.LBB126_24:                             ;   in Loop: Header=BB126_4 Depth=1
	s_wait_alu 0xfffe
	s_and_not1_saveexec_b32 s19, s19
	s_cbranch_execz .LBB126_26
.LBB126_25:                             ;   in Loop: Header=BB126_4 Depth=1
	v_add_co_u32 v0, vcc_lo, v5, s52
	s_wait_alu 0xfffd
	v_add_co_ci_u32_e64 v1, null, s53, v6, vcc_lo
	global_load_b128 v[11:14], v[0:1], off
	s_wait_loadcnt 0x0
	ds_store_2addr_b64 v159, v[11:12], v[13:14] offset1:1
.LBB126_26:                             ;   in Loop: Header=BB126_4 Depth=1
	s_wait_alu 0xfffe
	s_or_b32 exec_lo, exec_lo, s19
	v_add_co_u32 v0, vcc_lo, v5, v186
	s_wait_alu 0xfffd
	v_add_co_ci_u32_e64 v1, null, 0, v6, vcc_lo
	s_lshl_b64 s[66:67], s[56:57], 4
	s_wait_alu 0xfffe
	v_add_co_u32 v0, vcc_lo, v0, s66
	s_wait_alu 0xfffd
	v_add_co_ci_u32_e64 v1, null, s67, v1, vcc_lo
	s_delay_alu instid0(VALU_DEP_2) | instskip(SKIP_1) | instid1(VALU_DEP_2)
	v_add_co_u32 v0, vcc_lo, v0, 16
	s_wait_alu 0xfffd
	v_add_co_ci_u32_e64 v1, null, 0, v1, vcc_lo
	s_delay_alu instid0(VALU_DEP_2) | instskip(NEXT) | instid1(VALU_DEP_2)
	v_cndmask_b32_e64 v9, v0, v9, s2
	v_cndmask_b32_e64 v10, v1, v10, s2
.LBB126_27:                             ;   in Loop: Header=BB126_4 Depth=1
	s_wait_dscnt 0x0
	s_barrier_signal -1
	s_barrier_wait -1
	global_inv scope:SCOPE_SE
	s_and_saveexec_b32 s19, s7
	s_cbranch_execnz .LBB126_82
; %bb.28:                               ;   in Loop: Header=BB126_4 Depth=1
	s_wait_alu 0xfffe
	s_or_b32 exec_lo, exec_lo, s19
	s_and_saveexec_b32 s19, s8
	s_cbranch_execnz .LBB126_83
.LBB126_29:                             ;   in Loop: Header=BB126_4 Depth=1
	s_wait_alu 0xfffe
	s_or_b32 exec_lo, exec_lo, s19
	s_and_saveexec_b32 s19, s9
	s_cbranch_execnz .LBB126_84
.LBB126_30:                             ;   in Loop: Header=BB126_4 Depth=1
	s_wait_alu 0xfffe
	s_or_b32 exec_lo, exec_lo, s19
	s_and_saveexec_b32 s19, s10
	s_cbranch_execz .LBB126_32
.LBB126_31:                             ;   in Loop: Header=BB126_4 Depth=1
	ds_load_b128 v[3:6], v168
	s_wait_dscnt 0x0
	ds_store_b128 v167, v[3:6]
.LBB126_32:                             ;   in Loop: Header=BB126_4 Depth=1
	s_wait_alu 0xfffe
	s_or_b32 exec_lo, exec_lo, s19
	s_wait_loadcnt_dscnt 0x0
	s_barrier_signal -1
	s_barrier_wait -1
	global_inv scope:SCOPE_SE
	ds_load_b128 v[3:6], v161
	ds_load_b128 v[11:14], v169
	ds_load_b128 v[15:18], v169 offset:16
	ds_load_b128 v[19:22], v163
	s_wait_dscnt 0x2
	v_mul_f64_e32 v[0:1], v[13:14], v[5:6]
	v_mul_f64_e32 v[5:6], v[11:12], v[5:6]
	s_wait_dscnt 0x0
	v_mul_f64_e32 v[7:8], v[17:18], v[21:22]
	v_mul_f64_e32 v[29:30], v[15:16], v[21:22]
	s_delay_alu instid0(VALU_DEP_4) | instskip(NEXT) | instid1(VALU_DEP_4)
	v_fma_f64 v[0:1], v[11:12], v[3:4], -v[0:1]
	v_fma_f64 v[31:32], v[13:14], v[3:4], v[5:6]
	ds_load_b128 v[3:6], v165
	ds_load_b128 v[11:14], v169 offset:32
	ds_load_b128 v[21:24], v169 offset:48
	ds_load_b128 v[25:28], v168
	v_fma_f64 v[7:8], v[15:16], v[19:20], -v[7:8]
	v_fma_f64 v[15:16], v[17:18], v[19:20], v[29:30]
	s_wait_loadcnt_dscnt 0x0
	s_barrier_signal -1
	s_barrier_wait -1
	global_inv scope:SCOPE_SE
	v_mul_f64_e32 v[33:34], v[13:14], v[5:6]
	v_mul_f64_e32 v[5:6], v[11:12], v[5:6]
	v_mul_f64_e32 v[19:20], v[23:24], v[27:28]
	v_mul_f64_e32 v[27:28], v[21:22], v[27:28]
	v_add_f64_e32 v[0:1], 0, v[0:1]
	v_add_f64_e32 v[17:18], 0, v[31:32]
	v_fma_f64 v[11:12], v[11:12], v[3:4], -v[33:34]
	v_fma_f64 v[3:4], v[13:14], v[3:4], v[5:6]
	v_fma_f64 v[13:14], v[23:24], v[25:26], v[27:28]
	v_add_f64_e32 v[0:1], v[0:1], v[7:8]
	v_add_f64_e32 v[5:6], v[17:18], v[15:16]
	v_fma_f64 v[7:8], v[21:22], v[25:26], -v[19:20]
	s_delay_alu instid0(VALU_DEP_3) | instskip(NEXT) | instid1(VALU_DEP_3)
	v_add_f64_e32 v[0:1], v[0:1], v[11:12]
	v_add_f64_e32 v[3:4], v[5:6], v[3:4]
	v_mov_b32_e32 v5, 0
	v_mov_b32_e32 v6, 0
	s_delay_alu instid0(VALU_DEP_4) | instskip(NEXT) | instid1(VALU_DEP_4)
	v_add_f64_e32 v[11:12], v[0:1], v[7:8]
	v_add_f64_e32 v[13:14], v[3:4], v[13:14]
	v_mov_b32_e32 v7, 0
	v_mov_b32_e32 v8, 0
	ds_store_b128 v170, v[11:14]
	s_wait_loadcnt_dscnt 0x0
	s_barrier_signal -1
	s_barrier_wait -1
	global_inv scope:SCOPE_SE
	s_and_saveexec_b32 s19, s11
	s_cbranch_execz .LBB126_34
; %bb.33:                               ;   in Loop: Header=BB126_4 Depth=1
	ds_load_b128 v[3:6], v166
	ds_load_b128 v[11:14], v166 offset:16
	s_wait_dscnt 0x0
	v_add_f64_e32 v[0:1], v[11:12], v[3:4]
	v_add_f64_e32 v[7:8], v[13:14], v[5:6]
	ds_load_b128 v[3:6], v166 offset:32
	ds_load_b128 v[11:14], v166 offset:48
	s_wait_dscnt 0x1
	v_add_f64_e32 v[0:1], v[0:1], v[3:4]
	v_add_f64_e32 v[3:4], v[7:8], v[5:6]
	s_wait_dscnt 0x0
	s_delay_alu instid0(VALU_DEP_2) | instskip(NEXT) | instid1(VALU_DEP_2)
	v_add_f64_e32 v[0:1], v[0:1], v[11:12]
	v_add_f64_e32 v[7:8], v[3:4], v[13:14]
	ds_load_b128 v[3:6], v166 offset:64
	ds_load_b128 v[11:14], v166 offset:80
	s_wait_dscnt 0x1
	v_add_f64_e32 v[0:1], v[0:1], v[3:4]
	v_add_f64_e32 v[3:4], v[7:8], v[5:6]
	s_wait_dscnt 0x0
	s_delay_alu instid0(VALU_DEP_2) | instskip(NEXT) | instid1(VALU_DEP_2)
	;; [unrolled: 9-line block ×3, first 2 shown]
	v_add_f64_e32 v[5:6], v[0:1], v[11:12]
	v_add_f64_e32 v[7:8], v[3:4], v[13:14]
.LBB126_34:                             ;   in Loop: Header=BB126_4 Depth=1
	s_wait_alu 0xfffe
	s_or_b32 exec_lo, exec_lo, s19
	s_lshl_b64 s[66:67], s[54:55], 4
	s_mov_b32 s19, -1
	s_wait_alu 0xfffe
	v_add_co_u32 v0, vcc_lo, v9, s66
	s_wait_alu 0xfffd
	v_add_co_ci_u32_e64 v11, null, s67, v10, vcc_lo
	s_wait_loadcnt 0x0
	s_delay_alu instid0(VALU_DEP_2) | instskip(SKIP_1) | instid1(VALU_DEP_2)
	v_add_co_u32 v9, vcc_lo, 0x200, v0
	s_wait_alu 0xfffd
	v_add_co_ci_u32_e64 v10, null, 0, v11, vcc_lo
	s_and_not1_b32 vcc_lo, exec_lo, s68
	s_barrier_signal -1
	s_barrier_wait -1
	global_inv scope:SCOPE_SE
	s_wait_alu 0xfffe
	s_cbranch_vccnz .LBB126_36
; %bb.35:                               ;   in Loop: Header=BB126_4 Depth=1
	v_add_co_u32 v3, vcc_lo, v0, s48
	s_wait_alu 0xfffd
	v_add_co_ci_u32_e64 v4, null, s49, v11, vcc_lo
	s_mov_b32 s19, 0
	v_add_co_u32 v20, vcc_lo, v3, s48
	s_wait_alu 0xfffd
	v_add_co_ci_u32_e64 v21, null, s49, v4, vcc_lo
	s_delay_alu instid0(VALU_DEP_2) | instskip(SKIP_1) | instid1(VALU_DEP_2)
	v_add_co_u32 v24, vcc_lo, v20, s48
	s_wait_alu 0xfffd
	v_add_co_ci_u32_e64 v25, null, s49, v21, vcc_lo
	s_clause 0x3
	global_load_b128 v[12:15], v[9:10], off
	global_load_b128 v[16:19], v[3:4], off offset:512
	global_load_b128 v[20:23], v[20:21], off offset:512
	;; [unrolled: 1-line block ×3, first 2 shown]
	s_wait_loadcnt 0x3
	ds_store_2addr_b64 v154, v[12:13], v[14:15] offset1:1
	s_wait_loadcnt 0x2
	ds_store_2addr_b64 v157, v[16:17], v[18:19] offset1:1
	;; [unrolled: 2-line block ×4, first 2 shown]
.LBB126_36:                             ;   in Loop: Header=BB126_4 Depth=1
	s_wait_alu 0xfffe
	s_and_not1_b32 vcc_lo, exec_lo, s19
	s_wait_alu 0xfffe
	s_cbranch_vccnz .LBB126_48
; %bb.37:                               ;   in Loop: Header=BB126_4 Depth=1
	s_and_saveexec_b32 s19, s13
	s_wait_alu 0xfffe
	s_xor_b32 s19, exec_lo, s19
; %bb.38:                               ;   in Loop: Header=BB126_4 Depth=1
	v_dual_mov_b32 v1, v2 :: v_dual_mov_b32 v4, v2
	v_mov_b32_e32 v3, v2
	ds_store_b128 v154, v[1:4]
; %bb.39:                               ;   in Loop: Header=BB126_4 Depth=1
	s_wait_alu 0xfffe
	s_or_saveexec_b32 s19, s19
	v_add_co_u32 v0, vcc_lo, v0, v141
	s_wait_alu 0xfffd
	v_add_co_ci_u32_e64 v1, null, v11, v142, vcc_lo
	s_lshl_b64 s[66:67], s[34:35], 4
	s_wait_alu 0xfffe
	v_add_co_u32 v0, vcc_lo, v0, s66
	s_wait_alu 0xfffd
	v_add_co_ci_u32_e64 v1, null, s67, v1, vcc_lo
	s_delay_alu instid0(VALU_DEP_2) | instskip(SKIP_1) | instid1(VALU_DEP_2)
	v_add_co_u32 v0, vcc_lo, v0, -16
	s_wait_alu 0xfffd
	v_add_co_ci_u32_e64 v1, null, -1, v1, vcc_lo
	s_delay_alu instid0(VALU_DEP_2) | instskip(NEXT) | instid1(VALU_DEP_2)
	v_cndmask_b32_e64 v11, v0, v9, s12
	v_cndmask_b32_e64 v12, v1, v10, s12
	s_xor_b32 exec_lo, exec_lo, s19
	s_cbranch_execnz .LBB126_94
; %bb.40:                               ;   in Loop: Header=BB126_4 Depth=1
	s_or_b32 exec_lo, exec_lo, s19
	s_and_saveexec_b32 s19, s14
	s_wait_alu 0xfffe
	s_xor_b32 s19, exec_lo, s19
	s_cbranch_execnz .LBB126_95
.LBB126_41:                             ;   in Loop: Header=BB126_4 Depth=1
	s_wait_alu 0xfffe
	s_and_not1_saveexec_b32 s19, s19
	s_cbranch_execnz .LBB126_96
.LBB126_42:                             ;   in Loop: Header=BB126_4 Depth=1
	s_wait_alu 0xfffe
	s_or_b32 exec_lo, exec_lo, s19
	s_and_saveexec_b32 s19, s15
	s_wait_alu 0xfffe
	s_xor_b32 s19, exec_lo, s19
	s_cbranch_execnz .LBB126_97
.LBB126_43:                             ;   in Loop: Header=BB126_4 Depth=1
	s_wait_alu 0xfffe
	s_and_not1_saveexec_b32 s19, s19
	s_cbranch_execnz .LBB126_98
.LBB126_44:                             ;   in Loop: Header=BB126_4 Depth=1
	s_wait_alu 0xfffe
	s_or_b32 exec_lo, exec_lo, s19
	s_and_saveexec_b32 s19, s16
	s_wait_alu 0xfffe
	s_xor_b32 s19, exec_lo, s19
	s_cbranch_execnz .LBB126_99
.LBB126_45:                             ;   in Loop: Header=BB126_4 Depth=1
	s_wait_alu 0xfffe
	s_and_not1_saveexec_b32 s19, s19
	s_cbranch_execz .LBB126_47
.LBB126_46:                             ;   in Loop: Header=BB126_4 Depth=1
	v_add_co_u32 v0, vcc_lo, v11, s52
	s_wait_alu 0xfffd
	v_add_co_ci_u32_e64 v1, null, s53, v12, vcc_lo
	global_load_b128 v[13:16], v[0:1], off
	s_wait_loadcnt 0x0
	ds_store_2addr_b64 v159, v[13:14], v[15:16] offset1:1
.LBB126_47:                             ;   in Loop: Header=BB126_4 Depth=1
	s_wait_alu 0xfffe
	s_or_b32 exec_lo, exec_lo, s19
	v_add_co_u32 v0, vcc_lo, v11, v186
	s_wait_alu 0xfffd
	v_add_co_ci_u32_e64 v1, null, 0, v12, vcc_lo
	s_lshl_b64 s[66:67], s[56:57], 4
	s_wait_alu 0xfffe
	v_add_co_u32 v0, vcc_lo, v0, s66
	s_wait_alu 0xfffd
	v_add_co_ci_u32_e64 v1, null, s67, v1, vcc_lo
	s_delay_alu instid0(VALU_DEP_2) | instskip(SKIP_1) | instid1(VALU_DEP_2)
	v_add_co_u32 v0, vcc_lo, 0x210, v0
	s_wait_alu 0xfffd
	v_add_co_ci_u32_e64 v1, null, 0, v1, vcc_lo
	s_delay_alu instid0(VALU_DEP_2) | instskip(NEXT) | instid1(VALU_DEP_2)
	v_cndmask_b32_e64 v9, v0, v9, s12
	v_cndmask_b32_e64 v10, v1, v10, s12
.LBB126_48:                             ;   in Loop: Header=BB126_4 Depth=1
	s_wait_loadcnt_dscnt 0x0
	s_barrier_signal -1
	s_barrier_wait -1
	global_inv scope:SCOPE_SE
	s_and_saveexec_b32 s19, s7
	s_cbranch_execnz .LBB126_85
; %bb.49:                               ;   in Loop: Header=BB126_4 Depth=1
	s_wait_alu 0xfffe
	s_or_b32 exec_lo, exec_lo, s19
	s_and_saveexec_b32 s19, s8
	s_cbranch_execnz .LBB126_86
.LBB126_50:                             ;   in Loop: Header=BB126_4 Depth=1
	s_wait_alu 0xfffe
	s_or_b32 exec_lo, exec_lo, s19
	s_and_saveexec_b32 s19, s9
	s_cbranch_execnz .LBB126_87
.LBB126_51:                             ;   in Loop: Header=BB126_4 Depth=1
	s_wait_alu 0xfffe
	s_or_b32 exec_lo, exec_lo, s19
	s_and_saveexec_b32 s19, s10
	s_cbranch_execz .LBB126_53
.LBB126_52:                             ;   in Loop: Header=BB126_4 Depth=1
	ds_load_b128 v[11:14], v168
	s_wait_dscnt 0x0
	ds_store_b128 v174, v[11:14]
.LBB126_53:                             ;   in Loop: Header=BB126_4 Depth=1
	s_wait_alu 0xfffe
	s_or_b32 exec_lo, exec_lo, s19
	s_wait_loadcnt_dscnt 0x0
	s_barrier_signal -1
	s_barrier_wait -1
	global_inv scope:SCOPE_SE
	ds_load_b128 v[11:14], v161
	ds_load_b128 v[15:18], v169 offset:512
	ds_load_b128 v[19:22], v169 offset:528
	ds_load_b128 v[23:26], v163
	s_wait_dscnt 0x2
	v_mul_f64_e32 v[0:1], v[17:18], v[13:14]
	v_mul_f64_e32 v[3:4], v[15:16], v[13:14]
	s_wait_dscnt 0x0
	v_mul_f64_e32 v[33:34], v[21:22], v[25:26]
	v_mul_f64_e32 v[35:36], v[19:20], v[25:26]
	s_delay_alu instid0(VALU_DEP_4) | instskip(NEXT) | instid1(VALU_DEP_4)
	v_fma_f64 v[0:1], v[15:16], v[11:12], -v[0:1]
	v_fma_f64 v[3:4], v[17:18], v[11:12], v[3:4]
	ds_load_b128 v[11:14], v165
	ds_load_b128 v[15:18], v169 offset:544
	ds_load_b128 v[25:28], v169 offset:560
	ds_load_b128 v[29:32], v168
	v_fma_f64 v[19:20], v[19:20], v[23:24], -v[33:34]
	v_fma_f64 v[21:22], v[21:22], v[23:24], v[35:36]
	s_wait_loadcnt_dscnt 0x0
	s_barrier_signal -1
	s_barrier_wait -1
	global_inv scope:SCOPE_SE
	v_mul_f64_e32 v[37:38], v[17:18], v[13:14]
	v_mul_f64_e32 v[13:14], v[15:16], v[13:14]
	;; [unrolled: 1-line block ×4, first 2 shown]
	v_add_f64_e32 v[0:1], 0, v[0:1]
	v_add_f64_e32 v[3:4], 0, v[3:4]
	v_fma_f64 v[15:16], v[15:16], v[11:12], -v[37:38]
	v_fma_f64 v[11:12], v[17:18], v[11:12], v[13:14]
	v_fma_f64 v[13:14], v[25:26], v[29:30], -v[23:24]
	v_fma_f64 v[17:18], v[27:28], v[29:30], v[31:32]
	v_add_f64_e32 v[0:1], v[0:1], v[19:20]
	v_add_f64_e32 v[3:4], v[3:4], v[21:22]
	s_delay_alu instid0(VALU_DEP_2) | instskip(NEXT) | instid1(VALU_DEP_2)
	v_add_f64_e32 v[0:1], v[0:1], v[15:16]
	v_add_f64_e32 v[3:4], v[3:4], v[11:12]
	s_delay_alu instid0(VALU_DEP_2) | instskip(NEXT) | instid1(VALU_DEP_2)
	v_add_f64_e32 v[11:12], v[0:1], v[13:14]
	v_add_f64_e32 v[13:14], v[3:4], v[17:18]
	ds_store_b128 v170, v[11:14]
	s_wait_loadcnt_dscnt 0x0
	s_barrier_signal -1
	s_barrier_wait -1
	global_inv scope:SCOPE_SE
	s_and_saveexec_b32 s19, s17
	s_cbranch_execz .LBB126_55
; %bb.54:                               ;   in Loop: Header=BB126_4 Depth=1
	ds_load_b128 v[3:6], v166
	ds_load_b128 v[11:14], v166 offset:16
	s_wait_dscnt 0x0
	v_add_f64_e32 v[0:1], v[11:12], v[3:4]
	v_add_f64_e32 v[7:8], v[13:14], v[5:6]
	ds_load_b128 v[3:6], v166 offset:32
	ds_load_b128 v[11:14], v166 offset:48
	s_wait_dscnt 0x1
	v_add_f64_e32 v[0:1], v[0:1], v[3:4]
	v_add_f64_e32 v[3:4], v[7:8], v[5:6]
	s_wait_dscnt 0x0
	s_delay_alu instid0(VALU_DEP_2) | instskip(NEXT) | instid1(VALU_DEP_2)
	v_add_f64_e32 v[0:1], v[0:1], v[11:12]
	v_add_f64_e32 v[7:8], v[3:4], v[13:14]
	ds_load_b128 v[3:6], v166 offset:64
	ds_load_b128 v[11:14], v166 offset:80
	s_wait_dscnt 0x1
	v_add_f64_e32 v[0:1], v[0:1], v[3:4]
	v_add_f64_e32 v[3:4], v[7:8], v[5:6]
	s_wait_dscnt 0x0
	s_delay_alu instid0(VALU_DEP_2) | instskip(NEXT) | instid1(VALU_DEP_2)
	;; [unrolled: 9-line block ×3, first 2 shown]
	v_add_f64_e32 v[5:6], v[0:1], v[11:12]
	v_add_f64_e32 v[7:8], v[3:4], v[13:14]
.LBB126_55:                             ;   in Loop: Header=BB126_4 Depth=1
	s_wait_alu 0xfffe
	s_or_b32 exec_lo, exec_lo, s19
	v_add_co_u32 v43, vcc_lo, v9, s60
	s_wait_alu 0xfffd
	v_add_co_ci_u32_e64 v44, null, s61, v10, vcc_lo
	s_and_not1_b32 vcc_lo, exec_lo, s68
	s_mov_b32 s19, -1
	s_wait_loadcnt 0x0
	s_barrier_signal -1
	s_barrier_wait -1
	global_inv scope:SCOPE_SE
	s_wait_alu 0xfffe
	s_cbranch_vccnz .LBB126_57
; %bb.56:                               ;   in Loop: Header=BB126_4 Depth=1
	v_add_co_u32 v0, vcc_lo, v43, s48
	s_wait_alu 0xfffd
	v_add_co_ci_u32_e64 v1, null, s49, v44, vcc_lo
	s_mov_b32 s19, 0
	v_add_co_u32 v3, vcc_lo, v0, s48
	s_wait_alu 0xfffd
	v_add_co_ci_u32_e64 v4, null, s49, v1, vcc_lo
	s_delay_alu instid0(VALU_DEP_2) | instskip(SKIP_1) | instid1(VALU_DEP_2)
	v_add_co_u32 v21, vcc_lo, v3, s48
	s_wait_alu 0xfffd
	v_add_co_ci_u32_e64 v22, null, s49, v4, vcc_lo
	s_clause 0x3
	global_load_b128 v[9:12], v[43:44], off
	global_load_b128 v[13:16], v[0:1], off
	;; [unrolled: 1-line block ×4, first 2 shown]
	s_wait_loadcnt 0x3
	ds_store_2addr_b64 v154, v[9:10], v[11:12] offset1:1
	s_wait_loadcnt 0x2
	ds_store_2addr_b64 v157, v[13:14], v[15:16] offset1:1
	;; [unrolled: 2-line block ×4, first 2 shown]
.LBB126_57:                             ;   in Loop: Header=BB126_4 Depth=1
	s_wait_alu 0xfffe
	s_and_not1_b32 vcc_lo, exec_lo, s19
	s_wait_alu 0xfffe
	s_cbranch_vccnz .LBB126_69
; %bb.58:                               ;   in Loop: Header=BB126_4 Depth=1
	s_and_saveexec_b32 s19, s3
	s_wait_alu 0xfffe
	s_xor_b32 s19, exec_lo, s19
; %bb.59:                               ;   in Loop: Header=BB126_4 Depth=1
	v_dual_mov_b32 v1, v2 :: v_dual_mov_b32 v4, v2
	v_mov_b32_e32 v3, v2
	ds_store_b128 v154, v[1:4]
; %bb.60:                               ;   in Loop: Header=BB126_4 Depth=1
	s_wait_alu 0xfffe
	s_or_saveexec_b32 s19, s19
	v_add_co_u32 v0, vcc_lo, v43, v141
	s_wait_alu 0xfffd
	v_add_co_ci_u32_e64 v1, null, v44, v142, vcc_lo
	s_lshl_b64 s[66:67], s[34:35], 4
	s_wait_alu 0xfffe
	v_add_co_u32 v0, vcc_lo, v0, s66
	s_wait_alu 0xfffd
	v_add_co_ci_u32_e64 v1, null, s67, v1, vcc_lo
	s_delay_alu instid0(VALU_DEP_2) | instskip(SKIP_1) | instid1(VALU_DEP_2)
	v_add_co_u32 v0, vcc_lo, 0xfffffdf0, v0
	s_wait_alu 0xfffd
	v_add_co_ci_u32_e64 v1, null, -1, v1, vcc_lo
	s_delay_alu instid0(VALU_DEP_2) | instskip(NEXT) | instid1(VALU_DEP_2)
	v_cndmask_b32_e64 v9, v0, v43, s12
	v_cndmask_b32_e64 v10, v1, v44, s12
	s_xor_b32 exec_lo, exec_lo, s19
	s_cbranch_execnz .LBB126_100
; %bb.61:                               ;   in Loop: Header=BB126_4 Depth=1
	s_or_b32 exec_lo, exec_lo, s19
	s_and_saveexec_b32 s19, s4
	s_wait_alu 0xfffe
	s_xor_b32 s19, exec_lo, s19
	s_cbranch_execnz .LBB126_101
.LBB126_62:                             ;   in Loop: Header=BB126_4 Depth=1
	s_wait_alu 0xfffe
	s_and_not1_saveexec_b32 s19, s19
	s_cbranch_execnz .LBB126_102
.LBB126_63:                             ;   in Loop: Header=BB126_4 Depth=1
	s_wait_alu 0xfffe
	s_or_b32 exec_lo, exec_lo, s19
	s_and_saveexec_b32 s19, s5
	s_wait_alu 0xfffe
	s_xor_b32 s19, exec_lo, s19
	s_cbranch_execnz .LBB126_103
.LBB126_64:                             ;   in Loop: Header=BB126_4 Depth=1
	s_wait_alu 0xfffe
	s_and_not1_saveexec_b32 s19, s19
	s_cbranch_execnz .LBB126_104
.LBB126_65:                             ;   in Loop: Header=BB126_4 Depth=1
	s_wait_alu 0xfffe
	s_or_b32 exec_lo, exec_lo, s19
	s_and_saveexec_b32 s19, s6
	s_wait_alu 0xfffe
	s_xor_b32 s19, exec_lo, s19
	s_cbranch_execnz .LBB126_105
.LBB126_66:                             ;   in Loop: Header=BB126_4 Depth=1
	s_wait_alu 0xfffe
	s_and_not1_saveexec_b32 s19, s19
	s_cbranch_execz .LBB126_68
.LBB126_67:                             ;   in Loop: Header=BB126_4 Depth=1
	v_add_co_u32 v0, vcc_lo, v9, s52
	s_wait_alu 0xfffd
	v_add_co_ci_u32_e64 v1, null, s53, v10, vcc_lo
	global_load_b128 v[11:14], v[0:1], off
	s_wait_loadcnt 0x0
	ds_store_2addr_b64 v159, v[11:12], v[13:14] offset1:1
.LBB126_68:                             ;   in Loop: Header=BB126_4 Depth=1
	s_wait_alu 0xfffe
	s_or_b32 exec_lo, exec_lo, s19
	v_add_co_u32 v0, vcc_lo, v9, v186
	s_wait_alu 0xfffd
	v_add_co_ci_u32_e64 v1, null, 0, v10, vcc_lo
	s_lshl_b64 s[66:67], s[56:57], 4
	s_wait_alu 0xfffe
	v_add_co_u32 v0, vcc_lo, v0, s66
	s_wait_alu 0xfffd
	v_add_co_ci_u32_e64 v1, null, s67, v1, vcc_lo
	s_delay_alu instid0(VALU_DEP_2) | instskip(SKIP_1) | instid1(VALU_DEP_2)
	v_add_co_u32 v0, vcc_lo, 0x210, v0
	s_wait_alu 0xfffd
	v_add_co_ci_u32_e64 v1, null, 0, v1, vcc_lo
	s_delay_alu instid0(VALU_DEP_2) | instskip(NEXT) | instid1(VALU_DEP_2)
	v_cndmask_b32_e64 v43, v0, v43, s12
	v_cndmask_b32_e64 v44, v1, v44, s12
.LBB126_69:                             ;   in Loop: Header=BB126_4 Depth=1
	s_wait_loadcnt_dscnt 0x0
	s_barrier_signal -1
	s_barrier_wait -1
	global_inv scope:SCOPE_SE
	ds_load_b128 v[9:12], v184
	ds_load_b128 v[13:16], v154
	;; [unrolled: 1-line block ×3, first 2 shown]
	ds_load_b128 v[21:24], v183 offset:384
	ds_load_b128 v[25:28], v183 offset:128
	;; [unrolled: 1-line block ×3, first 2 shown]
	s_wait_dscnt 0x4
	v_mul_f64_e32 v[0:1], v[11:12], v[15:16]
	v_mul_f64_e32 v[3:4], v[9:10], v[15:16]
	s_wait_dscnt 0x1
	v_mul_f64_e32 v[33:34], v[27:28], v[19:20]
	v_mul_f64_e32 v[19:20], v[25:26], v[19:20]
	s_delay_alu instid0(VALU_DEP_4) | instskip(NEXT) | instid1(VALU_DEP_4)
	v_fma_f64 v[0:1], v[9:10], v[13:14], -v[0:1]
	v_fma_f64 v[3:4], v[11:12], v[13:14], v[3:4]
	ds_load_b128 v[9:12], v158
	ds_load_b128 v[13:16], v159
	v_fma_f64 v[25:26], v[25:26], v[17:18], -v[33:34]
	v_fma_f64 v[17:18], v[27:28], v[17:18], v[19:20]
	s_wait_dscnt 0x1
	v_mul_f64_e32 v[35:36], v[31:32], v[11:12]
	v_mul_f64_e32 v[11:12], v[29:30], v[11:12]
	s_wait_dscnt 0x0
	v_mul_f64_e32 v[19:20], v[23:24], v[15:16]
	v_mul_f64_e32 v[15:16], v[21:22], v[15:16]
	v_add_f64_e32 v[0:1], 0, v[0:1]
	v_add_f64_e32 v[3:4], 0, v[3:4]
	v_fma_f64 v[27:28], v[29:30], v[9:10], -v[35:36]
	v_fma_f64 v[9:10], v[31:32], v[9:10], v[11:12]
	v_fma_f64 v[11:12], v[21:22], v[13:14], -v[19:20]
	v_fma_f64 v[13:14], v[23:24], v[13:14], v[15:16]
	v_add_f64_e32 v[0:1], v[0:1], v[25:26]
	v_add_f64_e32 v[3:4], v[3:4], v[17:18]
	s_delay_alu instid0(VALU_DEP_2) | instskip(NEXT) | instid1(VALU_DEP_2)
	v_add_f64_e32 v[0:1], v[0:1], v[27:28]
	v_add_f64_e32 v[3:4], v[3:4], v[9:10]
	s_delay_alu instid0(VALU_DEP_2) | instskip(NEXT) | instid1(VALU_DEP_2)
	v_add_f64_e32 v[45:46], v[0:1], v[11:12]
	v_add_f64_e32 v[47:48], v[3:4], v[13:14]
	ds_load_b128 v[33:36], v175
	ds_load_b128 v[25:28], v175 offset:16
	ds_load_b128 v[13:16], v175 offset:32
	;; [unrolled: 1-line block ×7, first 2 shown]
	s_wait_loadcnt_dscnt 0x0
	s_barrier_signal -1
	s_barrier_wait -1
	global_inv scope:SCOPE_SE
	ds_store_b128 v170, v[45:48]
	s_wait_loadcnt_dscnt 0x0
	s_barrier_signal -1
	s_barrier_wait -1
	global_inv scope:SCOPE_SE
	s_and_saveexec_b32 s19, s17
	s_cbranch_execz .LBB126_71
; %bb.70:                               ;   in Loop: Header=BB126_4 Depth=1
	ds_load_b128 v[45:48], v166
	ds_load_b128 v[49:52], v166 offset:16
	s_wait_dscnt 0x1
	v_add_f64_e32 v[0:1], v[5:6], v[45:46]
	v_add_f64_e32 v[3:4], v[7:8], v[47:48]
	s_wait_dscnt 0x0
	s_delay_alu instid0(VALU_DEP_2) | instskip(NEXT) | instid1(VALU_DEP_2)
	v_add_f64_e32 v[0:1], v[0:1], v[49:50]
	v_add_f64_e32 v[7:8], v[3:4], v[51:52]
	ds_load_b128 v[3:6], v166 offset:32
	ds_load_b128 v[45:48], v166 offset:48
	s_wait_dscnt 0x1
	v_add_f64_e32 v[0:1], v[0:1], v[3:4]
	v_add_f64_e32 v[3:4], v[7:8], v[5:6]
	s_wait_dscnt 0x0
	s_delay_alu instid0(VALU_DEP_2) | instskip(NEXT) | instid1(VALU_DEP_2)
	v_add_f64_e32 v[0:1], v[0:1], v[45:46]
	v_add_f64_e32 v[7:8], v[3:4], v[47:48]
	ds_load_b128 v[3:6], v166 offset:64
	;; [unrolled: 9-line block ×3, first 2 shown]
	ds_load_b128 v[45:48], v166 offset:112
	s_wait_dscnt 0x1
	v_add_f64_e32 v[0:1], v[0:1], v[3:4]
	v_add_f64_e32 v[3:4], v[7:8], v[5:6]
	s_wait_dscnt 0x0
	s_delay_alu instid0(VALU_DEP_2) | instskip(NEXT) | instid1(VALU_DEP_2)
	v_add_f64_e32 v[5:6], v[0:1], v[45:46]
	v_add_f64_e32 v[7:8], v[3:4], v[47:48]
.LBB126_71:                             ;   in Loop: Header=BB126_4 Depth=1
	s_wait_alu 0xfffe
	s_or_b32 exec_lo, exec_lo, s19
	v_mul_f64_e32 v[0:1], v[35:36], v[39:40]
	v_mul_f64_e32 v[3:4], v[33:34], v[39:40]
	;; [unrolled: 1-line block ×4, first 2 shown]
	s_wait_loadcnt 0x0
	s_barrier_signal -1
	s_barrier_wait -1
	global_inv scope:SCOPE_SE
	v_fma_f64 v[0:1], v[33:34], v[37:38], -v[0:1]
	v_fma_f64 v[3:4], v[35:36], v[37:38], v[3:4]
	v_mul_f64_e32 v[33:34], v[15:16], v[23:24]
	v_mul_f64_e32 v[23:24], v[13:14], v[23:24]
	v_fma_f64 v[25:26], v[25:26], v[29:30], -v[39:40]
	v_fma_f64 v[27:28], v[27:28], v[29:30], v[31:32]
	v_mul_f64_e32 v[29:30], v[11:12], v[19:20]
	v_mul_f64_e32 v[19:20], v[9:10], v[19:20]
	v_add_f64_e32 v[0:1], 0, v[0:1]
	v_add_f64_e32 v[3:4], 0, v[3:4]
	v_fma_f64 v[13:14], v[13:14], v[21:22], -v[33:34]
	v_fma_f64 v[15:16], v[15:16], v[21:22], v[23:24]
	v_fma_f64 v[9:10], v[9:10], v[17:18], -v[29:30]
	v_fma_f64 v[11:12], v[11:12], v[17:18], v[19:20]
	v_add_f64_e32 v[0:1], v[0:1], v[25:26]
	v_add_f64_e32 v[3:4], v[3:4], v[27:28]
	s_delay_alu instid0(VALU_DEP_2) | instskip(NEXT) | instid1(VALU_DEP_2)
	v_add_f64_e32 v[0:1], v[0:1], v[13:14]
	v_add_f64_e32 v[3:4], v[3:4], v[15:16]
	s_delay_alu instid0(VALU_DEP_2) | instskip(NEXT) | instid1(VALU_DEP_2)
	v_add_f64_e32 v[9:10], v[0:1], v[9:10]
	v_add_f64_e32 v[11:12], v[3:4], v[11:12]
	ds_store_b128 v170, v[9:12]
	s_wait_loadcnt_dscnt 0x0
	s_barrier_signal -1
	s_barrier_wait -1
	global_inv scope:SCOPE_SE
	s_and_saveexec_b32 s19, s11
	s_cbranch_execz .LBB126_73
; %bb.72:                               ;   in Loop: Header=BB126_4 Depth=1
	ds_load_b128 v[9:12], v166
	ds_load_b128 v[13:16], v166 offset:16
	s_wait_dscnt 0x1
	v_add_f64_e32 v[0:1], v[5:6], v[9:10]
	v_add_f64_e32 v[3:4], v[7:8], v[11:12]
	s_wait_dscnt 0x0
	s_delay_alu instid0(VALU_DEP_2) | instskip(NEXT) | instid1(VALU_DEP_2)
	v_add_f64_e32 v[0:1], v[0:1], v[13:14]
	v_add_f64_e32 v[11:12], v[3:4], v[15:16]
	ds_load_b128 v[3:6], v166 offset:32
	ds_load_b128 v[7:10], v166 offset:48
	s_wait_dscnt 0x1
	v_add_f64_e32 v[0:1], v[0:1], v[3:4]
	v_add_f64_e32 v[3:4], v[11:12], v[5:6]
	s_wait_dscnt 0x0
	s_delay_alu instid0(VALU_DEP_2) | instskip(NEXT) | instid1(VALU_DEP_2)
	v_add_f64_e32 v[0:1], v[0:1], v[7:8]
	v_add_f64_e32 v[11:12], v[3:4], v[9:10]
	ds_load_b128 v[3:6], v166 offset:64
	;; [unrolled: 9-line block ×3, first 2 shown]
	ds_load_b128 v[7:10], v166 offset:112
	s_wait_dscnt 0x1
	v_add_f64_e32 v[0:1], v[0:1], v[3:4]
	v_add_f64_e32 v[3:4], v[11:12], v[5:6]
	s_wait_dscnt 0x0
	s_delay_alu instid0(VALU_DEP_2) | instskip(NEXT) | instid1(VALU_DEP_2)
	v_add_f64_e32 v[5:6], v[0:1], v[7:8]
	v_add_f64_e32 v[7:8], v[3:4], v[9:10]
.LBB126_73:                             ;   in Loop: Header=BB126_4 Depth=1
	s_wait_alu 0xfffe
	s_or_b32 exec_lo, exec_lo, s19
	s_mul_u64 s[66:67], s[40:41], s[28:29]
	s_and_not1_b32 vcc_lo, exec_lo, s69
	s_wait_alu 0xfffe
	s_lshl_b64 s[66:67], s[66:67], 4
	s_wait_loadcnt 0x0
	s_wait_alu 0xfffe
	s_add_nc_u64 s[66:67], s[42:43], s[66:67]
	s_barrier_signal -1
	s_barrier_wait -1
	global_inv scope:SCOPE_SE
	s_cbranch_vccnz .LBB126_80
; %bb.74:                               ;   in Loop: Header=BB126_4 Depth=1
	v_add_co_u32 v0, vcc_lo, v43, s64
	s_wait_alu 0xfffd
	v_add_co_ci_u32_e64 v1, null, s65, v44, vcc_lo
	v_lshlrev_b32_e32 v3, 4, v149
	s_delay_alu instid0(VALU_DEP_3) | instskip(SKIP_1) | instid1(VALU_DEP_3)
	v_add_co_u32 v0, vcc_lo, v0, v143
	s_wait_alu 0xfffd
	v_add_co_ci_u32_e64 v1, null, v1, v144, vcc_lo
	s_lshl_b64 s[72:73], s[34:35], 4
	v_add_co_u32 v0, vcc_lo, v0, v145
	s_wait_alu 0xfffd
	v_add_co_ci_u32_e64 v1, null, v1, v146, vcc_lo
	s_mov_b32 s19, ttmp9
	s_wait_alu 0xfffe
	v_add_co_u32 v4, vcc_lo, v0, s72
	s_wait_alu 0xfffd
	v_add_co_ci_u32_e64 v9, null, s73, v1, vcc_lo
	v_add_co_u32 v0, vcc_lo, v0, v3
	s_wait_alu 0xfffd
	v_add_co_ci_u32_e64 v1, null, 0, v1, vcc_lo
	v_add_co_u32 v3, vcc_lo, 0xfffffdf0, v4
	s_wait_alu 0xfffd
	v_add_co_ci_u32_e64 v4, null, -1, v9, vcc_lo
	v_add_co_u32 v0, vcc_lo, 0xfffffe00, v0
	s_wait_alu 0xfffd
	v_add_co_ci_u32_e64 v1, null, -1, v1, vcc_lo
	v_add_co_u32 v187, vcc_lo, v41, s62
	s_wait_alu 0xfffd
	v_add_co_ci_u32_e64 v188, null, s63, v42, vcc_lo
	s_delay_alu instid0(VALU_DEP_3)
	v_cndmask_b32_e64 v1, v1, v4, s1
	v_cndmask_b32_e64 v0, v0, v3, s1
	s_mov_b32 s30, 0
	s_branch .LBB126_76
.LBB126_75:                             ;   in Loop: Header=BB126_76 Depth=2
	s_or_b32 exec_lo, exec_lo, s29
	v_mul_f64_e32 v[0:1], v[19:20], v[27:28]
	v_mul_f64_e32 v[27:28], v[17:18], v[27:28]
	;; [unrolled: 1-line block ×4, first 2 shown]
	s_wait_alu 0xfffe
	s_add_co_i32 s19, s19, -1
	s_add_co_i32 s30, s30, 64
	s_wait_alu 0xfffe
	s_cmp_eq_u32 s19, 0
	s_wait_loadcnt 0x0
	s_wait_storecnt 0x0
	s_barrier_signal -1
	s_barrier_wait -1
	global_inv scope:SCOPE_SE
	v_fma_f64 v[0:1], v[17:18], v[25:26], -v[0:1]
	v_fma_f64 v[17:18], v[19:20], v[25:26], v[27:28]
	v_mul_f64_e32 v[19:20], v[15:16], v[39:40]
	v_mul_f64_e32 v[25:26], v[13:14], v[39:40]
	v_fma_f64 v[21:22], v[21:22], v[41:42], -v[113:114]
	v_fma_f64 v[23:24], v[23:24], v[41:42], v[43:44]
	v_add_f64_e32 v[0:1], v[5:6], v[0:1]
	v_add_f64_e32 v[5:6], v[7:8], v[17:18]
	v_mul_f64_e32 v[7:8], v[11:12], v[35:36]
	v_mul_f64_e32 v[17:18], v[9:10], v[35:36]
	v_fma_f64 v[13:14], v[13:14], v[37:38], -v[19:20]
	v_fma_f64 v[15:16], v[15:16], v[37:38], v[25:26]
	v_mul_f64_e32 v[19:20], v[31:32], v[59:60]
	v_add_f64_e32 v[0:1], v[0:1], v[21:22]
	v_add_f64_e32 v[5:6], v[5:6], v[23:24]
	v_mul_f64_e32 v[21:22], v[29:30], v[59:60]
	v_fma_f64 v[7:8], v[9:10], v[33:34], -v[7:8]
	v_fma_f64 v[9:10], v[11:12], v[33:34], v[17:18]
	v_mul_f64_e32 v[11:12], v[55:56], v[75:76]
	v_add_f64_e32 v[0:1], v[0:1], v[13:14]
	v_add_f64_e32 v[5:6], v[5:6], v[15:16]
	v_mul_f64_e32 v[13:14], v[53:54], v[75:76]
	v_fma_f64 v[15:16], v[29:30], v[57:58], -v[19:20]
	v_fma_f64 v[17:18], v[31:32], v[57:58], v[21:22]
	v_fma_f64 v[11:12], v[53:54], v[73:74], -v[11:12]
	v_add_f64_e32 v[0:1], v[0:1], v[7:8]
	v_add_f64_e32 v[5:6], v[5:6], v[9:10]
	v_mul_f64_e32 v[7:8], v[51:52], v[71:72]
	v_mul_f64_e32 v[9:10], v[49:50], v[71:72]
	v_fma_f64 v[13:14], v[55:56], v[73:74], v[13:14]
	v_add_f64_e32 v[0:1], v[0:1], v[15:16]
	v_add_f64_e32 v[5:6], v[5:6], v[17:18]
	v_mul_f64_e32 v[15:16], v[47:48], v[67:68]
	v_mul_f64_e32 v[17:18], v[45:46], v[67:68]
	v_fma_f64 v[7:8], v[49:50], v[69:70], -v[7:8]
	v_fma_f64 v[9:10], v[51:52], v[69:70], v[9:10]
	v_add_f64_e32 v[0:1], v[0:1], v[11:12]
	v_add_f64_e32 v[5:6], v[5:6], v[13:14]
	v_mul_f64_e32 v[11:12], v[63:64], v[83:84]
	v_mul_f64_e32 v[13:14], v[61:62], v[83:84]
	v_fma_f64 v[15:16], v[45:46], v[65:66], -v[15:16]
	;; [unrolled: 6-line block ×9, first 2 shown]
	v_fma_f64 v[13:14], v[123:124], v[133:134], v[13:14]
	v_add_f64_e32 v[0:1], v[0:1], v[15:16]
	v_add_f64_e32 v[5:6], v[5:6], v[17:18]
	v_fma_f64 v[7:8], v[125:126], v[129:130], -v[7:8]
	v_fma_f64 v[9:10], v[127:128], v[129:130], v[9:10]
	s_delay_alu instid0(VALU_DEP_4) | instskip(NEXT) | instid1(VALU_DEP_4)
	v_add_f64_e32 v[0:1], v[0:1], v[11:12]
	v_add_f64_e32 v[11:12], v[5:6], v[13:14]
	s_delay_alu instid0(VALU_DEP_2) | instskip(NEXT) | instid1(VALU_DEP_2)
	v_add_f64_e32 v[5:6], v[0:1], v[7:8]
	v_add_f64_e32 v[7:8], v[11:12], v[9:10]
	v_add_co_u32 v0, vcc_lo, v3, s44
	s_wait_alu 0xfffd
	v_add_co_ci_u32_e64 v1, null, s45, v4, vcc_lo
	s_cbranch_scc1 .LBB126_80
.LBB126_76:                             ;   Parent Loop BB126_4 Depth=1
                                        ; =>  This Inner Loop Header: Depth=2
	s_and_saveexec_b32 s29, s0
	s_cbranch_execz .LBB126_78
; %bb.77:                               ;   in Loop: Header=BB126_76 Depth=2
	s_wait_alu 0xfffe
	s_mul_u64 s[72:73], s[20:21], s[30:31]
	s_wait_alu 0xfffe
	s_lshl_b64 s[72:73], s[72:73], 4
	s_wait_alu 0xfffe
	v_add_co_u32 v3, vcc_lo, v187, s72
	s_wait_alu 0xfffd
	v_add_co_ci_u32_e64 v4, null, s73, v188, vcc_lo
	global_load_b128 v[9:12], v[3:4], off
	s_wait_loadcnt 0x0
	ds_store_2addr_b64 v176, v[9:10], v[11:12] offset1:1
.LBB126_78:                             ;   in Loop: Header=BB126_76 Depth=2
	s_or_b32 exec_lo, exec_lo, s29
	v_add_co_u32 v3, vcc_lo, v0, s58
	s_wait_alu 0xfffd
	v_add_co_ci_u32_e64 v4, null, s59, v1, vcc_lo
	s_wait_loadcnt_dscnt 0x0
	s_delay_alu instid0(VALU_DEP_2) | instskip(SKIP_1) | instid1(VALU_DEP_2)
	v_add_co_u32 v9, vcc_lo, v3, s58
	s_wait_alu 0xfffd
	v_add_co_ci_u32_e64 v10, null, s59, v4, vcc_lo
	s_barrier_signal -1
	s_barrier_wait -1
	global_inv scope:SCOPE_SE
	global_load_b128 v[17:20], v[0:1], off
	v_add_co_u32 v0, vcc_lo, v9, s58
	s_wait_alu 0xfffd
	v_add_co_ci_u32_e64 v1, null, s59, v10, vcc_lo
	s_clause 0x2
	global_load_b128 v[21:24], v[3:4], off
	global_load_b128 v[13:16], v[9:10], off
	;; [unrolled: 1-line block ×3, first 2 shown]
	ds_load_b128 v[29:32], v153
	ds_load_b128 v[25:28], v177
	v_add_co_u32 v0, vcc_lo, v0, s44
	s_wait_alu 0xfffd
	v_add_co_ci_u32_e64 v1, null, s45, v1, vcc_lo
	s_wait_loadcnt_dscnt 0x301
	v_mul_f64_e32 v[3:4], v[19:20], v[31:32]
	v_mul_f64_e32 v[33:34], v[17:18], v[31:32]
	s_wait_loadcnt 0x2
	v_mul_f64_e32 v[35:36], v[23:24], v[31:32]
	v_mul_f64_e32 v[37:38], v[21:22], v[31:32]
	s_wait_loadcnt 0x1
	;; [unrolled: 3-line block ×3, first 2 shown]
	v_mul_f64_e32 v[43:44], v[11:12], v[31:32]
	v_mul_f64_e32 v[31:32], v[9:10], v[31:32]
	v_fma_f64 v[45:46], v[17:18], v[29:30], -v[3:4]
	v_fma_f64 v[47:48], v[19:20], v[29:30], v[33:34]
	v_add_co_u32 v3, vcc_lo, v0, s58
	v_fma_f64 v[49:50], v[21:22], v[29:30], -v[35:36]
	v_fma_f64 v[51:52], v[23:24], v[29:30], v[37:38]
	v_fma_f64 v[53:54], v[13:14], v[29:30], -v[39:40]
	v_fma_f64 v[55:56], v[15:16], v[29:30], v[41:42]
	;; [unrolled: 2-line block ×3, first 2 shown]
	s_wait_alu 0xfffd
	v_add_co_ci_u32_e64 v4, null, s59, v1, vcc_lo
	v_add_co_u32 v61, vcc_lo, v3, s58
	ds_load_b128 v[41:44], v177 offset:16
	ds_load_b128 v[37:40], v177 offset:32
	s_wait_alu 0xfffd
	v_add_co_ci_u32_e64 v62, null, s59, v4, vcc_lo
	ds_load_b128 v[33:36], v177 offset:48
	ds_store_b128 v178, v[45:48]
	ds_store_b128 v178, v[49:52] offset:1072
	ds_store_b128 v178, v[53:56] offset:2144
	;; [unrolled: 1-line block ×3, first 2 shown]
	s_wait_dscnt 0x0
	s_barrier_signal -1
	s_barrier_wait -1
	global_inv scope:SCOPE_SE
	ds_load_b128 v[81:84], v179
	ds_load_b128 v[85:88], v179 offset:16
	ds_load_b128 v[89:92], v179 offset:32
	;; [unrolled: 1-line block ×3, first 2 shown]
	s_wait_loadcnt_dscnt 0x0
	s_barrier_signal -1
	s_barrier_wait -1
	global_inv scope:SCOPE_SE
	global_load_b128 v[29:32], v[0:1], off
	v_add_co_u32 v0, vcc_lo, v61, s58
	s_wait_alu 0xfffd
	v_add_co_ci_u32_e64 v1, null, s59, v62, vcc_lo
	s_clause 0x2
	global_load_b128 v[53:56], v[3:4], off
	global_load_b128 v[49:52], v[61:62], off
	;; [unrolled: 1-line block ×3, first 2 shown]
	ds_load_b128 v[61:64], v153
	ds_load_b128 v[57:60], v177 offset:256
	v_add_co_u32 v0, vcc_lo, v0, s44
	s_wait_alu 0xfffd
	v_add_co_ci_u32_e64 v1, null, s45, v1, vcc_lo
	s_wait_loadcnt_dscnt 0x301
	v_mul_f64_e32 v[3:4], v[31:32], v[63:64]
	v_mul_f64_e32 v[65:66], v[29:30], v[63:64]
	s_wait_loadcnt 0x2
	v_mul_f64_e32 v[67:68], v[55:56], v[63:64]
	v_mul_f64_e32 v[69:70], v[53:54], v[63:64]
	s_wait_loadcnt 0x1
	;; [unrolled: 3-line block ×3, first 2 shown]
	v_mul_f64_e32 v[75:76], v[47:48], v[63:64]
	v_mul_f64_e32 v[63:64], v[45:46], v[63:64]
	v_fma_f64 v[77:78], v[29:30], v[61:62], -v[3:4]
	v_fma_f64 v[79:80], v[31:32], v[61:62], v[65:66]
	v_add_f64_e32 v[3:4], 0, v[81:82]
	v_add_f64_e32 v[81:82], 0, v[83:84]
	v_fma_f64 v[97:98], v[53:54], v[61:62], -v[67:68]
	v_fma_f64 v[99:100], v[55:56], v[61:62], v[69:70]
	v_fma_f64 v[101:102], v[49:50], v[61:62], -v[71:72]
	v_fma_f64 v[103:104], v[51:52], v[61:62], v[73:74]
	;; [unrolled: 2-line block ×3, first 2 shown]
	ds_load_b128 v[73:76], v177 offset:272
	ds_load_b128 v[69:72], v177 offset:288
	;; [unrolled: 1-line block ×3, first 2 shown]
	ds_store_b128 v178, v[77:80]
	ds_store_b128 v178, v[97:100] offset:1072
	ds_store_b128 v178, v[101:104] offset:2144
	ds_store_b128 v178, v[105:108] offset:3216
	s_wait_dscnt 0x0
	s_barrier_signal -1
	s_barrier_wait -1
	global_inv scope:SCOPE_SE
	ds_load_b128 v[97:100], v179
	ds_load_b128 v[101:104], v179 offset:16
	ds_load_b128 v[105:108], v179 offset:32
	;; [unrolled: 1-line block ×3, first 2 shown]
	s_wait_loadcnt_dscnt 0x0
	s_barrier_signal -1
	s_barrier_wait -1
	global_inv scope:SCOPE_SE
	global_load_b128 v[61:64], v[0:1], off
	v_add_co_u32 v0, vcc_lo, v0, s58
	s_wait_alu 0xfffd
	v_add_co_ci_u32_e64 v1, null, s59, v1, vcc_lo
	v_add_f64_e32 v[81:82], v[81:82], v[87:88]
	ds_load_b128 v[117:120], v153
	v_add_f64_e32 v[3:4], v[3:4], v[85:86]
	global_load_b128 v[77:80], v[0:1], off
	v_add_co_u32 v0, vcc_lo, v0, s58
	s_wait_alu 0xfffd
	v_add_co_ci_u32_e64 v1, null, s59, v1, vcc_lo
	v_add_f64_e32 v[81:82], v[81:82], v[91:92]
	v_add_f64_e32 v[3:4], v[3:4], v[89:90]
	s_delay_alu instid0(VALU_DEP_2)
	v_add_f64_e32 v[115:116], v[81:82], v[95:96]
	ds_load_b128 v[81:84], v177 offset:512
	v_add_f64_e32 v[113:114], v[3:4], v[93:94]
	s_wait_loadcnt_dscnt 0x101
	v_mul_f64_e32 v[85:86], v[61:62], v[119:120]
	v_mul_f64_e32 v[3:4], v[63:64], v[119:120]
	s_wait_loadcnt 0x0
	v_mul_f64_e32 v[87:88], v[79:80], v[119:120]
	s_delay_alu instid0(VALU_DEP_3) | instskip(NEXT) | instid1(VALU_DEP_3)
	v_fma_f64 v[95:96], v[63:64], v[117:118], v[85:86]
	v_fma_f64 v[93:94], v[61:62], v[117:118], -v[3:4]
	v_mul_f64_e32 v[3:4], v[77:78], v[119:120]
	s_delay_alu instid0(VALU_DEP_4)
	v_fma_f64 v[121:122], v[77:78], v[117:118], -v[87:88]
	global_load_b128 v[85:88], v[0:1], off
	ds_store_b128 v178, v[93:96]
	v_fma_f64 v[123:124], v[79:80], v[117:118], v[3:4]
	v_add_co_u32 v3, vcc_lo, v0, s58
	s_wait_alu 0xfffd
	v_add_co_ci_u32_e64 v4, null, s59, v1, vcc_lo
	s_wait_loadcnt 0x0
	v_mul_f64_e32 v[89:90], v[85:86], v[119:120]
	v_mul_f64_e32 v[0:1], v[87:88], v[119:120]
	s_delay_alu instid0(VALU_DEP_2)
	v_fma_f64 v[127:128], v[87:88], v[117:118], v[89:90]
	global_load_b128 v[89:92], v[3:4], off
	v_fma_f64 v[125:126], v[85:86], v[117:118], -v[0:1]
	ds_store_b128 v178, v[121:124] offset:1072
	ds_store_b128 v178, v[125:128] offset:2144
	s_wait_loadcnt 0x0
	v_mul_f64_e32 v[0:1], v[91:92], v[119:120]
	v_mul_f64_e32 v[119:120], v[89:90], v[119:120]
	s_delay_alu instid0(VALU_DEP_2) | instskip(SKIP_2) | instid1(VALU_DEP_4)
	v_fma_f64 v[129:130], v[89:90], v[117:118], -v[0:1]
	v_add_f64_e32 v[0:1], 0, v[97:98]
	v_add_f64_e32 v[97:98], 0, v[99:100]
	v_fma_f64 v[131:132], v[91:92], v[117:118], v[119:120]
	s_delay_alu instid0(VALU_DEP_3) | instskip(NEXT) | instid1(VALU_DEP_3)
	v_add_f64_e32 v[0:1], v[0:1], v[101:102]
	v_add_f64_e32 v[97:98], v[97:98], v[103:104]
	s_delay_alu instid0(VALU_DEP_2) | instskip(NEXT) | instid1(VALU_DEP_2)
	v_add_f64_e32 v[0:1], v[0:1], v[105:106]
	v_add_f64_e32 v[97:98], v[97:98], v[107:108]
	s_delay_alu instid0(VALU_DEP_2) | instskip(SKIP_3) | instid1(VALU_DEP_4)
	v_add_f64_e32 v[189:190], v[0:1], v[109:110]
	v_add_co_u32 v0, vcc_lo, v3, s44
	s_wait_alu 0xfffd
	v_add_co_ci_u32_e64 v1, null, s45, v4, vcc_lo
	v_add_f64_e32 v[191:192], v[97:98], v[111:112]
	ds_load_b128 v[109:112], v177 offset:528
	ds_load_b128 v[105:108], v177 offset:544
	ds_store_b128 v178, v[129:132] offset:3216
	ds_load_b128 v[101:104], v177 offset:560
	s_wait_dscnt 0x0
	s_barrier_signal -1
	s_barrier_wait -1
	global_inv scope:SCOPE_SE
	ds_load_b128 v[129:132], v179
	ds_load_b128 v[133:136], v179 offset:16
	ds_load_b128 v[137:140], v179 offset:32
	;; [unrolled: 1-line block ×3, first 2 shown]
	s_wait_loadcnt_dscnt 0x0
	s_barrier_signal -1
	s_barrier_wait -1
	global_inv scope:SCOPE_SE
	global_load_b128 v[93:96], v[0:1], off
	ds_load_b128 v[197:200], v153
	ds_load_b128 v[97:100], v177 offset:768
	v_add_co_u32 v3, vcc_lo, v0, s58
	s_wait_alu 0xfffd
	v_add_co_ci_u32_e64 v4, null, s59, v1, vcc_lo
	s_wait_loadcnt_dscnt 0x1
	v_mul_f64_e32 v[117:118], v[93:94], v[199:200]
	v_mul_f64_e32 v[0:1], v[95:96], v[199:200]
	s_delay_alu instid0(VALU_DEP_2)
	v_fma_f64 v[203:204], v[95:96], v[197:198], v[117:118]
	global_load_b128 v[117:120], v[3:4], off
	v_fma_f64 v[201:202], v[93:94], v[197:198], -v[0:1]
	v_add_co_u32 v0, vcc_lo, v3, s58
	s_wait_alu 0xfffd
	v_add_co_ci_u32_e64 v1, null, s59, v4, vcc_lo
	s_wait_loadcnt 0x0
	v_mul_f64_e32 v[121:122], v[117:118], v[199:200]
	v_mul_f64_e32 v[3:4], v[119:120], v[199:200]
	s_delay_alu instid0(VALU_DEP_2)
	v_fma_f64 v[207:208], v[119:120], v[197:198], v[121:122]
	global_load_b128 v[121:124], v[0:1], off
	v_fma_f64 v[205:206], v[117:118], v[197:198], -v[3:4]
	v_add_co_u32 v3, vcc_lo, v0, s58
	s_wait_alu 0xfffd
	v_add_co_ci_u32_e64 v4, null, s59, v1, vcc_lo
	s_wait_loadcnt 0x0
	v_mul_f64_e32 v[125:126], v[121:122], v[199:200]
	v_mul_f64_e32 v[0:1], v[123:124], v[199:200]
	s_delay_alu instid0(VALU_DEP_2)
	v_fma_f64 v[211:212], v[123:124], v[197:198], v[125:126]
	global_load_b128 v[125:128], v[3:4], off
	v_fma_f64 v[209:210], v[121:122], v[197:198], -v[0:1]
	s_wait_loadcnt 0x0
	v_mul_f64_e32 v[0:1], v[127:128], v[199:200]
	v_mul_f64_e32 v[199:200], v[125:126], v[199:200]
	s_delay_alu instid0(VALU_DEP_2) | instskip(SKIP_2) | instid1(VALU_DEP_4)
	v_fma_f64 v[213:214], v[125:126], v[197:198], -v[0:1]
	v_add_f64_e32 v[0:1], 0, v[129:130]
	v_add_f64_e32 v[129:130], 0, v[131:132]
	v_fma_f64 v[215:216], v[127:128], v[197:198], v[199:200]
	ds_store_b128 v178, v[201:204]
	ds_store_b128 v178, v[205:208] offset:1072
	ds_store_b128 v178, v[209:212] offset:2144
	;; [unrolled: 1-line block ×3, first 2 shown]
	v_add_f64_e32 v[0:1], v[0:1], v[133:134]
	v_add_f64_e32 v[129:130], v[129:130], v[135:136]
	s_delay_alu instid0(VALU_DEP_2) | instskip(NEXT) | instid1(VALU_DEP_2)
	v_add_f64_e32 v[0:1], v[0:1], v[137:138]
	v_add_f64_e32 v[129:130], v[129:130], v[139:140]
	s_delay_alu instid0(VALU_DEP_2) | instskip(NEXT) | instid1(VALU_DEP_2)
	v_add_f64_e32 v[193:194], v[0:1], v[193:194]
	v_add_f64_e32 v[195:196], v[129:130], v[195:196]
	ds_load_b128 v[137:140], v177 offset:784
	ds_load_b128 v[133:136], v177 offset:800
	ds_load_b128 v[129:132], v177 offset:816
	s_wait_dscnt 0x0
	s_barrier_signal -1
	s_barrier_wait -1
	global_inv scope:SCOPE_SE
	ds_load_b128 v[197:200], v179
	ds_load_b128 v[201:204], v179 offset:16
	s_wait_dscnt 0x1
	v_add_f64_e32 v[0:1], 0, v[197:198]
	v_add_f64_e32 v[197:198], 0, v[199:200]
	s_wait_dscnt 0x0
	s_delay_alu instid0(VALU_DEP_2) | instskip(NEXT) | instid1(VALU_DEP_2)
	v_add_f64_e32 v[0:1], v[0:1], v[201:202]
	v_add_f64_e32 v[205:206], v[197:198], v[203:204]
	ds_load_b128 v[197:200], v179 offset:32
	ds_load_b128 v[201:204], v179 offset:48
	s_wait_loadcnt_dscnt 0x0
	s_barrier_signal -1
	s_barrier_wait -1
	global_inv scope:SCOPE_SE
	v_add_f64_e32 v[0:1], v[0:1], v[197:198]
	v_add_f64_e32 v[199:200], v[205:206], v[199:200]
	s_delay_alu instid0(VALU_DEP_2) | instskip(NEXT) | instid1(VALU_DEP_2)
	v_add_f64_e32 v[197:198], v[0:1], v[201:202]
	v_add_f64_e32 v[199:200], v[199:200], v[203:204]
	ds_store_b128 v185, v[113:116]
	ds_store_b128 v185, v[189:192] offset:256
	ds_store_b128 v185, v[193:196] offset:512
	;; [unrolled: 1-line block ×3, first 2 shown]
	s_wait_loadcnt_dscnt 0x0
	s_barrier_signal -1
	s_barrier_wait -1
	global_inv scope:SCOPE_SE
	s_and_saveexec_b32 s29, s18
	s_cbranch_execz .LBB126_75
; %bb.79:                               ;   in Loop: Header=BB126_76 Depth=2
	ds_load_b128 v[113:116], v180
	ds_load_b128 v[189:192], v180 offset:16
	s_wait_dscnt 0x0
	v_add_f64_e32 v[0:1], v[189:190], v[113:114]
	v_add_f64_e32 v[193:194], v[191:192], v[115:116]
	ds_load_b128 v[113:116], v180 offset:32
	ds_load_b128 v[189:192], v180 offset:48
	s_wait_dscnt 0x1
	v_add_f64_e32 v[0:1], v[0:1], v[113:114]
	v_add_f64_e32 v[113:114], v[193:194], v[115:116]
	s_wait_dscnt 0x0
	s_delay_alu instid0(VALU_DEP_2) | instskip(NEXT) | instid1(VALU_DEP_2)
	v_add_f64_e32 v[0:1], v[0:1], v[189:190]
	v_add_f64_e32 v[193:194], v[113:114], v[191:192]
	ds_load_b128 v[113:116], v180 offset:64
	ds_load_b128 v[189:192], v180 offset:80
	s_wait_dscnt 0x1
	v_add_f64_e32 v[0:1], v[0:1], v[113:114]
	v_add_f64_e32 v[113:114], v[193:194], v[115:116]
	s_wait_dscnt 0x0
	s_delay_alu instid0(VALU_DEP_2) | instskip(NEXT) | instid1(VALU_DEP_2)
	;; [unrolled: 9-line block ×6, first 2 shown]
	v_add_f64_e32 v[0:1], v[0:1], v[189:190]
	v_add_f64_e32 v[193:194], v[113:114], v[191:192]
	ds_load_b128 v[113:116], v180 offset:224
	ds_load_b128 v[189:192], v181
	s_wait_dscnt 0x1
	v_add_f64_e32 v[0:1], v[0:1], v[113:114]
	v_add_f64_e32 v[115:116], v[193:194], v[115:116]
	s_wait_dscnt 0x0
	s_delay_alu instid0(VALU_DEP_2) | instskip(NEXT) | instid1(VALU_DEP_2)
	v_add_f64_e32 v[113:114], v[0:1], v[189:190]
	v_add_f64_e32 v[115:116], v[115:116], v[191:192]
	s_wait_alu 0xfffe
	v_add_nc_u32_e32 v1, s30, v149
	s_delay_alu instid0(VALU_DEP_1) | instskip(NEXT) | instid1(VALU_DEP_1)
	v_lshlrev_b64_e32 v[0:1], 4, v[1:2]
	v_add_co_u32 v0, vcc_lo, s66, v0
	s_wait_alu 0xfffd
	s_delay_alu instid0(VALU_DEP_2)
	v_add_co_ci_u32_e64 v1, null, s67, v1, vcc_lo
	global_store_b128 v[0:1], v[113:116], off
	s_branch .LBB126_75
.LBB126_80:                             ;   in Loop: Header=BB126_4 Depth=1
	ds_store_b128 v182, v[5:8]
	s_wait_loadcnt_dscnt 0x0
	s_barrier_signal -1
	s_barrier_wait -1
	global_inv scope:SCOPE_SE
	s_and_saveexec_b32 s19, s70
	s_cbranch_execz .LBB126_2
; %bb.81:                               ;   in Loop: Header=BB126_4 Depth=1
	ds_load_b128 v[3:6], v150 offset:1072
	ds_load_b128 v[7:10], v150
	s_wait_dscnt 0x0
	v_add_f64_e32 v[0:1], v[3:4], v[7:8]
	v_add_f64_e32 v[11:12], v[5:6], v[9:10]
	ds_load_b128 v[3:6], v150 offset:2144
	ds_load_b128 v[7:10], v150 offset:3216
	s_wait_dscnt 0x1
	v_add_f64_e32 v[0:1], v[0:1], v[3:4]
	v_add_f64_e32 v[5:6], v[11:12], v[5:6]
	s_wait_dscnt 0x0
	s_delay_alu instid0(VALU_DEP_2) | instskip(NEXT) | instid1(VALU_DEP_2)
	v_add_f64_e32 v[3:4], v[0:1], v[7:8]
	v_add_f64_e32 v[5:6], v[5:6], v[9:10]
	s_wait_alu 0xfffe
	v_add_co_u32 v0, vcc_lo, s66, v147
	s_wait_alu 0xfffd
	v_add_co_ci_u32_e64 v1, null, s67, v148, vcc_lo
	global_store_b128 v[0:1], v[3:6], off
	s_branch .LBB126_2
.LBB126_82:                             ;   in Loop: Header=BB126_4 Depth=1
	ds_load_b128 v[3:6], v161
	s_wait_dscnt 0x0
	ds_store_b128 v160, v[3:6]
	s_wait_alu 0xfffe
	s_or_b32 exec_lo, exec_lo, s19
	s_and_saveexec_b32 s19, s8
	s_cbranch_execz .LBB126_29
.LBB126_83:                             ;   in Loop: Header=BB126_4 Depth=1
	ds_load_b128 v[3:6], v163
	s_wait_dscnt 0x0
	ds_store_b128 v162, v[3:6]
	s_wait_alu 0xfffe
	s_or_b32 exec_lo, exec_lo, s19
	s_and_saveexec_b32 s19, s9
	s_cbranch_execz .LBB126_30
.LBB126_84:                             ;   in Loop: Header=BB126_4 Depth=1
	ds_load_b128 v[3:6], v165
	s_wait_dscnt 0x0
	ds_store_b128 v164, v[3:6]
	s_wait_alu 0xfffe
	s_or_b32 exec_lo, exec_lo, s19
	s_and_saveexec_b32 s19, s10
	s_cbranch_execnz .LBB126_31
	s_branch .LBB126_32
.LBB126_85:                             ;   in Loop: Header=BB126_4 Depth=1
	ds_load_b128 v[11:14], v161
	s_wait_dscnt 0x0
	ds_store_b128 v171, v[11:14]
	s_wait_alu 0xfffe
	s_or_b32 exec_lo, exec_lo, s19
	s_and_saveexec_b32 s19, s8
	s_cbranch_execz .LBB126_50
.LBB126_86:                             ;   in Loop: Header=BB126_4 Depth=1
	ds_load_b128 v[11:14], v163
	s_wait_dscnt 0x0
	ds_store_b128 v172, v[11:14]
	s_wait_alu 0xfffe
	s_or_b32 exec_lo, exec_lo, s19
	s_and_saveexec_b32 s19, s9
	s_cbranch_execz .LBB126_51
.LBB126_87:                             ;   in Loop: Header=BB126_4 Depth=1
	ds_load_b128 v[11:14], v165
	s_wait_dscnt 0x0
	ds_store_b128 v173, v[11:14]
	s_wait_alu 0xfffe
	s_or_b32 exec_lo, exec_lo, s19
	s_and_saveexec_b32 s19, s10
	s_cbranch_execnz .LBB126_52
	s_branch .LBB126_53
.LBB126_88:                             ;   in Loop: Header=BB126_4 Depth=1
	global_load_b128 v[11:14], v[5:6], off
	s_wait_loadcnt 0x0
	ds_store_2addr_b64 v154, v[11:12], v[13:14] offset1:1
	s_or_b32 exec_lo, exec_lo, s19
	s_and_saveexec_b32 s19, s4
	s_wait_alu 0xfffe
	s_xor_b32 s19, exec_lo, s19
	s_cbranch_execz .LBB126_20
.LBB126_89:                             ;   in Loop: Header=BB126_4 Depth=1
	v_dual_mov_b32 v1, v2 :: v_dual_mov_b32 v4, v2
	v_mov_b32_e32 v3, v2
	ds_store_b128 v157, v[1:4]
	s_wait_alu 0xfffe
	s_and_not1_saveexec_b32 s19, s19
	s_cbranch_execz .LBB126_21
.LBB126_90:                             ;   in Loop: Header=BB126_4 Depth=1
	v_add_co_u32 v0, vcc_lo, v5, s48
	s_wait_alu 0xfffd
	v_add_co_ci_u32_e64 v1, null, s49, v6, vcc_lo
	global_load_b128 v[11:14], v[0:1], off
	s_wait_loadcnt 0x0
	ds_store_2addr_b64 v157, v[11:12], v[13:14] offset1:1
	s_wait_alu 0xfffe
	s_or_b32 exec_lo, exec_lo, s19
	s_and_saveexec_b32 s19, s5
	s_wait_alu 0xfffe
	s_xor_b32 s19, exec_lo, s19
	s_cbranch_execz .LBB126_22
.LBB126_91:                             ;   in Loop: Header=BB126_4 Depth=1
	v_dual_mov_b32 v1, v2 :: v_dual_mov_b32 v4, v2
	v_mov_b32_e32 v3, v2
	ds_store_b128 v158, v[1:4]
	s_wait_alu 0xfffe
	s_and_not1_saveexec_b32 s19, s19
	s_cbranch_execz .LBB126_23
.LBB126_92:                             ;   in Loop: Header=BB126_4 Depth=1
	v_add_co_u32 v0, vcc_lo, v5, s50
	s_wait_alu 0xfffd
	v_add_co_ci_u32_e64 v1, null, s51, v6, vcc_lo
	global_load_b128 v[11:14], v[0:1], off
	s_wait_loadcnt 0x0
	ds_store_2addr_b64 v158, v[11:12], v[13:14] offset1:1
	s_wait_alu 0xfffe
	s_or_b32 exec_lo, exec_lo, s19
	s_and_saveexec_b32 s19, s6
	s_wait_alu 0xfffe
	s_xor_b32 s19, exec_lo, s19
	s_cbranch_execz .LBB126_24
.LBB126_93:                             ;   in Loop: Header=BB126_4 Depth=1
	v_dual_mov_b32 v1, v2 :: v_dual_mov_b32 v4, v2
	v_mov_b32_e32 v3, v2
	ds_store_b128 v159, v[1:4]
	s_wait_alu 0xfffe
	s_and_not1_saveexec_b32 s19, s19
	s_cbranch_execnz .LBB126_25
	s_branch .LBB126_26
.LBB126_94:                             ;   in Loop: Header=BB126_4 Depth=1
	global_load_b128 v[13:16], v[11:12], off
	s_wait_loadcnt 0x0
	ds_store_2addr_b64 v154, v[13:14], v[15:16] offset1:1
	s_or_b32 exec_lo, exec_lo, s19
	s_and_saveexec_b32 s19, s14
	s_wait_alu 0xfffe
	s_xor_b32 s19, exec_lo, s19
	s_cbranch_execz .LBB126_41
.LBB126_95:                             ;   in Loop: Header=BB126_4 Depth=1
	v_dual_mov_b32 v1, v2 :: v_dual_mov_b32 v4, v2
	v_mov_b32_e32 v3, v2
	ds_store_b128 v157, v[1:4]
	s_wait_alu 0xfffe
	s_and_not1_saveexec_b32 s19, s19
	s_cbranch_execz .LBB126_42
.LBB126_96:                             ;   in Loop: Header=BB126_4 Depth=1
	v_add_co_u32 v0, vcc_lo, v11, s48
	s_wait_alu 0xfffd
	v_add_co_ci_u32_e64 v1, null, s49, v12, vcc_lo
	global_load_b128 v[13:16], v[0:1], off
	s_wait_loadcnt 0x0
	ds_store_2addr_b64 v157, v[13:14], v[15:16] offset1:1
	s_wait_alu 0xfffe
	s_or_b32 exec_lo, exec_lo, s19
	s_and_saveexec_b32 s19, s15
	s_wait_alu 0xfffe
	s_xor_b32 s19, exec_lo, s19
	s_cbranch_execz .LBB126_43
.LBB126_97:                             ;   in Loop: Header=BB126_4 Depth=1
	v_dual_mov_b32 v1, v2 :: v_dual_mov_b32 v4, v2
	v_mov_b32_e32 v3, v2
	ds_store_b128 v158, v[1:4]
	s_wait_alu 0xfffe
	s_and_not1_saveexec_b32 s19, s19
	s_cbranch_execz .LBB126_44
.LBB126_98:                             ;   in Loop: Header=BB126_4 Depth=1
	v_add_co_u32 v0, vcc_lo, v11, s50
	s_wait_alu 0xfffd
	v_add_co_ci_u32_e64 v1, null, s51, v12, vcc_lo
	global_load_b128 v[13:16], v[0:1], off
	s_wait_loadcnt 0x0
	ds_store_2addr_b64 v158, v[13:14], v[15:16] offset1:1
	s_wait_alu 0xfffe
	s_or_b32 exec_lo, exec_lo, s19
	s_and_saveexec_b32 s19, s16
	s_wait_alu 0xfffe
	s_xor_b32 s19, exec_lo, s19
	s_cbranch_execz .LBB126_45
.LBB126_99:                             ;   in Loop: Header=BB126_4 Depth=1
	v_dual_mov_b32 v1, v2 :: v_dual_mov_b32 v4, v2
	v_mov_b32_e32 v3, v2
	ds_store_b128 v159, v[1:4]
	s_wait_alu 0xfffe
	s_and_not1_saveexec_b32 s19, s19
	s_cbranch_execnz .LBB126_46
	s_branch .LBB126_47
.LBB126_100:                            ;   in Loop: Header=BB126_4 Depth=1
	global_load_b128 v[11:14], v[9:10], off
	s_wait_loadcnt 0x0
	ds_store_2addr_b64 v154, v[11:12], v[13:14] offset1:1
	s_or_b32 exec_lo, exec_lo, s19
	s_and_saveexec_b32 s19, s4
	s_wait_alu 0xfffe
	s_xor_b32 s19, exec_lo, s19
	s_cbranch_execz .LBB126_62
.LBB126_101:                            ;   in Loop: Header=BB126_4 Depth=1
	v_dual_mov_b32 v1, v2 :: v_dual_mov_b32 v4, v2
	v_mov_b32_e32 v3, v2
	ds_store_b128 v157, v[1:4]
	s_wait_alu 0xfffe
	s_and_not1_saveexec_b32 s19, s19
	s_cbranch_execz .LBB126_63
.LBB126_102:                            ;   in Loop: Header=BB126_4 Depth=1
	v_add_co_u32 v0, vcc_lo, v9, s48
	s_wait_alu 0xfffd
	v_add_co_ci_u32_e64 v1, null, s49, v10, vcc_lo
	global_load_b128 v[11:14], v[0:1], off
	s_wait_loadcnt 0x0
	ds_store_2addr_b64 v157, v[11:12], v[13:14] offset1:1
	s_wait_alu 0xfffe
	s_or_b32 exec_lo, exec_lo, s19
	s_and_saveexec_b32 s19, s5
	s_wait_alu 0xfffe
	s_xor_b32 s19, exec_lo, s19
	s_cbranch_execz .LBB126_64
.LBB126_103:                            ;   in Loop: Header=BB126_4 Depth=1
	v_dual_mov_b32 v1, v2 :: v_dual_mov_b32 v4, v2
	v_mov_b32_e32 v3, v2
	ds_store_b128 v158, v[1:4]
	s_wait_alu 0xfffe
	s_and_not1_saveexec_b32 s19, s19
	s_cbranch_execz .LBB126_65
.LBB126_104:                            ;   in Loop: Header=BB126_4 Depth=1
	v_add_co_u32 v0, vcc_lo, v9, s50
	s_wait_alu 0xfffd
	v_add_co_ci_u32_e64 v1, null, s51, v10, vcc_lo
	global_load_b128 v[11:14], v[0:1], off
	s_wait_loadcnt 0x0
	ds_store_2addr_b64 v158, v[11:12], v[13:14] offset1:1
	s_wait_alu 0xfffe
	s_or_b32 exec_lo, exec_lo, s19
	s_and_saveexec_b32 s19, s6
	s_wait_alu 0xfffe
	s_xor_b32 s19, exec_lo, s19
	s_cbranch_execz .LBB126_66
.LBB126_105:                            ;   in Loop: Header=BB126_4 Depth=1
	v_dual_mov_b32 v1, v2 :: v_dual_mov_b32 v4, v2
	v_mov_b32_e32 v3, v2
	ds_store_b128 v159, v[1:4]
	s_wait_alu 0xfffe
	s_and_not1_saveexec_b32 s19, s19
	s_cbranch_execnz .LBB126_67
	s_branch .LBB126_68
.LBB126_106:
	s_nop 0
	s_sendmsg sendmsg(MSG_DEALLOC_VGPRS)
	s_endpgm
	.section	.rodata,"a",@progbits
	.p2align	6, 0x0
	.amdhsa_kernel _ZL26rocblas_hemvn_kernel_lowerILb0ELi64ELi4ELi33ELi32ELi16ElPK19rocblas_complex_numIdES3_PS1_EviT6_lT7_lT5_lS6_lS7_lS5_lT8_i
		.amdhsa_group_segment_fixed_size 19200
		.amdhsa_private_segment_fixed_size 0
		.amdhsa_kernarg_size 376
		.amdhsa_user_sgpr_count 2
		.amdhsa_user_sgpr_dispatch_ptr 0
		.amdhsa_user_sgpr_queue_ptr 0
		.amdhsa_user_sgpr_kernarg_segment_ptr 1
		.amdhsa_user_sgpr_dispatch_id 0
		.amdhsa_user_sgpr_private_segment_size 0
		.amdhsa_wavefront_size32 1
		.amdhsa_uses_dynamic_stack 0
		.amdhsa_enable_private_segment 0
		.amdhsa_system_sgpr_workgroup_id_x 1
		.amdhsa_system_sgpr_workgroup_id_y 0
		.amdhsa_system_sgpr_workgroup_id_z 1
		.amdhsa_system_sgpr_workgroup_info 0
		.amdhsa_system_vgpr_workitem_id 1
		.amdhsa_next_free_vgpr 217
		.amdhsa_next_free_sgpr 74
		.amdhsa_reserve_vcc 1
		.amdhsa_float_round_mode_32 0
		.amdhsa_float_round_mode_16_64 0
		.amdhsa_float_denorm_mode_32 3
		.amdhsa_float_denorm_mode_16_64 3
		.amdhsa_fp16_overflow 0
		.amdhsa_workgroup_processor_mode 1
		.amdhsa_memory_ordered 1
		.amdhsa_forward_progress 1
		.amdhsa_inst_pref_size 78
		.amdhsa_round_robin_scheduling 0
		.amdhsa_exception_fp_ieee_invalid_op 0
		.amdhsa_exception_fp_denorm_src 0
		.amdhsa_exception_fp_ieee_div_zero 0
		.amdhsa_exception_fp_ieee_overflow 0
		.amdhsa_exception_fp_ieee_underflow 0
		.amdhsa_exception_fp_ieee_inexact 0
		.amdhsa_exception_int_div_zero 0
	.end_amdhsa_kernel
	.section	.text._ZL26rocblas_hemvn_kernel_lowerILb0ELi64ELi4ELi33ELi32ELi16ElPK19rocblas_complex_numIdES3_PS1_EviT6_lT7_lT5_lS6_lS7_lS5_lT8_i,"axG",@progbits,_ZL26rocblas_hemvn_kernel_lowerILb0ELi64ELi4ELi33ELi32ELi16ElPK19rocblas_complex_numIdES3_PS1_EviT6_lT7_lT5_lS6_lS7_lS5_lT8_i,comdat
.Lfunc_end126:
	.size	_ZL26rocblas_hemvn_kernel_lowerILb0ELi64ELi4ELi33ELi32ELi16ElPK19rocblas_complex_numIdES3_PS1_EviT6_lT7_lT5_lS6_lS7_lS5_lT8_i, .Lfunc_end126-_ZL26rocblas_hemvn_kernel_lowerILb0ELi64ELi4ELi33ELi32ELi16ElPK19rocblas_complex_numIdES3_PS1_EviT6_lT7_lT5_lS6_lS7_lS5_lT8_i
                                        ; -- End function
	.set _ZL26rocblas_hemvn_kernel_lowerILb0ELi64ELi4ELi33ELi32ELi16ElPK19rocblas_complex_numIdES3_PS1_EviT6_lT7_lT5_lS6_lS7_lS5_lT8_i.num_vgpr, 217
	.set _ZL26rocblas_hemvn_kernel_lowerILb0ELi64ELi4ELi33ELi32ELi16ElPK19rocblas_complex_numIdES3_PS1_EviT6_lT7_lT5_lS6_lS7_lS5_lT8_i.num_agpr, 0
	.set _ZL26rocblas_hemvn_kernel_lowerILb0ELi64ELi4ELi33ELi32ELi16ElPK19rocblas_complex_numIdES3_PS1_EviT6_lT7_lT5_lS6_lS7_lS5_lT8_i.numbered_sgpr, 74
	.set _ZL26rocblas_hemvn_kernel_lowerILb0ELi64ELi4ELi33ELi32ELi16ElPK19rocblas_complex_numIdES3_PS1_EviT6_lT7_lT5_lS6_lS7_lS5_lT8_i.num_named_barrier, 0
	.set _ZL26rocblas_hemvn_kernel_lowerILb0ELi64ELi4ELi33ELi32ELi16ElPK19rocblas_complex_numIdES3_PS1_EviT6_lT7_lT5_lS6_lS7_lS5_lT8_i.private_seg_size, 0
	.set _ZL26rocblas_hemvn_kernel_lowerILb0ELi64ELi4ELi33ELi32ELi16ElPK19rocblas_complex_numIdES3_PS1_EviT6_lT7_lT5_lS6_lS7_lS5_lT8_i.uses_vcc, 1
	.set _ZL26rocblas_hemvn_kernel_lowerILb0ELi64ELi4ELi33ELi32ELi16ElPK19rocblas_complex_numIdES3_PS1_EviT6_lT7_lT5_lS6_lS7_lS5_lT8_i.uses_flat_scratch, 0
	.set _ZL26rocblas_hemvn_kernel_lowerILb0ELi64ELi4ELi33ELi32ELi16ElPK19rocblas_complex_numIdES3_PS1_EviT6_lT7_lT5_lS6_lS7_lS5_lT8_i.has_dyn_sized_stack, 0
	.set _ZL26rocblas_hemvn_kernel_lowerILb0ELi64ELi4ELi33ELi32ELi16ElPK19rocblas_complex_numIdES3_PS1_EviT6_lT7_lT5_lS6_lS7_lS5_lT8_i.has_recursion, 0
	.set _ZL26rocblas_hemvn_kernel_lowerILb0ELi64ELi4ELi33ELi32ELi16ElPK19rocblas_complex_numIdES3_PS1_EviT6_lT7_lT5_lS6_lS7_lS5_lT8_i.has_indirect_call, 0
	.section	.AMDGPU.csdata,"",@progbits
; Kernel info:
; codeLenInByte = 9868
; TotalNumSgprs: 76
; NumVgprs: 217
; ScratchSize: 0
; MemoryBound: 0
; FloatMode: 240
; IeeeMode: 1
; LDSByteSize: 19200 bytes/workgroup (compile time only)
; SGPRBlocks: 0
; VGPRBlocks: 27
; NumSGPRsForWavesPerEU: 76
; NumVGPRsForWavesPerEU: 217
; Occupancy: 6
; WaveLimiterHint : 0
; COMPUTE_PGM_RSRC2:SCRATCH_EN: 0
; COMPUTE_PGM_RSRC2:USER_SGPR: 2
; COMPUTE_PGM_RSRC2:TRAP_HANDLER: 0
; COMPUTE_PGM_RSRC2:TGID_X_EN: 1
; COMPUTE_PGM_RSRC2:TGID_Y_EN: 0
; COMPUTE_PGM_RSRC2:TGID_Z_EN: 1
; COMPUTE_PGM_RSRC2:TIDIG_COMP_CNT: 1
	.section	.text._ZL26rocblas_hemvn_kernel_lowerILb0ELi64ELi4ELi33ELi32ELi16EiPK19rocblas_complex_numIdES3_PS1_EviT6_lT7_lT5_lS6_lS7_lS5_lT8_i,"axG",@progbits,_ZL26rocblas_hemvn_kernel_lowerILb0ELi64ELi4ELi33ELi32ELi16EiPK19rocblas_complex_numIdES3_PS1_EviT6_lT7_lT5_lS6_lS7_lS5_lT8_i,comdat
	.globl	_ZL26rocblas_hemvn_kernel_lowerILb0ELi64ELi4ELi33ELi32ELi16EiPK19rocblas_complex_numIdES3_PS1_EviT6_lT7_lT5_lS6_lS7_lS5_lT8_i ; -- Begin function _ZL26rocblas_hemvn_kernel_lowerILb0ELi64ELi4ELi33ELi32ELi16EiPK19rocblas_complex_numIdES3_PS1_EviT6_lT7_lT5_lS6_lS7_lS5_lT8_i
	.p2align	8
	.type	_ZL26rocblas_hemvn_kernel_lowerILb0ELi64ELi4ELi33ELi32ELi16EiPK19rocblas_complex_numIdES3_PS1_EviT6_lT7_lT5_lS6_lS7_lS5_lT8_i,@function
_ZL26rocblas_hemvn_kernel_lowerILb0ELi64ELi4ELi33ELi32ELi16EiPK19rocblas_complex_numIdES3_PS1_EviT6_lT7_lT5_lS6_lS7_lS5_lT8_i: ; @_ZL26rocblas_hemvn_kernel_lowerILb0ELi64ELi4ELi33ELi32ELi16EiPK19rocblas_complex_numIdES3_PS1_EviT6_lT7_lT5_lS6_lS7_lS5_lT8_i
; %bb.0:
	s_clause 0x1
	s_load_b64 s[2:3], s[0:1], 0x84
	s_load_b32 s33, s[0:1], 0x70
	s_lshr_b32 s34, ttmp7, 16
	s_wait_kmcnt 0x0
	s_lshr_b32 s4, s2, 16
	s_and_b32 s2, s2, 0xffff
	s_and_b32 s3, s3, 0xffff
	s_mul_i32 s2, s4, s2
	s_delay_alu instid0(SALU_CYCLE_1) | instskip(NEXT) | instid1(SALU_CYCLE_1)
	s_mul_i32 s2, s2, s3
	s_cmp_lg_u32 s2, 0x100
	s_cselect_b32 s2, -1, 0
	s_cmp_ge_u32 s34, s33
	s_cselect_b32 s3, -1, 0
	s_delay_alu instid0(SALU_CYCLE_1) | instskip(NEXT) | instid1(SALU_CYCLE_1)
	s_or_b32 s2, s2, s3
	s_and_b32 vcc_lo, exec_lo, s2
	s_cbranch_vccnz .LBB127_106
; %bb.1:
	s_clause 0x2
	s_load_b32 s2, s[0:1], 0x0
	s_load_b96 s[16:18], s[0:1], 0x40
	s_load_b32 s54, s[0:1], 0x28
	v_and_b32_e32 v150, 0x3ff, v0
	s_lshl_b32 s48, ttmp9, 6
	s_load_b128 s[28:31], s[0:1], 0x30
	s_add_nc_u64 s[4:5], s[0:1], 0x78
	v_bfe_u32 v3, v0, 10, 10
	v_add_nc_u32_e32 v2, s48, v150
	s_load_b256 s[20:27], s[0:1], 0x8
	s_load_b32 s4, s[4:5], 0x0
	s_load_b256 s[36:43], s[0:1], 0x50
	v_and_b32_e32 v4, 31, v0
	v_lshlrev_b32_e32 v13, 6, v3
	s_mov_b32 s35, 0
	s_delay_alu instid0(SALU_CYCLE_1) | instskip(NEXT) | instid1(VALU_DEP_2)
	s_mov_b32 s5, s35
	v_lshlrev_b32_e32 v10, 4, v4
	s_delay_alu instid0(VALU_DEP_2)
	v_add_nc_u32_e32 v14, v13, v150
	v_add_nc_u32_e32 v175, 0x4300, v13
	v_lshlrev_b32_e32 v184, 4, v4
	s_wait_kmcnt 0x0
	s_ashr_i32 s3, s2, 31
	v_mul_lo_u32 v5, s18, v2
	s_lshl_b64 s[0:1], s[16:17], 4
	v_lshrrev_b32_e32 v9, 5, v14
	s_lshr_b32 s8, s3, 26
	s_add_nc_u64 s[0:1], s[30:31], s[0:1]
	s_add_co_i32 s8, s2, s8
	s_ashr_i32 s55, s54, 31
	s_and_not1_b32 s8, s8, 63
	v_ashrrev_i32_e32 v6, 31, v5
	s_add_co_i32 s9, s4, -1
	s_lshl_b64 s[6:7], s[26:27], 4
	s_sub_co_i32 s8, s2, s8
	s_cmp_eq_u32 ttmp9, s9
	v_lshlrev_b64_e32 v[5:6], 4, v[5:6]
	v_lshlrev_b32_e32 v16, 2, v9
	s_cselect_b32 s26, s8, 0
	v_lshl_or_b32 v17, v4, 9, v10
	s_cmp_eq_u32 s26, 0
	v_lshlrev_b32_e32 v18, 6, v9
	v_add_co_u32 v151, vcc_lo, s0, v5
	s_delay_alu instid0(VALU_DEP_1)
	v_add_co_ci_u32_e64 v152, null, s1, v6, vcc_lo
	v_mad_co_u64_u32 v[5:6], null, s54, v9, v[4:5]
	v_or_b32_e32 v19, 1, v16
	s_cselect_b32 s68, -1, 0
	s_cmp_lg_u32 s26, 0
	s_mul_i32 s8, s2, ttmp9
	s_cselect_b32 s1, -1, 0
	s_ashr_i32 s9, s8, 31
	s_delay_alu instid0(VALU_DEP_2)
	v_ashrrev_i32_e32 v6, 31, v5
	s_add_nc_u64 s[6:7], s[24:25], s[6:7]
	s_mul_u64 s[24:25], s[4:5], s[2:3]
	s_lshl_b64 s[2:3], s[8:9], 4
	s_ashr_i32 s49, s48, 31
	v_lshlrev_b64_e32 v[7:8], 4, v[5:6]
	v_mad_u32_u24 v155, 0x210, v9, v10
	v_add_nc_u32_e32 v161, v17, v18
	v_mad_u32_u24 v162, 0x840, v9, v10
	v_or_b32_e32 v17, 2, v16
	v_mad_u32_u24 v163, 0x210, v19, v10
	v_mul_u32_u24_e32 v10, 33, v4
	v_cmp_le_i32_e32 vcc_lo, s26, v150
	s_add_nc_u64 s[30:31], s[42:43], s[2:3]
	s_wait_alu 0xfffe
	s_lshl_b64 s[2:3], s[48:49], 4
	s_mul_i32 s50, s54, s48
	s_add_nc_u64 s[2:3], s[6:7], s[2:3]
	v_cmp_lt_u32_e64 s9, v17, v4
	v_lshlrev_b32_e32 v17, 4, v9
	v_lshlrev_b32_e32 v165, 4, v10
	s_and_b32 s1, s1, vcc_lo
	v_add_co_u32 v1, vcc_lo, s2, v7
	s_ashr_i32 s51, s50, 31
	s_wait_alu 0xfffd
	v_add_co_ci_u32_e64 v7, null, s3, v8, vcc_lo
	s_lshl_b64 s[2:3], s[50:51], 4
	v_add_nc_u32_e32 v11, 8, v9
	v_add_nc_u32_e32 v12, 16, v9
	;; [unrolled: 1-line block ×4, first 2 shown]
	s_wait_alu 0xfffe
	v_add_co_u32 v156, vcc_lo, v1, s2
	s_wait_alu 0xfffd
	v_add_co_ci_u32_e64 v157, null, s3, v7, vcc_lo
	v_sub_co_u32 v7, s3, 0, v4
	s_sub_co_i32 s16, s26, 32
	v_cmp_lt_u32_e64 s7, v16, v4
	v_or_b32_e32 v16, 3, v16
	v_sub_co_ci_u32_e64 v8, null, 0, 0, s3
	v_cmp_le_i32_e64 s3, s26, v9
	v_cmp_le_i32_e64 s6, s26, v15
	;; [unrolled: 1-line block ×6, first 2 shown]
	v_cmp_eq_u32_e64 s17, 1, v9
	v_mul_i32_i24_e32 v15, 0xffffffd0, v9
	v_mad_u32_u24 v173, v9, 48, v168
	v_mul_lo_u32 v9, v3, s54
	v_cmp_lt_u32_e64 s10, v16, v4
	v_lshrrev_b32_e32 v16, 4, v14
	s_mul_i32 s48, s18, s48
	v_mov_b32_e32 v1, 0
	v_lshlrev_b32_e32 v153, 4, v150
	v_or_b32_e32 v10, 32, v4
	v_cmp_lt_u32_e64 s8, v19, v4
	v_lshl_add_u32 v9, v9, 2, v150
	v_add_nc_u32_e32 v167, 0x4700, v18
	v_add_nc_u32_e32 v169, v165, v18
	s_wait_alu 0xfffe
	s_ashr_i32 s49, s48, 31
	v_and_b32_e32 v18, 15, v0
	v_and_b32_e32 v0, 48, v0
	v_lshlrev_b32_e32 v19, 6, v16
	v_cmp_le_i32_e64 s4, s26, v11
	s_wait_alu 0xfffe
	s_sub_nc_u64 s[60:61], 0, s[48:49]
	v_sub_co_u32 v5, vcc_lo, 0, v5
	v_sub_co_u32 v11, s48, 0, v150
	v_cmp_eq_u32_e64 s0, 0, v3
	v_cmp_le_i32_e64 s5, s26, v12
	v_cmp_gt_i32_e64 s12, s26, v10
	s_wait_alu 0xfffd
	v_sub_co_ci_u32_e64 v6, null, 0, v6, vcc_lo
	v_ashrrev_i32_e32 v10, 31, v9
	s_wait_alu 0xf1ff
	v_sub_co_ci_u32_e64 v12, null, 0, 0, s48
	v_mad_u32_u24 v176, 0x10c0, v3, v153
	v_mad_u32_u24 v180, 0x430, v3, v153
	v_ashrrev_i32_e32 v3, 31, v2
	s_lshl_b32 s42, s54, 3
	s_lshl_b32 s44, s54, 4
	s_mul_i32 s46, s54, 24
	s_lshl_b32 s56, s54, 5
	v_lshlrev_b32_e32 v0, 4, v0
	v_or_b32_e32 v13, 0xf0, v153
	v_mad_u32_u24 v177, 0x430, v18, v19
	v_mul_i32_i24_e32 v16, 0xffffffd0, v16
	s_ashr_i32 s43, s42, 31
	s_ashr_i32 s45, s44, 31
	s_ashr_i32 s47, s46, 31
	s_ashr_i32 s27, s26, 31
	s_ashr_i32 s57, s56, 31
	s_xor_b32 s19, s1, -1
	s_cmp_gt_i32 ttmp9, 0
	v_lshlrev_b64_e32 v[140:141], 4, v[7:8]
	v_lshlrev_b64_e32 v[142:143], 4, v[5:6]
	;; [unrolled: 1-line block ×5, first 2 shown]
	v_add_nc_u32_e32 v154, 0x4700, v153
	v_add_nc_u32_e32 v158, 0x1080, v155
	;; [unrolled: 1-line block ×4, first 2 shown]
	v_cmp_gt_i32_e64 s2, s26, v4
	v_add_nc_u32_e32 v164, 0x210, v163
	v_add_nc_u32_e32 v166, 0x420, v163
	v_cmp_gt_u32_e64 s11, 32, v14
	v_add_nc_u32_e32 v170, 16, v169
	v_add_nc_u32_e32 v171, 32, v169
	;; [unrolled: 1-line block ×3, first 2 shown]
	s_cselect_b32 s69, -1, 0
	s_lshl_b32 s70, s18, 6
	v_add_nc_u32_e32 v174, 0x4300, v153
	v_cmp_gt_u32_e64 s18, 64, v14
	v_mad_u32_u24 v178, 0x430, v18, v0
	v_mad_u32_u24 v179, 0x430, v18, v13
	v_add_nc_u32_e32 v181, 0x4700, v17
	v_add_nc_u32_e32 v182, v167, v15
	;; [unrolled: 1-line block ×3, first 2 shown]
	s_sub_nc_u64 s[58:59], 0, s[56:57]
	s_sub_nc_u64 s[62:63], 0, s[50:51]
	s_wait_alu 0xfffe
	s_and_b32 s71, s0, s19
	s_lshl_b64 s[48:49], s[54:55], 7
	s_sub_nc_u64 s[50:51], 0, s[26:27]
	s_lshl_b64 s[52:53], s[54:55], 4
	s_mul_u64 s[54:55], s[54:55], 0xd0
	s_lshl_b64 s[56:57], s[56:57], 4
	s_lshl_b64 s[58:59], s[58:59], 4
	;; [unrolled: 1-line block ×4, first 2 shown]
	s_branch .LBB127_4
.LBB127_2:                              ;   in Loop: Header=BB127_4 Depth=1
	s_wait_alu 0xfffe
	s_or_b32 exec_lo, exec_lo, s19
.LBB127_3:                              ;   in Loop: Header=BB127_4 Depth=1
	s_add_co_i32 s34, s34, 0x10000
	s_delay_alu instid0(SALU_CYCLE_1)
	s_cmp_lt_u32 s34, s33
	s_cbranch_scc0 .LBB127_106
.LBB127_4:                              ; =>This Loop Header: Depth=1
                                        ;     Child Loop BB127_76 Depth 2
	s_mul_u64 s[64:65], s[22:23], s[34:35]
	s_wait_alu 0xfffe
	s_lshl_b64 s[64:65], s[64:65], 4
	s_wait_alu 0xfffe
	s_add_nc_u64 s[64:65], s[20:21], s[64:65]
	global_load_b128 v[2:5], v1, s[64:65]
	s_wait_loadcnt 0x0
	v_cmp_neq_f64_e32 vcc_lo, 0, v[2:3]
	v_cmp_neq_f64_e64 s19, 0, v[4:5]
	s_or_b32 s64, vcc_lo, s19
	s_mov_b32 s19, -1
	s_wait_alu 0xfffe
	s_and_b32 vcc_lo, exec_lo, s64
	s_wait_alu 0xfffe
	s_cbranch_vccnz .LBB127_6
; %bb.5:                                ;   in Loop: Header=BB127_4 Depth=1
	s_mul_u64 s[66:67], s[40:41], s[34:35]
	s_wait_alu 0xfffe
	s_lshl_b64 s[66:67], s[66:67], 4
	s_wait_alu 0xfffe
	s_add_nc_u64 s[66:67], s[38:39], s[66:67]
	global_load_b128 v[2:5], v1, s[66:67]
	s_wait_loadcnt 0x0
	v_cmp_neq_f64_e32 vcc_lo, 1.0, v[2:3]
	v_cmp_neq_f64_e64 s19, 0, v[4:5]
	s_or_b32 s19, vcc_lo, s19
.LBB127_6:                              ;   in Loop: Header=BB127_4 Depth=1
	s_wait_alu 0xfffe
	s_and_not1_b32 vcc_lo, exec_lo, s19
	s_wait_alu 0xfffe
	s_cbranch_vccnz .LBB127_3
; %bb.7:                                ;   in Loop: Header=BB127_4 Depth=1
	s_and_not1_b32 vcc_lo, exec_lo, s64
	s_wait_alu 0xfffe
	s_cbranch_vccnz .LBB127_3
; %bb.8:                                ;   in Loop: Header=BB127_4 Depth=1
	s_mul_u64 s[64:65], s[36:37], s[34:35]
	s_wait_alu 0xfffe
	s_lshl_b64 s[64:65], s[64:65], 4
	s_wait_alu 0xfffe
	v_add_co_u32 v40, vcc_lo, v151, s64
	s_wait_alu 0xfffd
	v_add_co_ci_u32_e64 v41, null, s65, v152, vcc_lo
	s_and_saveexec_b32 s19, s0
	s_cbranch_execz .LBB127_13
; %bb.9:                                ;   in Loop: Header=BB127_4 Depth=1
	s_and_saveexec_b32 s64, s1
	s_wait_alu 0xfffe
	s_xor_b32 s64, exec_lo, s64
; %bb.10:                               ;   in Loop: Header=BB127_4 Depth=1
	v_dual_mov_b32 v0, v1 :: v_dual_mov_b32 v3, v1
	v_mov_b32_e32 v2, v1
	ds_store_b128 v154, v[0:3]
; %bb.11:                               ;   in Loop: Header=BB127_4 Depth=1
	s_wait_alu 0xfffe
	s_and_not1_saveexec_b32 s64, s64
	s_cbranch_execz .LBB127_13
; %bb.12:                               ;   in Loop: Header=BB127_4 Depth=1
	global_load_b128 v[2:5], v[40:41], off
	s_wait_loadcnt 0x0
	ds_store_2addr_b64 v154, v[2:3], v[4:5] offset1:1
.LBB127_13:                             ;   in Loop: Header=BB127_4 Depth=1
	s_wait_alu 0xfffe
	s_or_b32 exec_lo, exec_lo, s19
	s_mul_u64 s[64:65], s[28:29], s[34:35]
	s_mov_b32 s19, -1
	s_wait_alu 0xfffe
	s_lshl_b64 s[64:65], s[64:65], 4
	s_wait_alu 0xfffe
	v_add_co_u32 v8, vcc_lo, v156, s64
	s_wait_alu 0xfffd
	v_add_co_ci_u32_e64 v9, null, s65, v157, vcc_lo
	s_and_not1_b32 vcc_lo, exec_lo, s68
	s_wait_alu 0xfffe
	s_cbranch_vccnz .LBB127_15
; %bb.14:                               ;   in Loop: Header=BB127_4 Depth=1
	s_lshl_b64 s[64:65], s[42:43], 4
	s_mov_b32 s19, 0
	s_wait_alu 0xfffe
	v_add_co_u32 v6, vcc_lo, v8, s64
	s_wait_alu 0xfffd
	v_add_co_ci_u32_e64 v7, null, s65, v9, vcc_lo
	s_delay_alu instid0(VALU_DEP_2) | instskip(SKIP_1) | instid1(VALU_DEP_2)
	v_add_co_u32 v14, vcc_lo, v6, s48
	s_wait_alu 0xfffd
	v_add_co_ci_u32_e64 v15, null, s49, v7, vcc_lo
	s_delay_alu instid0(VALU_DEP_2) | instskip(SKIP_1) | instid1(VALU_DEP_2)
	v_add_co_u32 v18, vcc_lo, v14, s48
	s_wait_alu 0xfffd
	v_add_co_ci_u32_e64 v19, null, s49, v15, vcc_lo
	s_clause 0x3
	global_load_b128 v[2:5], v[8:9], off
	global_load_b128 v[10:13], v[6:7], off
	;; [unrolled: 1-line block ×4, first 2 shown]
	s_wait_loadcnt 0x3
	ds_store_2addr_b64 v155, v[2:3], v[4:5] offset1:1
	s_wait_loadcnt 0x2
	ds_store_2addr_b64 v158, v[10:11], v[12:13] offset1:1
	;; [unrolled: 2-line block ×4, first 2 shown]
.LBB127_15:                             ;   in Loop: Header=BB127_4 Depth=1
	s_and_not1_b32 vcc_lo, exec_lo, s19
	s_wait_alu 0xfffe
	s_cbranch_vccnz .LBB127_27
; %bb.16:                               ;   in Loop: Header=BB127_4 Depth=1
	s_and_saveexec_b32 s19, s3
	s_wait_alu 0xfffe
	s_xor_b32 s19, exec_lo, s19
; %bb.17:                               ;   in Loop: Header=BB127_4 Depth=1
	v_dual_mov_b32 v0, v1 :: v_dual_mov_b32 v3, v1
	v_mov_b32_e32 v2, v1
	ds_store_b128 v155, v[0:3]
; %bb.18:                               ;   in Loop: Header=BB127_4 Depth=1
	s_wait_alu 0xfffe
	s_or_saveexec_b32 s19, s19
	v_add_co_u32 v0, vcc_lo, v8, v140
	s_wait_alu 0xfffd
	v_add_co_ci_u32_e64 v2, null, v9, v141, vcc_lo
	s_lshl_b64 s[64:65], s[26:27], 4
	s_wait_alu 0xfffe
	v_add_co_u32 v0, vcc_lo, v0, s64
	s_wait_alu 0xfffd
	v_add_co_ci_u32_e64 v2, null, s65, v2, vcc_lo
	s_delay_alu instid0(VALU_DEP_2) | instskip(SKIP_1) | instid1(VALU_DEP_2)
	v_add_co_u32 v0, vcc_lo, v0, -16
	s_wait_alu 0xfffd
	v_add_co_ci_u32_e64 v2, null, -1, v2, vcc_lo
	s_delay_alu instid0(VALU_DEP_2) | instskip(NEXT) | instid1(VALU_DEP_2)
	v_cndmask_b32_e64 v4, v0, v8, s2
	v_cndmask_b32_e64 v5, v2, v9, s2
	s_xor_b32 exec_lo, exec_lo, s19
	s_cbranch_execnz .LBB127_88
; %bb.19:                               ;   in Loop: Header=BB127_4 Depth=1
	s_or_b32 exec_lo, exec_lo, s19
	s_and_saveexec_b32 s19, s4
	s_wait_alu 0xfffe
	s_xor_b32 s19, exec_lo, s19
	s_cbranch_execnz .LBB127_89
.LBB127_20:                             ;   in Loop: Header=BB127_4 Depth=1
	s_wait_alu 0xfffe
	s_and_not1_saveexec_b32 s19, s19
	s_cbranch_execnz .LBB127_90
.LBB127_21:                             ;   in Loop: Header=BB127_4 Depth=1
	s_wait_alu 0xfffe
	s_or_b32 exec_lo, exec_lo, s19
	s_and_saveexec_b32 s19, s5
	s_wait_alu 0xfffe
	s_xor_b32 s19, exec_lo, s19
	s_cbranch_execnz .LBB127_91
.LBB127_22:                             ;   in Loop: Header=BB127_4 Depth=1
	s_wait_alu 0xfffe
	s_and_not1_saveexec_b32 s19, s19
	s_cbranch_execnz .LBB127_92
.LBB127_23:                             ;   in Loop: Header=BB127_4 Depth=1
	s_wait_alu 0xfffe
	s_or_b32 exec_lo, exec_lo, s19
	s_and_saveexec_b32 s19, s6
	s_wait_alu 0xfffe
	s_xor_b32 s19, exec_lo, s19
	s_cbranch_execnz .LBB127_93
.LBB127_24:                             ;   in Loop: Header=BB127_4 Depth=1
	s_wait_alu 0xfffe
	s_and_not1_saveexec_b32 s19, s19
	s_cbranch_execz .LBB127_26
.LBB127_25:                             ;   in Loop: Header=BB127_4 Depth=1
	s_lshl_b64 s[64:65], s[46:47], 4
	s_wait_alu 0xfffe
	v_add_co_u32 v2, vcc_lo, v4, s64
	s_wait_alu 0xfffd
	v_add_co_ci_u32_e64 v3, null, s65, v5, vcc_lo
	global_load_b128 v[10:13], v[2:3], off
	s_wait_loadcnt 0x0
	ds_store_2addr_b64 v160, v[10:11], v[12:13] offset1:1
.LBB127_26:                             ;   in Loop: Header=BB127_4 Depth=1
	s_wait_alu 0xfffe
	s_or_b32 exec_lo, exec_lo, s19
	v_add_co_u32 v0, vcc_lo, v4, v184
	s_wait_alu 0xfffd
	v_add_co_ci_u32_e64 v2, null, 0, v5, vcc_lo
	s_lshl_b64 s[64:65], s[50:51], 4
	s_wait_alu 0xfffe
	v_add_co_u32 v0, vcc_lo, v0, s64
	s_wait_alu 0xfffd
	v_add_co_ci_u32_e64 v2, null, s65, v2, vcc_lo
	s_delay_alu instid0(VALU_DEP_2) | instskip(SKIP_1) | instid1(VALU_DEP_2)
	v_add_co_u32 v0, vcc_lo, v0, 16
	s_wait_alu 0xfffd
	v_add_co_ci_u32_e64 v2, null, 0, v2, vcc_lo
	s_delay_alu instid0(VALU_DEP_2) | instskip(NEXT) | instid1(VALU_DEP_2)
	v_cndmask_b32_e64 v8, v0, v8, s2
	v_cndmask_b32_e64 v9, v2, v9, s2
.LBB127_27:                             ;   in Loop: Header=BB127_4 Depth=1
	s_wait_dscnt 0x0
	s_barrier_signal -1
	s_barrier_wait -1
	global_inv scope:SCOPE_SE
	s_and_saveexec_b32 s19, s7
	s_cbranch_execnz .LBB127_82
; %bb.28:                               ;   in Loop: Header=BB127_4 Depth=1
	s_wait_alu 0xfffe
	s_or_b32 exec_lo, exec_lo, s19
	s_and_saveexec_b32 s19, s8
	s_cbranch_execnz .LBB127_83
.LBB127_29:                             ;   in Loop: Header=BB127_4 Depth=1
	s_wait_alu 0xfffe
	s_or_b32 exec_lo, exec_lo, s19
	s_and_saveexec_b32 s19, s9
	s_cbranch_execnz .LBB127_84
.LBB127_30:                             ;   in Loop: Header=BB127_4 Depth=1
	s_wait_alu 0xfffe
	s_or_b32 exec_lo, exec_lo, s19
	s_and_saveexec_b32 s19, s10
	s_cbranch_execz .LBB127_32
.LBB127_31:                             ;   in Loop: Header=BB127_4 Depth=1
	ds_load_b128 v[2:5], v166
	v_add_nc_u32_e32 v0, 48, v161
	s_wait_dscnt 0x0
	ds_store_b128 v0, v[2:5]
.LBB127_32:                             ;   in Loop: Header=BB127_4 Depth=1
	s_wait_alu 0xfffe
	s_or_b32 exec_lo, exec_lo, s19
	s_wait_loadcnt_dscnt 0x0
	s_barrier_signal -1
	s_barrier_wait -1
	global_inv scope:SCOPE_SE
	ds_load_b128 v[2:5], v162
	ds_load_b128 v[10:13], v167
	ds_load_b128 v[14:17], v167 offset:16
	ds_load_b128 v[18:21], v163
	s_wait_dscnt 0x2
	v_mul_f64_e32 v[6:7], v[12:13], v[4:5]
	v_mul_f64_e32 v[4:5], v[10:11], v[4:5]
	s_wait_dscnt 0x0
	v_mul_f64_e32 v[28:29], v[16:17], v[20:21]
	v_mul_f64_e32 v[30:31], v[14:15], v[20:21]
	s_delay_alu instid0(VALU_DEP_4) | instskip(NEXT) | instid1(VALU_DEP_4)
	v_fma_f64 v[6:7], v[10:11], v[2:3], -v[6:7]
	v_fma_f64 v[32:33], v[12:13], v[2:3], v[4:5]
	ds_load_b128 v[2:5], v164
	ds_load_b128 v[10:13], v167 offset:32
	ds_load_b128 v[20:23], v167 offset:48
	ds_load_b128 v[24:27], v166
	v_fma_f64 v[14:15], v[14:15], v[18:19], -v[28:29]
	v_fma_f64 v[16:17], v[16:17], v[18:19], v[30:31]
	s_wait_loadcnt_dscnt 0x0
	s_barrier_signal -1
	s_barrier_wait -1
	global_inv scope:SCOPE_SE
	v_mul_f64_e32 v[34:35], v[12:13], v[4:5]
	v_mul_f64_e32 v[4:5], v[10:11], v[4:5]
	;; [unrolled: 1-line block ×4, first 2 shown]
	v_add_f64_e32 v[6:7], 0, v[6:7]
	v_add_f64_e32 v[18:19], 0, v[32:33]
	v_fma_f64 v[10:11], v[10:11], v[2:3], -v[34:35]
	v_fma_f64 v[2:3], v[12:13], v[2:3], v[4:5]
	v_fma_f64 v[12:13], v[20:21], v[24:25], -v[28:29]
	v_add_f64_e32 v[4:5], v[6:7], v[14:15]
	v_add_f64_e32 v[6:7], v[18:19], v[16:17]
	v_fma_f64 v[14:15], v[22:23], v[24:25], v[26:27]
	s_delay_alu instid0(VALU_DEP_3) | instskip(NEXT) | instid1(VALU_DEP_3)
	v_add_f64_e32 v[4:5], v[4:5], v[10:11]
	v_add_f64_e32 v[2:3], v[6:7], v[2:3]
	v_mov_b32_e32 v6, 0
	v_mov_b32_e32 v7, 0
	s_delay_alu instid0(VALU_DEP_4) | instskip(NEXT) | instid1(VALU_DEP_4)
	v_add_f64_e32 v[10:11], v[4:5], v[12:13]
	v_add_f64_e32 v[12:13], v[2:3], v[14:15]
	v_mov_b32_e32 v4, 0
	v_mov_b32_e32 v5, 0
	ds_store_b128 v168, v[10:13]
	s_wait_loadcnt_dscnt 0x0
	s_barrier_signal -1
	s_barrier_wait -1
	global_inv scope:SCOPE_SE
	s_and_saveexec_b32 s19, s11
	s_cbranch_execz .LBB127_34
; %bb.33:                               ;   in Loop: Header=BB127_4 Depth=1
	ds_load_b128 v[2:5], v165
	ds_load_b128 v[10:13], v165 offset:16
	s_wait_dscnt 0x0
	v_add_f64_e32 v[6:7], v[10:11], v[2:3]
	v_add_f64_e32 v[14:15], v[12:13], v[4:5]
	ds_load_b128 v[2:5], v165 offset:32
	ds_load_b128 v[10:13], v165 offset:48
	s_wait_dscnt 0x1
	v_add_f64_e32 v[2:3], v[6:7], v[2:3]
	v_add_f64_e32 v[4:5], v[14:15], v[4:5]
	s_wait_dscnt 0x0
	s_delay_alu instid0(VALU_DEP_2) | instskip(NEXT) | instid1(VALU_DEP_2)
	v_add_f64_e32 v[6:7], v[2:3], v[10:11]
	v_add_f64_e32 v[14:15], v[4:5], v[12:13]
	ds_load_b128 v[2:5], v165 offset:64
	ds_load_b128 v[10:13], v165 offset:80
	s_wait_dscnt 0x1
	v_add_f64_e32 v[2:3], v[6:7], v[2:3]
	v_add_f64_e32 v[4:5], v[14:15], v[4:5]
	s_wait_dscnt 0x0
	s_delay_alu instid0(VALU_DEP_2) | instskip(NEXT) | instid1(VALU_DEP_2)
	;; [unrolled: 9-line block ×3, first 2 shown]
	v_add_f64_e32 v[4:5], v[2:3], v[10:11]
	v_add_f64_e32 v[6:7], v[6:7], v[12:13]
.LBB127_34:                             ;   in Loop: Header=BB127_4 Depth=1
	s_wait_alu 0xfffe
	s_or_b32 exec_lo, exec_lo, s19
	v_add_co_u32 v10, vcc_lo, v8, s56
	s_wait_alu 0xfffd
	v_add_co_ci_u32_e64 v11, null, s57, v9, vcc_lo
	s_mov_b32 s19, -1
	v_add_co_u32 v8, vcc_lo, 0x200, v10
	s_wait_alu 0xfffd
	v_add_co_ci_u32_e64 v9, null, 0, v11, vcc_lo
	s_and_not1_b32 vcc_lo, exec_lo, s68
	s_wait_loadcnt 0x0
	s_barrier_signal -1
	s_barrier_wait -1
	global_inv scope:SCOPE_SE
	s_wait_alu 0xfffe
	s_cbranch_vccnz .LBB127_36
; %bb.35:                               ;   in Loop: Header=BB127_4 Depth=1
	s_lshl_b64 s[64:65], s[42:43], 4
	s_mov_b32 s19, 0
	s_wait_alu 0xfffe
	v_add_co_u32 v2, vcc_lo, v10, s64
	s_wait_alu 0xfffd
	v_add_co_ci_u32_e64 v3, null, s65, v11, vcc_lo
	s_delay_alu instid0(VALU_DEP_2) | instskip(SKIP_1) | instid1(VALU_DEP_2)
	v_add_co_u32 v20, vcc_lo, v2, s48
	s_wait_alu 0xfffd
	v_add_co_ci_u32_e64 v21, null, s49, v3, vcc_lo
	s_delay_alu instid0(VALU_DEP_2) | instskip(SKIP_1) | instid1(VALU_DEP_2)
	v_add_co_u32 v24, vcc_lo, v20, s48
	s_wait_alu 0xfffd
	v_add_co_ci_u32_e64 v25, null, s49, v21, vcc_lo
	s_clause 0x3
	global_load_b128 v[12:15], v[8:9], off
	global_load_b128 v[16:19], v[2:3], off offset:512
	global_load_b128 v[20:23], v[20:21], off offset:512
	;; [unrolled: 1-line block ×3, first 2 shown]
	s_wait_loadcnt 0x3
	ds_store_2addr_b64 v155, v[12:13], v[14:15] offset1:1
	s_wait_loadcnt 0x2
	ds_store_2addr_b64 v158, v[16:17], v[18:19] offset1:1
	;; [unrolled: 2-line block ×4, first 2 shown]
.LBB127_36:                             ;   in Loop: Header=BB127_4 Depth=1
	s_and_not1_b32 vcc_lo, exec_lo, s19
	s_wait_alu 0xfffe
	s_cbranch_vccnz .LBB127_48
; %bb.37:                               ;   in Loop: Header=BB127_4 Depth=1
	s_and_saveexec_b32 s19, s13
	s_wait_alu 0xfffe
	s_xor_b32 s19, exec_lo, s19
; %bb.38:                               ;   in Loop: Header=BB127_4 Depth=1
	v_dual_mov_b32 v0, v1 :: v_dual_mov_b32 v3, v1
	v_mov_b32_e32 v2, v1
	ds_store_b128 v155, v[0:3]
; %bb.39:                               ;   in Loop: Header=BB127_4 Depth=1
	s_wait_alu 0xfffe
	s_or_saveexec_b32 s19, s19
	v_add_co_u32 v0, vcc_lo, v10, v140
	s_wait_alu 0xfffd
	v_add_co_ci_u32_e64 v2, null, v11, v141, vcc_lo
	s_lshl_b64 s[64:65], s[26:27], 4
	s_wait_alu 0xfffe
	v_add_co_u32 v0, vcc_lo, v0, s64
	s_wait_alu 0xfffd
	v_add_co_ci_u32_e64 v2, null, s65, v2, vcc_lo
	s_delay_alu instid0(VALU_DEP_2) | instskip(SKIP_1) | instid1(VALU_DEP_2)
	v_add_co_u32 v0, vcc_lo, v0, -16
	s_wait_alu 0xfffd
	v_add_co_ci_u32_e64 v2, null, -1, v2, vcc_lo
	s_delay_alu instid0(VALU_DEP_2) | instskip(NEXT) | instid1(VALU_DEP_2)
	v_cndmask_b32_e64 v10, v0, v8, s12
	v_cndmask_b32_e64 v11, v2, v9, s12
	s_xor_b32 exec_lo, exec_lo, s19
	s_cbranch_execnz .LBB127_94
; %bb.40:                               ;   in Loop: Header=BB127_4 Depth=1
	s_or_b32 exec_lo, exec_lo, s19
	s_and_saveexec_b32 s19, s14
	s_wait_alu 0xfffe
	s_xor_b32 s19, exec_lo, s19
	s_cbranch_execnz .LBB127_95
.LBB127_41:                             ;   in Loop: Header=BB127_4 Depth=1
	s_wait_alu 0xfffe
	s_and_not1_saveexec_b32 s19, s19
	s_cbranch_execnz .LBB127_96
.LBB127_42:                             ;   in Loop: Header=BB127_4 Depth=1
	s_wait_alu 0xfffe
	s_or_b32 exec_lo, exec_lo, s19
	s_and_saveexec_b32 s19, s15
	s_wait_alu 0xfffe
	s_xor_b32 s19, exec_lo, s19
	s_cbranch_execnz .LBB127_97
.LBB127_43:                             ;   in Loop: Header=BB127_4 Depth=1
	s_wait_alu 0xfffe
	s_and_not1_saveexec_b32 s19, s19
	s_cbranch_execnz .LBB127_98
.LBB127_44:                             ;   in Loop: Header=BB127_4 Depth=1
	s_wait_alu 0xfffe
	s_or_b32 exec_lo, exec_lo, s19
	s_and_saveexec_b32 s19, s16
	s_wait_alu 0xfffe
	s_xor_b32 s19, exec_lo, s19
	s_cbranch_execnz .LBB127_99
.LBB127_45:                             ;   in Loop: Header=BB127_4 Depth=1
	s_wait_alu 0xfffe
	s_and_not1_saveexec_b32 s19, s19
	s_cbranch_execz .LBB127_47
.LBB127_46:                             ;   in Loop: Header=BB127_4 Depth=1
	s_lshl_b64 s[64:65], s[46:47], 4
	s_wait_alu 0xfffe
	v_add_co_u32 v2, vcc_lo, v10, s64
	s_wait_alu 0xfffd
	v_add_co_ci_u32_e64 v3, null, s65, v11, vcc_lo
	global_load_b128 v[12:15], v[2:3], off
	s_wait_loadcnt 0x0
	ds_store_2addr_b64 v160, v[12:13], v[14:15] offset1:1
.LBB127_47:                             ;   in Loop: Header=BB127_4 Depth=1
	s_wait_alu 0xfffe
	s_or_b32 exec_lo, exec_lo, s19
	v_add_co_u32 v0, vcc_lo, v10, v184
	s_wait_alu 0xfffd
	v_add_co_ci_u32_e64 v2, null, 0, v11, vcc_lo
	s_lshl_b64 s[64:65], s[50:51], 4
	s_wait_alu 0xfffe
	v_add_co_u32 v0, vcc_lo, v0, s64
	s_wait_alu 0xfffd
	v_add_co_ci_u32_e64 v2, null, s65, v2, vcc_lo
	s_delay_alu instid0(VALU_DEP_2) | instskip(SKIP_1) | instid1(VALU_DEP_2)
	v_add_co_u32 v0, vcc_lo, 0x210, v0
	s_wait_alu 0xfffd
	v_add_co_ci_u32_e64 v2, null, 0, v2, vcc_lo
	s_delay_alu instid0(VALU_DEP_2) | instskip(NEXT) | instid1(VALU_DEP_2)
	v_cndmask_b32_e64 v8, v0, v8, s12
	v_cndmask_b32_e64 v9, v2, v9, s12
.LBB127_48:                             ;   in Loop: Header=BB127_4 Depth=1
	s_wait_loadcnt_dscnt 0x0
	s_barrier_signal -1
	s_barrier_wait -1
	global_inv scope:SCOPE_SE
	s_and_saveexec_b32 s19, s7
	s_cbranch_execnz .LBB127_85
; %bb.49:                               ;   in Loop: Header=BB127_4 Depth=1
	s_wait_alu 0xfffe
	s_or_b32 exec_lo, exec_lo, s19
	s_and_saveexec_b32 s19, s8
	s_cbranch_execnz .LBB127_86
.LBB127_50:                             ;   in Loop: Header=BB127_4 Depth=1
	s_wait_alu 0xfffe
	s_or_b32 exec_lo, exec_lo, s19
	s_and_saveexec_b32 s19, s9
	s_cbranch_execnz .LBB127_87
.LBB127_51:                             ;   in Loop: Header=BB127_4 Depth=1
	s_wait_alu 0xfffe
	s_or_b32 exec_lo, exec_lo, s19
	s_and_saveexec_b32 s19, s10
	s_cbranch_execz .LBB127_53
.LBB127_52:                             ;   in Loop: Header=BB127_4 Depth=1
	ds_load_b128 v[10:13], v166
	s_wait_dscnt 0x0
	ds_store_b128 v172, v[10:13]
.LBB127_53:                             ;   in Loop: Header=BB127_4 Depth=1
	s_wait_alu 0xfffe
	s_or_b32 exec_lo, exec_lo, s19
	s_wait_loadcnt_dscnt 0x0
	s_barrier_signal -1
	s_barrier_wait -1
	global_inv scope:SCOPE_SE
	ds_load_b128 v[10:13], v162
	ds_load_b128 v[14:17], v167 offset:512
	ds_load_b128 v[18:21], v167 offset:528
	ds_load_b128 v[22:25], v163
	s_wait_dscnt 0x2
	v_mul_f64_e32 v[2:3], v[16:17], v[12:13]
	v_mul_f64_e32 v[12:13], v[14:15], v[12:13]
	s_wait_dscnt 0x0
	v_mul_f64_e32 v[32:33], v[20:21], v[24:25]
	v_mul_f64_e32 v[34:35], v[18:19], v[24:25]
	s_delay_alu instid0(VALU_DEP_4) | instskip(NEXT) | instid1(VALU_DEP_4)
	v_fma_f64 v[2:3], v[14:15], v[10:11], -v[2:3]
	v_fma_f64 v[36:37], v[16:17], v[10:11], v[12:13]
	ds_load_b128 v[10:13], v164
	ds_load_b128 v[14:17], v167 offset:544
	ds_load_b128 v[24:27], v167 offset:560
	ds_load_b128 v[28:31], v166
	v_fma_f64 v[18:19], v[18:19], v[22:23], -v[32:33]
	v_fma_f64 v[20:21], v[20:21], v[22:23], v[34:35]
	s_wait_loadcnt_dscnt 0x0
	s_barrier_signal -1
	s_barrier_wait -1
	global_inv scope:SCOPE_SE
	v_mul_f64_e32 v[38:39], v[16:17], v[12:13]
	v_mul_f64_e32 v[12:13], v[14:15], v[12:13]
	;; [unrolled: 1-line block ×4, first 2 shown]
	v_add_f64_e32 v[2:3], 0, v[2:3]
	v_add_f64_e32 v[22:23], 0, v[36:37]
	v_fma_f64 v[14:15], v[14:15], v[10:11], -v[38:39]
	v_fma_f64 v[10:11], v[16:17], v[10:11], v[12:13]
	v_fma_f64 v[16:17], v[24:25], v[28:29], -v[32:33]
	v_add_f64_e32 v[2:3], v[2:3], v[18:19]
	v_add_f64_e32 v[12:13], v[22:23], v[20:21]
	v_fma_f64 v[18:19], v[26:27], v[28:29], v[30:31]
	s_delay_alu instid0(VALU_DEP_3) | instskip(NEXT) | instid1(VALU_DEP_3)
	v_add_f64_e32 v[2:3], v[2:3], v[14:15]
	v_add_f64_e32 v[12:13], v[12:13], v[10:11]
	s_delay_alu instid0(VALU_DEP_2) | instskip(NEXT) | instid1(VALU_DEP_2)
	v_add_f64_e32 v[10:11], v[2:3], v[16:17]
	v_add_f64_e32 v[12:13], v[12:13], v[18:19]
	ds_store_b128 v168, v[10:13]
	s_wait_loadcnt_dscnt 0x0
	s_barrier_signal -1
	s_barrier_wait -1
	global_inv scope:SCOPE_SE
	s_and_saveexec_b32 s19, s17
	s_cbranch_execz .LBB127_55
; %bb.54:                               ;   in Loop: Header=BB127_4 Depth=1
	ds_load_b128 v[2:5], v165
	ds_load_b128 v[10:13], v165 offset:16
	s_wait_dscnt 0x0
	v_add_f64_e32 v[6:7], v[10:11], v[2:3]
	v_add_f64_e32 v[14:15], v[12:13], v[4:5]
	ds_load_b128 v[2:5], v165 offset:32
	ds_load_b128 v[10:13], v165 offset:48
	s_wait_dscnt 0x1
	v_add_f64_e32 v[2:3], v[6:7], v[2:3]
	v_add_f64_e32 v[4:5], v[14:15], v[4:5]
	s_wait_dscnt 0x0
	s_delay_alu instid0(VALU_DEP_2) | instskip(NEXT) | instid1(VALU_DEP_2)
	v_add_f64_e32 v[6:7], v[2:3], v[10:11]
	v_add_f64_e32 v[14:15], v[4:5], v[12:13]
	ds_load_b128 v[2:5], v165 offset:64
	ds_load_b128 v[10:13], v165 offset:80
	s_wait_dscnt 0x1
	v_add_f64_e32 v[2:3], v[6:7], v[2:3]
	v_add_f64_e32 v[4:5], v[14:15], v[4:5]
	s_wait_dscnt 0x0
	s_delay_alu instid0(VALU_DEP_2) | instskip(NEXT) | instid1(VALU_DEP_2)
	;; [unrolled: 9-line block ×3, first 2 shown]
	v_add_f64_e32 v[4:5], v[2:3], v[10:11]
	v_add_f64_e32 v[6:7], v[6:7], v[12:13]
.LBB127_55:                             ;   in Loop: Header=BB127_4 Depth=1
	s_wait_alu 0xfffe
	s_or_b32 exec_lo, exec_lo, s19
	v_add_co_u32 v42, vcc_lo, v8, s58
	s_wait_alu 0xfffd
	v_add_co_ci_u32_e64 v43, null, s59, v9, vcc_lo
	s_and_not1_b32 vcc_lo, exec_lo, s68
	s_mov_b32 s19, -1
	s_wait_loadcnt 0x0
	s_barrier_signal -1
	s_barrier_wait -1
	global_inv scope:SCOPE_SE
	s_wait_alu 0xfffe
	s_cbranch_vccnz .LBB127_57
; %bb.56:                               ;   in Loop: Header=BB127_4 Depth=1
	s_lshl_b64 s[64:65], s[42:43], 4
	s_mov_b32 s19, 0
	s_wait_alu 0xfffe
	v_add_co_u32 v2, vcc_lo, v42, s64
	s_wait_alu 0xfffd
	v_add_co_ci_u32_e64 v3, null, s65, v43, vcc_lo
	s_delay_alu instid0(VALU_DEP_2) | instskip(SKIP_1) | instid1(VALU_DEP_2)
	v_add_co_u32 v16, vcc_lo, v2, s48
	s_wait_alu 0xfffd
	v_add_co_ci_u32_e64 v17, null, s49, v3, vcc_lo
	s_delay_alu instid0(VALU_DEP_2) | instskip(SKIP_1) | instid1(VALU_DEP_2)
	v_add_co_u32 v20, vcc_lo, v16, s48
	s_wait_alu 0xfffd
	v_add_co_ci_u32_e64 v21, null, s49, v17, vcc_lo
	s_clause 0x3
	global_load_b128 v[8:11], v[42:43], off
	global_load_b128 v[12:15], v[2:3], off
	;; [unrolled: 1-line block ×4, first 2 shown]
	s_wait_loadcnt 0x3
	ds_store_2addr_b64 v155, v[8:9], v[10:11] offset1:1
	s_wait_loadcnt 0x2
	ds_store_2addr_b64 v158, v[12:13], v[14:15] offset1:1
	;; [unrolled: 2-line block ×4, first 2 shown]
.LBB127_57:                             ;   in Loop: Header=BB127_4 Depth=1
	s_and_not1_b32 vcc_lo, exec_lo, s19
	s_wait_alu 0xfffe
	s_cbranch_vccnz .LBB127_69
; %bb.58:                               ;   in Loop: Header=BB127_4 Depth=1
	s_and_saveexec_b32 s19, s3
	s_wait_alu 0xfffe
	s_xor_b32 s19, exec_lo, s19
; %bb.59:                               ;   in Loop: Header=BB127_4 Depth=1
	v_dual_mov_b32 v0, v1 :: v_dual_mov_b32 v3, v1
	v_mov_b32_e32 v2, v1
	ds_store_b128 v155, v[0:3]
; %bb.60:                               ;   in Loop: Header=BB127_4 Depth=1
	s_wait_alu 0xfffe
	s_or_saveexec_b32 s19, s19
	v_add_co_u32 v0, vcc_lo, v42, v140
	s_wait_alu 0xfffd
	v_add_co_ci_u32_e64 v2, null, v43, v141, vcc_lo
	s_lshl_b64 s[64:65], s[26:27], 4
	s_wait_alu 0xfffe
	v_add_co_u32 v0, vcc_lo, v0, s64
	s_wait_alu 0xfffd
	v_add_co_ci_u32_e64 v2, null, s65, v2, vcc_lo
	s_delay_alu instid0(VALU_DEP_2) | instskip(SKIP_1) | instid1(VALU_DEP_2)
	v_add_co_u32 v0, vcc_lo, 0xfffffdf0, v0
	s_wait_alu 0xfffd
	v_add_co_ci_u32_e64 v2, null, -1, v2, vcc_lo
	s_delay_alu instid0(VALU_DEP_2) | instskip(NEXT) | instid1(VALU_DEP_2)
	v_cndmask_b32_e64 v8, v0, v42, s12
	v_cndmask_b32_e64 v9, v2, v43, s12
	s_xor_b32 exec_lo, exec_lo, s19
	s_cbranch_execnz .LBB127_100
; %bb.61:                               ;   in Loop: Header=BB127_4 Depth=1
	s_or_b32 exec_lo, exec_lo, s19
	s_and_saveexec_b32 s19, s4
	s_wait_alu 0xfffe
	s_xor_b32 s19, exec_lo, s19
	s_cbranch_execnz .LBB127_101
.LBB127_62:                             ;   in Loop: Header=BB127_4 Depth=1
	s_wait_alu 0xfffe
	s_and_not1_saveexec_b32 s19, s19
	s_cbranch_execnz .LBB127_102
.LBB127_63:                             ;   in Loop: Header=BB127_4 Depth=1
	s_wait_alu 0xfffe
	s_or_b32 exec_lo, exec_lo, s19
	s_and_saveexec_b32 s19, s5
	s_wait_alu 0xfffe
	s_xor_b32 s19, exec_lo, s19
	s_cbranch_execnz .LBB127_103
.LBB127_64:                             ;   in Loop: Header=BB127_4 Depth=1
	s_wait_alu 0xfffe
	s_and_not1_saveexec_b32 s19, s19
	s_cbranch_execnz .LBB127_104
.LBB127_65:                             ;   in Loop: Header=BB127_4 Depth=1
	s_wait_alu 0xfffe
	s_or_b32 exec_lo, exec_lo, s19
	s_and_saveexec_b32 s19, s6
	s_wait_alu 0xfffe
	s_xor_b32 s19, exec_lo, s19
	s_cbranch_execnz .LBB127_105
.LBB127_66:                             ;   in Loop: Header=BB127_4 Depth=1
	s_wait_alu 0xfffe
	s_and_not1_saveexec_b32 s19, s19
	s_cbranch_execz .LBB127_68
.LBB127_67:                             ;   in Loop: Header=BB127_4 Depth=1
	s_lshl_b64 s[64:65], s[46:47], 4
	s_wait_alu 0xfffe
	v_add_co_u32 v2, vcc_lo, v8, s64
	s_wait_alu 0xfffd
	v_add_co_ci_u32_e64 v3, null, s65, v9, vcc_lo
	global_load_b128 v[10:13], v[2:3], off
	s_wait_loadcnt 0x0
	ds_store_2addr_b64 v160, v[10:11], v[12:13] offset1:1
.LBB127_68:                             ;   in Loop: Header=BB127_4 Depth=1
	s_wait_alu 0xfffe
	s_or_b32 exec_lo, exec_lo, s19
	v_add_co_u32 v0, vcc_lo, v8, v184
	s_wait_alu 0xfffd
	v_add_co_ci_u32_e64 v2, null, 0, v9, vcc_lo
	s_lshl_b64 s[64:65], s[50:51], 4
	s_wait_alu 0xfffe
	v_add_co_u32 v0, vcc_lo, v0, s64
	s_wait_alu 0xfffd
	v_add_co_ci_u32_e64 v2, null, s65, v2, vcc_lo
	s_delay_alu instid0(VALU_DEP_2) | instskip(SKIP_1) | instid1(VALU_DEP_2)
	v_add_co_u32 v0, vcc_lo, 0x210, v0
	s_wait_alu 0xfffd
	v_add_co_ci_u32_e64 v2, null, 0, v2, vcc_lo
	s_delay_alu instid0(VALU_DEP_2) | instskip(NEXT) | instid1(VALU_DEP_2)
	v_cndmask_b32_e64 v42, v0, v42, s12
	v_cndmask_b32_e64 v43, v2, v43, s12
.LBB127_69:                             ;   in Loop: Header=BB127_4 Depth=1
	s_wait_loadcnt_dscnt 0x0
	s_barrier_signal -1
	s_barrier_wait -1
	global_inv scope:SCOPE_SE
	ds_load_b128 v[8:11], v182
	ds_load_b128 v[12:15], v155
	;; [unrolled: 1-line block ×3, first 2 shown]
	ds_load_b128 v[20:23], v181 offset:384
	ds_load_b128 v[24:27], v181 offset:128
	;; [unrolled: 1-line block ×3, first 2 shown]
	s_wait_dscnt 0x4
	v_mul_f64_e32 v[2:3], v[10:11], v[14:15]
	v_mul_f64_e32 v[14:15], v[8:9], v[14:15]
	s_wait_dscnt 0x1
	v_mul_f64_e32 v[32:33], v[26:27], v[18:19]
	v_mul_f64_e32 v[18:19], v[24:25], v[18:19]
	s_delay_alu instid0(VALU_DEP_4) | instskip(NEXT) | instid1(VALU_DEP_4)
	v_fma_f64 v[2:3], v[8:9], v[12:13], -v[2:3]
	v_fma_f64 v[34:35], v[10:11], v[12:13], v[14:15]
	ds_load_b128 v[8:11], v159
	ds_load_b128 v[12:15], v160
	v_fma_f64 v[24:25], v[24:25], v[16:17], -v[32:33]
	v_fma_f64 v[16:17], v[26:27], v[16:17], v[18:19]
	s_wait_dscnt 0x1
	v_mul_f64_e32 v[36:37], v[30:31], v[10:11]
	v_mul_f64_e32 v[10:11], v[28:29], v[10:11]
	s_wait_dscnt 0x0
	v_mul_f64_e32 v[26:27], v[22:23], v[14:15]
	v_mul_f64_e32 v[14:15], v[20:21], v[14:15]
	v_add_f64_e32 v[2:3], 0, v[2:3]
	v_add_f64_e32 v[18:19], 0, v[34:35]
	v_fma_f64 v[28:29], v[28:29], v[8:9], -v[36:37]
	v_fma_f64 v[8:9], v[30:31], v[8:9], v[10:11]
	s_delay_alu instid0(VALU_DEP_4) | instskip(NEXT) | instid1(VALU_DEP_4)
	v_add_f64_e32 v[2:3], v[2:3], v[24:25]
	v_add_f64_e32 v[10:11], v[18:19], v[16:17]
	v_fma_f64 v[16:17], v[20:21], v[12:13], -v[26:27]
	v_fma_f64 v[12:13], v[22:23], v[12:13], v[14:15]
	s_delay_alu instid0(VALU_DEP_4) | instskip(NEXT) | instid1(VALU_DEP_4)
	v_add_f64_e32 v[2:3], v[2:3], v[28:29]
	v_add_f64_e32 v[8:9], v[10:11], v[8:9]
	s_delay_alu instid0(VALU_DEP_2) | instskip(NEXT) | instid1(VALU_DEP_2)
	v_add_f64_e32 v[44:45], v[2:3], v[16:17]
	v_add_f64_e32 v[46:47], v[8:9], v[12:13]
	ds_load_b128 v[32:35], v173
	ds_load_b128 v[24:27], v173 offset:16
	ds_load_b128 v[12:15], v173 offset:32
	;; [unrolled: 1-line block ×7, first 2 shown]
	s_wait_loadcnt_dscnt 0x0
	s_barrier_signal -1
	s_barrier_wait -1
	global_inv scope:SCOPE_SE
	ds_store_b128 v168, v[44:47]
	s_wait_loadcnt_dscnt 0x0
	s_barrier_signal -1
	s_barrier_wait -1
	global_inv scope:SCOPE_SE
	s_and_saveexec_b32 s19, s17
	s_cbranch_execz .LBB127_71
; %bb.70:                               ;   in Loop: Header=BB127_4 Depth=1
	ds_load_b128 v[44:47], v165
	ds_load_b128 v[48:51], v165 offset:16
	s_wait_dscnt 0x1
	v_add_f64_e32 v[2:3], v[4:5], v[44:45]
	v_add_f64_e32 v[4:5], v[6:7], v[46:47]
	s_wait_dscnt 0x0
	s_delay_alu instid0(VALU_DEP_2) | instskip(NEXT) | instid1(VALU_DEP_2)
	v_add_f64_e32 v[6:7], v[2:3], v[48:49]
	v_add_f64_e32 v[48:49], v[4:5], v[50:51]
	ds_load_b128 v[2:5], v165 offset:32
	ds_load_b128 v[44:47], v165 offset:48
	s_wait_dscnt 0x1
	v_add_f64_e32 v[2:3], v[6:7], v[2:3]
	v_add_f64_e32 v[4:5], v[48:49], v[4:5]
	s_wait_dscnt 0x0
	s_delay_alu instid0(VALU_DEP_2) | instskip(NEXT) | instid1(VALU_DEP_2)
	v_add_f64_e32 v[6:7], v[2:3], v[44:45]
	v_add_f64_e32 v[48:49], v[4:5], v[46:47]
	ds_load_b128 v[2:5], v165 offset:64
	;; [unrolled: 9-line block ×3, first 2 shown]
	ds_load_b128 v[44:47], v165 offset:112
	s_wait_dscnt 0x1
	v_add_f64_e32 v[2:3], v[6:7], v[2:3]
	v_add_f64_e32 v[6:7], v[48:49], v[4:5]
	s_wait_dscnt 0x0
	s_delay_alu instid0(VALU_DEP_2) | instskip(NEXT) | instid1(VALU_DEP_2)
	v_add_f64_e32 v[4:5], v[2:3], v[44:45]
	v_add_f64_e32 v[6:7], v[6:7], v[46:47]
.LBB127_71:                             ;   in Loop: Header=BB127_4 Depth=1
	s_wait_alu 0xfffe
	s_or_b32 exec_lo, exec_lo, s19
	v_mul_f64_e32 v[2:3], v[34:35], v[38:39]
	v_mul_f64_e32 v[38:39], v[32:33], v[38:39]
	;; [unrolled: 1-line block ×4, first 2 shown]
	s_wait_loadcnt 0x0
	s_barrier_signal -1
	s_barrier_wait -1
	global_inv scope:SCOPE_SE
	v_fma_f64 v[2:3], v[32:33], v[36:37], -v[2:3]
	v_fma_f64 v[32:33], v[34:35], v[36:37], v[38:39]
	v_mul_f64_e32 v[34:35], v[14:15], v[22:23]
	v_mul_f64_e32 v[22:23], v[12:13], v[22:23]
	v_fma_f64 v[24:25], v[24:25], v[28:29], -v[44:45]
	v_fma_f64 v[26:27], v[26:27], v[28:29], v[30:31]
	v_mul_f64_e32 v[30:31], v[10:11], v[18:19]
	v_mul_f64_e32 v[18:19], v[8:9], v[18:19]
	v_add_f64_e32 v[2:3], 0, v[2:3]
	v_add_f64_e32 v[28:29], 0, v[32:33]
	v_fma_f64 v[12:13], v[12:13], v[20:21], -v[34:35]
	v_fma_f64 v[14:15], v[14:15], v[20:21], v[22:23]
	v_fma_f64 v[8:9], v[8:9], v[16:17], -v[30:31]
	v_fma_f64 v[10:11], v[10:11], v[16:17], v[18:19]
	v_add_f64_e32 v[2:3], v[2:3], v[24:25]
	v_add_f64_e32 v[20:21], v[28:29], v[26:27]
	s_delay_alu instid0(VALU_DEP_2) | instskip(NEXT) | instid1(VALU_DEP_2)
	v_add_f64_e32 v[2:3], v[2:3], v[12:13]
	v_add_f64_e32 v[12:13], v[20:21], v[14:15]
	s_delay_alu instid0(VALU_DEP_2) | instskip(NEXT) | instid1(VALU_DEP_2)
	v_add_f64_e32 v[8:9], v[2:3], v[8:9]
	v_add_f64_e32 v[10:11], v[12:13], v[10:11]
	ds_store_b128 v168, v[8:11]
	s_wait_loadcnt_dscnt 0x0
	s_barrier_signal -1
	s_barrier_wait -1
	global_inv scope:SCOPE_SE
	s_and_saveexec_b32 s19, s11
	s_cbranch_execz .LBB127_73
; %bb.72:                               ;   in Loop: Header=BB127_4 Depth=1
	ds_load_b128 v[8:11], v165
	ds_load_b128 v[12:15], v165 offset:16
	s_wait_dscnt 0x1
	v_add_f64_e32 v[2:3], v[4:5], v[8:9]
	v_add_f64_e32 v[4:5], v[6:7], v[10:11]
	s_wait_dscnt 0x0
	s_delay_alu instid0(VALU_DEP_2) | instskip(NEXT) | instid1(VALU_DEP_2)
	v_add_f64_e32 v[10:11], v[2:3], v[12:13]
	v_add_f64_e32 v[12:13], v[4:5], v[14:15]
	ds_load_b128 v[2:5], v165 offset:32
	ds_load_b128 v[6:9], v165 offset:48
	s_wait_dscnt 0x1
	v_add_f64_e32 v[2:3], v[10:11], v[2:3]
	v_add_f64_e32 v[4:5], v[12:13], v[4:5]
	s_wait_dscnt 0x0
	s_delay_alu instid0(VALU_DEP_2) | instskip(NEXT) | instid1(VALU_DEP_2)
	v_add_f64_e32 v[10:11], v[2:3], v[6:7]
	v_add_f64_e32 v[12:13], v[4:5], v[8:9]
	ds_load_b128 v[2:5], v165 offset:64
	;; [unrolled: 9-line block ×3, first 2 shown]
	ds_load_b128 v[6:9], v165 offset:112
	s_wait_dscnt 0x1
	v_add_f64_e32 v[2:3], v[10:11], v[2:3]
	v_add_f64_e32 v[10:11], v[12:13], v[4:5]
	s_wait_dscnt 0x0
	s_delay_alu instid0(VALU_DEP_2) | instskip(NEXT) | instid1(VALU_DEP_2)
	v_add_f64_e32 v[4:5], v[2:3], v[6:7]
	v_add_f64_e32 v[6:7], v[10:11], v[8:9]
.LBB127_73:                             ;   in Loop: Header=BB127_4 Depth=1
	s_wait_alu 0xfffe
	s_or_b32 exec_lo, exec_lo, s19
	s_mul_u64 s[64:65], s[24:25], s[34:35]
	s_and_not1_b32 vcc_lo, exec_lo, s69
	s_wait_alu 0xfffe
	s_lshl_b64 s[64:65], s[64:65], 4
	s_wait_loadcnt 0x0
	s_wait_alu 0xfffe
	s_add_nc_u64 s[64:65], s[30:31], s[64:65]
	s_barrier_signal -1
	s_barrier_wait -1
	global_inv scope:SCOPE_SE
	s_cbranch_vccnz .LBB127_80
; %bb.74:                               ;   in Loop: Header=BB127_4 Depth=1
	v_add_co_u32 v0, vcc_lo, v42, s62
	s_wait_alu 0xfffd
	v_add_co_ci_u32_e64 v2, null, s63, v43, vcc_lo
	s_lshl_b64 s[66:67], s[26:27], 4
	v_add_co_u32 v0, vcc_lo, v0, v142
	s_wait_alu 0xfffd
	v_add_co_ci_u32_e64 v2, null, v2, v143, vcc_lo
	s_mov_b32 s19, ttmp9
	v_add_co_u32 v0, vcc_lo, v0, v144
	s_wait_alu 0xfffd
	v_add_co_ci_u32_e64 v2, null, v2, v145, vcc_lo
	s_delay_alu instid0(VALU_DEP_2) | instskip(SKIP_1) | instid1(VALU_DEP_2)
	v_add_co_u32 v3, vcc_lo, v0, v146
	s_wait_alu 0xfffd
	v_add_co_ci_u32_e64 v8, null, v2, v147, vcc_lo
	s_wait_alu 0xfffe
	s_delay_alu instid0(VALU_DEP_2) | instskip(SKIP_1) | instid1(VALU_DEP_2)
	v_add_co_u32 v3, vcc_lo, v3, s66
	s_wait_alu 0xfffd
	v_add_co_ci_u32_e64 v8, null, s67, v8, vcc_lo
	v_add_co_u32 v0, vcc_lo, 0xfffffe00, v0
	s_wait_alu 0xfffd
	v_add_co_ci_u32_e64 v2, null, -1, v2, vcc_lo
	v_add_co_u32 v9, vcc_lo, 0xfffffdf0, v3
	s_wait_alu 0xfffd
	v_add_co_ci_u32_e64 v3, null, -1, v8, vcc_lo
	v_add_co_u32 v185, vcc_lo, v40, s60
	s_wait_alu 0xfffd
	v_add_co_ci_u32_e64 v186, null, s61, v41, vcc_lo
	s_delay_alu instid0(VALU_DEP_3)
	v_cndmask_b32_e64 v3, v2, v3, s1
	v_cndmask_b32_e64 v2, v0, v9, s1
	v_mov_b32_e32 v0, v150
	s_mov_b32 s66, 0
	s_branch .LBB127_76
.LBB127_75:                             ;   in Loop: Header=BB127_76 Depth=2
	s_wait_alu 0xfffe
	s_or_b32 exec_lo, exec_lo, s67
	v_mul_f64_e32 v[112:113], v[18:19], v[26:27]
	v_mul_f64_e32 v[26:27], v[16:17], v[26:27]
	;; [unrolled: 1-line block ×4, first 2 shown]
	v_add_co_u32 v2, vcc_lo, v2, s54
	v_add_nc_u32_e32 v0, 64, v0
	s_wait_alu 0xfffd
	v_add_co_ci_u32_e64 v3, null, s55, v3, vcc_lo
	s_add_co_i32 s19, s19, -1
	s_add_co_i32 s66, s66, s70
	s_wait_alu 0xfffe
	s_cmp_eq_u32 s19, 0
	s_wait_loadcnt 0x0
	s_wait_storecnt 0x0
	s_barrier_signal -1
	s_barrier_wait -1
	global_inv scope:SCOPE_SE
	v_fma_f64 v[16:17], v[16:17], v[24:25], -v[112:113]
	v_fma_f64 v[18:19], v[18:19], v[24:25], v[26:27]
	v_mul_f64_e32 v[24:25], v[14:15], v[38:39]
	v_mul_f64_e32 v[26:27], v[12:13], v[38:39]
	v_fma_f64 v[20:21], v[20:21], v[40:41], -v[114:115]
	v_fma_f64 v[22:23], v[22:23], v[40:41], v[42:43]
	v_add_f64_e32 v[4:5], v[4:5], v[16:17]
	v_add_f64_e32 v[6:7], v[6:7], v[18:19]
	v_mul_f64_e32 v[16:17], v[10:11], v[34:35]
	v_mul_f64_e32 v[18:19], v[8:9], v[34:35]
	v_fma_f64 v[12:13], v[12:13], v[36:37], -v[24:25]
	v_fma_f64 v[14:15], v[14:15], v[36:37], v[26:27]
	v_add_f64_e32 v[4:5], v[4:5], v[20:21]
	v_add_f64_e32 v[6:7], v[6:7], v[22:23]
	;; [unrolled: 6-line block ×14, first 2 shown]
	v_fma_f64 v[8:9], v[124:125], v[128:129], -v[8:9]
	v_fma_f64 v[10:11], v[126:127], v[128:129], v[10:11]
	s_delay_alu instid0(VALU_DEP_4) | instskip(NEXT) | instid1(VALU_DEP_4)
	v_add_f64_e32 v[4:5], v[4:5], v[12:13]
	v_add_f64_e32 v[6:7], v[6:7], v[14:15]
	s_delay_alu instid0(VALU_DEP_2) | instskip(NEXT) | instid1(VALU_DEP_2)
	v_add_f64_e32 v[4:5], v[4:5], v[8:9]
	v_add_f64_e32 v[6:7], v[6:7], v[10:11]
	s_cbranch_scc1 .LBB127_80
.LBB127_76:                             ;   Parent Loop BB127_4 Depth=1
                                        ; =>  This Inner Loop Header: Depth=2
	s_and_saveexec_b32 s72, s0
	s_cbranch_execz .LBB127_78
; %bb.77:                               ;   in Loop: Header=BB127_76 Depth=2
	s_wait_alu 0xfffe
	s_ashr_i32 s67, s66, 31
	s_wait_alu 0xfffe
	s_lshl_b64 s[74:75], s[66:67], 4
	s_wait_alu 0xfffe
	v_add_co_u32 v8, vcc_lo, v185, s74
	s_wait_alu 0xfffd
	v_add_co_ci_u32_e64 v9, null, s75, v186, vcc_lo
	global_load_b128 v[8:11], v[8:9], off
	s_wait_loadcnt 0x0
	ds_store_2addr_b64 v174, v[8:9], v[10:11] offset1:1
.LBB127_78:                             ;   in Loop: Header=BB127_76 Depth=2
	s_or_b32 exec_lo, exec_lo, s72
	v_add_co_u32 v8, vcc_lo, v2, s52
	s_wait_alu 0xfffd
	v_add_co_ci_u32_e64 v9, null, s53, v3, vcc_lo
	s_wait_loadcnt_dscnt 0x0
	s_delay_alu instid0(VALU_DEP_2) | instskip(SKIP_1) | instid1(VALU_DEP_2)
	v_add_co_u32 v10, vcc_lo, v8, s52
	s_wait_alu 0xfffd
	v_add_co_ci_u32_e64 v11, null, s53, v9, vcc_lo
	s_barrier_signal -1
	s_barrier_wait -1
	global_inv scope:SCOPE_SE
	global_load_b128 v[16:19], v[2:3], off
	v_add_co_u32 v2, vcc_lo, v10, s52
	s_wait_alu 0xfffd
	v_add_co_ci_u32_e64 v3, null, s53, v11, vcc_lo
	s_clause 0x2
	global_load_b128 v[20:23], v[8:9], off
	global_load_b128 v[12:15], v[10:11], off
	;; [unrolled: 1-line block ×3, first 2 shown]
	ds_load_b128 v[28:31], v154
	ds_load_b128 v[24:27], v175
	v_add_co_u32 v2, vcc_lo, v2, s54
	s_wait_alu 0xfffd
	v_add_co_ci_u32_e64 v3, null, s55, v3, vcc_lo
	s_delay_alu instid0(VALU_DEP_2) | instskip(SKIP_1) | instid1(VALU_DEP_2)
	v_add_co_u32 v60, vcc_lo, v2, s52
	s_wait_alu 0xfffd
	v_add_co_ci_u32_e64 v61, null, s53, v3, vcc_lo
	s_delay_alu instid0(VALU_DEP_2) | instskip(SKIP_1) | instid1(VALU_DEP_2)
	v_add_co_u32 v62, vcc_lo, v60, s52
	s_wait_alu 0xfffd
	v_add_co_ci_u32_e64 v63, null, s53, v61, vcc_lo
	s_wait_loadcnt_dscnt 0x301
	v_mul_f64_e32 v[32:33], v[18:19], v[30:31]
	v_mul_f64_e32 v[34:35], v[16:17], v[30:31]
	s_wait_loadcnt 0x2
	v_mul_f64_e32 v[36:37], v[22:23], v[30:31]
	v_mul_f64_e32 v[38:39], v[20:21], v[30:31]
	s_wait_loadcnt 0x1
	;; [unrolled: 3-line block ×3, first 2 shown]
	v_mul_f64_e32 v[56:57], v[10:11], v[30:31]
	v_mul_f64_e32 v[30:31], v[8:9], v[30:31]
	v_fma_f64 v[44:45], v[16:17], v[28:29], -v[32:33]
	v_fma_f64 v[46:47], v[18:19], v[28:29], v[34:35]
	v_fma_f64 v[48:49], v[20:21], v[28:29], -v[36:37]
	v_fma_f64 v[50:51], v[22:23], v[28:29], v[38:39]
	;; [unrolled: 2-line block ×4, first 2 shown]
	ds_load_b128 v[40:43], v175 offset:16
	ds_load_b128 v[36:39], v175 offset:32
	;; [unrolled: 1-line block ×3, first 2 shown]
	ds_store_b128 v176, v[44:47]
	ds_store_b128 v176, v[48:51] offset:1072
	ds_store_b128 v176, v[52:55] offset:2144
	;; [unrolled: 1-line block ×3, first 2 shown]
	s_wait_dscnt 0x0
	s_barrier_signal -1
	s_barrier_wait -1
	global_inv scope:SCOPE_SE
	ds_load_b128 v[80:83], v177
	ds_load_b128 v[84:87], v177 offset:16
	ds_load_b128 v[88:91], v177 offset:32
	;; [unrolled: 1-line block ×3, first 2 shown]
	s_wait_loadcnt_dscnt 0x0
	s_barrier_signal -1
	s_barrier_wait -1
	global_inv scope:SCOPE_SE
	global_load_b128 v[28:31], v[2:3], off
	v_add_co_u32 v2, vcc_lo, v62, s52
	s_wait_alu 0xfffd
	v_add_co_ci_u32_e64 v3, null, s53, v63, vcc_lo
	s_clause 0x2
	global_load_b128 v[52:55], v[60:61], off
	global_load_b128 v[48:51], v[62:63], off
	;; [unrolled: 1-line block ×3, first 2 shown]
	ds_load_b128 v[60:63], v154
	ds_load_b128 v[56:59], v175 offset:256
	v_add_co_u32 v2, vcc_lo, v2, s54
	s_wait_alu 0xfffd
	v_add_co_ci_u32_e64 v3, null, s55, v3, vcc_lo
	v_add_f64_e32 v[80:81], 0, v[80:81]
	v_add_f64_e32 v[82:83], 0, v[82:83]
	s_delay_alu instid0(VALU_DEP_2) | instskip(NEXT) | instid1(VALU_DEP_2)
	v_add_f64_e32 v[80:81], v[80:81], v[84:85]
	v_add_f64_e32 v[82:83], v[82:83], v[86:87]
	s_delay_alu instid0(VALU_DEP_2) | instskip(NEXT) | instid1(VALU_DEP_2)
	;; [unrolled: 3-line block ×3, first 2 shown]
	v_add_f64_e32 v[112:113], v[80:81], v[92:93]
	v_add_f64_e32 v[114:115], v[82:83], v[94:95]
	s_wait_loadcnt_dscnt 0x301
	v_mul_f64_e32 v[64:65], v[30:31], v[62:63]
	v_mul_f64_e32 v[66:67], v[28:29], v[62:63]
	s_wait_loadcnt 0x2
	v_mul_f64_e32 v[68:69], v[54:55], v[62:63]
	v_mul_f64_e32 v[70:71], v[52:53], v[62:63]
	s_wait_loadcnt 0x1
	;; [unrolled: 3-line block ×3, first 2 shown]
	v_mul_f64_e32 v[104:105], v[46:47], v[62:63]
	v_mul_f64_e32 v[62:63], v[44:45], v[62:63]
	v_fma_f64 v[76:77], v[28:29], v[60:61], -v[64:65]
	v_fma_f64 v[78:79], v[30:31], v[60:61], v[66:67]
	v_fma_f64 v[96:97], v[52:53], v[60:61], -v[68:69]
	v_fma_f64 v[98:99], v[54:55], v[60:61], v[70:71]
	;; [unrolled: 2-line block ×4, first 2 shown]
	ds_load_b128 v[72:75], v175 offset:272
	ds_load_b128 v[68:71], v175 offset:288
	;; [unrolled: 1-line block ×3, first 2 shown]
	ds_store_b128 v176, v[76:79]
	ds_store_b128 v176, v[96:99] offset:1072
	ds_store_b128 v176, v[100:103] offset:2144
	;; [unrolled: 1-line block ×3, first 2 shown]
	s_wait_dscnt 0x0
	s_barrier_signal -1
	s_barrier_wait -1
	global_inv scope:SCOPE_SE
	ds_load_b128 v[96:99], v177
	ds_load_b128 v[100:103], v177 offset:16
	ds_load_b128 v[104:107], v177 offset:32
	;; [unrolled: 1-line block ×3, first 2 shown]
	s_wait_loadcnt_dscnt 0x0
	s_barrier_signal -1
	s_barrier_wait -1
	global_inv scope:SCOPE_SE
	global_load_b128 v[60:63], v[2:3], off
	v_add_co_u32 v2, vcc_lo, v2, s52
	s_wait_alu 0xfffd
	v_add_co_ci_u32_e64 v3, null, s53, v3, vcc_lo
	ds_load_b128 v[116:119], v154
	ds_load_b128 v[80:83], v175 offset:512
	global_load_b128 v[76:79], v[2:3], off
	v_add_co_u32 v2, vcc_lo, v2, s52
	s_wait_alu 0xfffd
	v_add_co_ci_u32_e64 v3, null, s53, v3, vcc_lo
	s_delay_alu instid0(VALU_DEP_2) | instskip(SKIP_1) | instid1(VALU_DEP_2)
	v_add_co_u32 v132, vcc_lo, v2, s52
	s_wait_alu 0xfffd
	v_add_co_ci_u32_e64 v133, null, s53, v3, vcc_lo
	s_wait_loadcnt_dscnt 0x101
	v_mul_f64_e32 v[84:85], v[62:63], v[118:119]
	v_mul_f64_e32 v[86:87], v[60:61], v[118:119]
	s_wait_loadcnt 0x0
	v_mul_f64_e32 v[88:89], v[78:79], v[118:119]
	s_delay_alu instid0(VALU_DEP_3) | instskip(SKIP_1) | instid1(VALU_DEP_4)
	v_fma_f64 v[92:93], v[60:61], v[116:117], -v[84:85]
	v_mul_f64_e32 v[84:85], v[76:77], v[118:119]
	v_fma_f64 v[94:95], v[62:63], v[116:117], v[86:87]
	s_delay_alu instid0(VALU_DEP_4) | instskip(NEXT) | instid1(VALU_DEP_3)
	v_fma_f64 v[120:121], v[76:77], v[116:117], -v[88:89]
	v_fma_f64 v[122:123], v[78:79], v[116:117], v[84:85]
	global_load_b128 v[84:87], v[2:3], off
	ds_store_b128 v176, v[92:95]
	s_wait_loadcnt 0x0
	v_mul_f64_e32 v[88:89], v[84:85], v[118:119]
	v_mul_f64_e32 v[2:3], v[86:87], v[118:119]
	s_delay_alu instid0(VALU_DEP_2)
	v_fma_f64 v[126:127], v[86:87], v[116:117], v[88:89]
	global_load_b128 v[88:91], v[132:133], off
	v_fma_f64 v[124:125], v[84:85], v[116:117], -v[2:3]
	ds_store_b128 v176, v[120:123] offset:1072
	ds_store_b128 v176, v[124:127] offset:2144
	s_wait_loadcnt 0x0
	v_mul_f64_e32 v[2:3], v[90:91], v[118:119]
	v_mul_f64_e32 v[118:119], v[88:89], v[118:119]
	s_delay_alu instid0(VALU_DEP_2) | instskip(SKIP_2) | instid1(VALU_DEP_4)
	v_fma_f64 v[128:129], v[88:89], v[116:117], -v[2:3]
	v_add_f64_e32 v[2:3], 0, v[96:97]
	v_add_f64_e32 v[96:97], 0, v[98:99]
	v_fma_f64 v[130:131], v[90:91], v[116:117], v[118:119]
	s_delay_alu instid0(VALU_DEP_3) | instskip(NEXT) | instid1(VALU_DEP_3)
	v_add_f64_e32 v[2:3], v[2:3], v[100:101]
	v_add_f64_e32 v[96:97], v[96:97], v[102:103]
	s_delay_alu instid0(VALU_DEP_2) | instskip(NEXT) | instid1(VALU_DEP_2)
	v_add_f64_e32 v[2:3], v[2:3], v[104:105]
	v_add_f64_e32 v[96:97], v[96:97], v[106:107]
	s_delay_alu instid0(VALU_DEP_2) | instskip(SKIP_3) | instid1(VALU_DEP_4)
	v_add_f64_e32 v[187:188], v[2:3], v[108:109]
	v_add_co_u32 v2, vcc_lo, v132, s54
	s_wait_alu 0xfffd
	v_add_co_ci_u32_e64 v3, null, s55, v133, vcc_lo
	v_add_f64_e32 v[189:190], v[96:97], v[110:111]
	ds_load_b128 v[108:111], v175 offset:528
	ds_load_b128 v[104:107], v175 offset:544
	ds_store_b128 v176, v[128:131] offset:3216
	ds_load_b128 v[100:103], v175 offset:560
	s_wait_dscnt 0x0
	s_barrier_signal -1
	s_barrier_wait -1
	global_inv scope:SCOPE_SE
	ds_load_b128 v[128:131], v177
	ds_load_b128 v[132:135], v177 offset:16
	ds_load_b128 v[136:139], v177 offset:32
	ds_load_b128 v[191:194], v177 offset:48
	s_wait_loadcnt_dscnt 0x0
	s_barrier_signal -1
	s_barrier_wait -1
	global_inv scope:SCOPE_SE
	global_load_b128 v[92:95], v[2:3], off
	ds_load_b128 v[195:198], v154
	ds_load_b128 v[96:99], v175 offset:768
	v_add_co_u32 v116, vcc_lo, v2, s52
	s_wait_alu 0xfffd
	v_add_co_ci_u32_e64 v117, null, s53, v3, vcc_lo
	s_delay_alu instid0(VALU_DEP_2) | instskip(SKIP_1) | instid1(VALU_DEP_2)
	v_add_co_u32 v120, vcc_lo, v116, s52
	s_wait_alu 0xfffd
	v_add_co_ci_u32_e64 v121, null, s53, v117, vcc_lo
	v_add_f64_e32 v[128:129], 0, v[128:129]
	v_add_f64_e32 v[130:131], 0, v[130:131]
	s_delay_alu instid0(VALU_DEP_2) | instskip(NEXT) | instid1(VALU_DEP_2)
	v_add_f64_e32 v[128:129], v[128:129], v[132:133]
	v_add_f64_e32 v[130:131], v[130:131], v[134:135]
	s_delay_alu instid0(VALU_DEP_2) | instskip(NEXT) | instid1(VALU_DEP_2)
	;; [unrolled: 3-line block ×3, first 2 shown]
	v_add_f64_e32 v[191:192], v[128:129], v[191:192]
	v_add_f64_e32 v[193:194], v[130:131], v[193:194]
	s_wait_loadcnt_dscnt 0x1
	v_mul_f64_e32 v[118:119], v[92:93], v[197:198]
	v_mul_f64_e32 v[2:3], v[94:95], v[197:198]
	s_delay_alu instid0(VALU_DEP_2)
	v_fma_f64 v[201:202], v[94:95], v[195:196], v[118:119]
	global_load_b128 v[116:119], v[116:117], off
	v_fma_f64 v[199:200], v[92:93], v[195:196], -v[2:3]
	s_wait_loadcnt 0x0
	v_mul_f64_e32 v[2:3], v[118:119], v[197:198]
	v_mul_f64_e32 v[122:123], v[116:117], v[197:198]
	s_delay_alu instid0(VALU_DEP_2) | instskip(SKIP_1) | instid1(VALU_DEP_3)
	v_fma_f64 v[203:204], v[116:117], v[195:196], -v[2:3]
	v_add_co_u32 v2, vcc_lo, v120, s52
	v_fma_f64 v[205:206], v[118:119], v[195:196], v[122:123]
	s_wait_alu 0xfffd
	v_add_co_ci_u32_e64 v3, null, s53, v121, vcc_lo
	global_load_b128 v[120:123], v[120:121], off
	s_wait_loadcnt 0x0
	v_mul_f64_e32 v[124:125], v[122:123], v[197:198]
	v_mul_f64_e32 v[126:127], v[120:121], v[197:198]
	s_delay_alu instid0(VALU_DEP_2) | instskip(NEXT) | instid1(VALU_DEP_2)
	v_fma_f64 v[207:208], v[120:121], v[195:196], -v[124:125]
	v_fma_f64 v[209:210], v[122:123], v[195:196], v[126:127]
	global_load_b128 v[124:127], v[2:3], off
	s_wait_loadcnt 0x0
	v_mul_f64_e32 v[211:212], v[126:127], v[197:198]
	v_mul_f64_e32 v[197:198], v[124:125], v[197:198]
	s_delay_alu instid0(VALU_DEP_2) | instskip(NEXT) | instid1(VALU_DEP_2)
	v_fma_f64 v[211:212], v[124:125], v[195:196], -v[211:212]
	v_fma_f64 v[213:214], v[126:127], v[195:196], v[197:198]
	ds_store_b128 v176, v[199:202]
	ds_store_b128 v176, v[203:206] offset:1072
	ds_store_b128 v176, v[207:210] offset:2144
	;; [unrolled: 1-line block ×3, first 2 shown]
	ds_load_b128 v[136:139], v175 offset:784
	ds_load_b128 v[132:135], v175 offset:800
	;; [unrolled: 1-line block ×3, first 2 shown]
	s_wait_dscnt 0x0
	s_barrier_signal -1
	s_barrier_wait -1
	global_inv scope:SCOPE_SE
	ds_load_b128 v[195:198], v177
	ds_load_b128 v[199:202], v177 offset:16
	s_wait_dscnt 0x1
	v_add_f64_e32 v[195:196], 0, v[195:196]
	v_add_f64_e32 v[197:198], 0, v[197:198]
	s_wait_dscnt 0x0
	s_delay_alu instid0(VALU_DEP_2) | instskip(NEXT) | instid1(VALU_DEP_2)
	v_add_f64_e32 v[203:204], v[195:196], v[199:200]
	v_add_f64_e32 v[205:206], v[197:198], v[201:202]
	ds_load_b128 v[195:198], v177 offset:32
	ds_load_b128 v[199:202], v177 offset:48
	s_wait_loadcnt_dscnt 0x0
	s_barrier_signal -1
	s_barrier_wait -1
	global_inv scope:SCOPE_SE
	v_add_f64_e32 v[195:196], v[203:204], v[195:196]
	v_add_f64_e32 v[197:198], v[205:206], v[197:198]
	s_delay_alu instid0(VALU_DEP_2) | instskip(NEXT) | instid1(VALU_DEP_2)
	v_add_f64_e32 v[195:196], v[195:196], v[199:200]
	v_add_f64_e32 v[197:198], v[197:198], v[201:202]
	ds_store_b128 v183, v[112:115]
	ds_store_b128 v183, v[187:190] offset:256
	ds_store_b128 v183, v[191:194] offset:512
	;; [unrolled: 1-line block ×3, first 2 shown]
	s_wait_loadcnt_dscnt 0x0
	s_barrier_signal -1
	s_barrier_wait -1
	global_inv scope:SCOPE_SE
	s_and_saveexec_b32 s67, s18
	s_cbranch_execz .LBB127_75
; %bb.79:                               ;   in Loop: Header=BB127_76 Depth=2
	ds_load_b128 v[112:115], v178
	ds_load_b128 v[187:190], v178 offset:16
	s_wait_dscnt 0x0
	v_add_f64_e32 v[191:192], v[187:188], v[112:113]
	v_add_f64_e32 v[193:194], v[189:190], v[114:115]
	ds_load_b128 v[112:115], v178 offset:32
	ds_load_b128 v[187:190], v178 offset:48
	s_wait_dscnt 0x1
	v_add_f64_e32 v[112:113], v[191:192], v[112:113]
	v_add_f64_e32 v[114:115], v[193:194], v[114:115]
	s_wait_dscnt 0x0
	s_delay_alu instid0(VALU_DEP_2) | instskip(NEXT) | instid1(VALU_DEP_2)
	v_add_f64_e32 v[191:192], v[112:113], v[187:188]
	v_add_f64_e32 v[193:194], v[114:115], v[189:190]
	ds_load_b128 v[112:115], v178 offset:64
	ds_load_b128 v[187:190], v178 offset:80
	s_wait_dscnt 0x1
	v_add_f64_e32 v[112:113], v[191:192], v[112:113]
	v_add_f64_e32 v[114:115], v[193:194], v[114:115]
	s_wait_dscnt 0x0
	s_delay_alu instid0(VALU_DEP_2) | instskip(NEXT) | instid1(VALU_DEP_2)
	;; [unrolled: 9-line block ×6, first 2 shown]
	v_add_f64_e32 v[191:192], v[112:113], v[187:188]
	v_add_f64_e32 v[193:194], v[114:115], v[189:190]
	ds_load_b128 v[112:115], v178 offset:224
	ds_load_b128 v[187:190], v179
	s_wait_dscnt 0x1
	v_add_f64_e32 v[112:113], v[191:192], v[112:113]
	v_add_f64_e32 v[114:115], v[193:194], v[114:115]
	s_wait_dscnt 0x0
	s_delay_alu instid0(VALU_DEP_2) | instskip(NEXT) | instid1(VALU_DEP_2)
	v_add_f64_e32 v[112:113], v[112:113], v[187:188]
	v_add_f64_e32 v[114:115], v[114:115], v[189:190]
	v_lshlrev_b64_e32 v[187:188], 4, v[0:1]
	s_wait_alu 0xfffe
	s_delay_alu instid0(VALU_DEP_1) | instskip(SKIP_1) | instid1(VALU_DEP_2)
	v_add_co_u32 v187, vcc_lo, s64, v187
	s_wait_alu 0xfffd
	v_add_co_ci_u32_e64 v188, null, s65, v188, vcc_lo
	global_store_b128 v[187:188], v[112:115], off
	s_branch .LBB127_75
.LBB127_80:                             ;   in Loop: Header=BB127_4 Depth=1
	ds_store_b128 v180, v[4:7]
	s_wait_loadcnt_dscnt 0x0
	s_barrier_signal -1
	s_barrier_wait -1
	global_inv scope:SCOPE_SE
	s_and_saveexec_b32 s19, s71
	s_cbranch_execz .LBB127_2
; %bb.81:                               ;   in Loop: Header=BB127_4 Depth=1
	ds_load_b128 v[2:5], v153 offset:1072
	ds_load_b128 v[6:9], v153
	s_wait_dscnt 0x0
	v_add_f64_e32 v[10:11], v[2:3], v[6:7]
	v_add_f64_e32 v[12:13], v[4:5], v[8:9]
	ds_load_b128 v[2:5], v153 offset:2144
	ds_load_b128 v[6:9], v153 offset:3216
	s_wait_dscnt 0x1
	v_add_f64_e32 v[2:3], v[10:11], v[2:3]
	v_add_f64_e32 v[4:5], v[12:13], v[4:5]
	s_wait_dscnt 0x0
	s_delay_alu instid0(VALU_DEP_2) | instskip(NEXT) | instid1(VALU_DEP_2)
	v_add_f64_e32 v[2:3], v[2:3], v[6:7]
	v_add_f64_e32 v[4:5], v[4:5], v[8:9]
	s_wait_alu 0xfffe
	v_add_co_u32 v6, vcc_lo, s64, v148
	s_wait_alu 0xfffd
	v_add_co_ci_u32_e64 v7, null, s65, v149, vcc_lo
	global_store_b128 v[6:7], v[2:5], off
	s_branch .LBB127_2
.LBB127_82:                             ;   in Loop: Header=BB127_4 Depth=1
	ds_load_b128 v[2:5], v162
	s_wait_dscnt 0x0
	ds_store_b128 v161, v[2:5]
	s_wait_alu 0xfffe
	s_or_b32 exec_lo, exec_lo, s19
	s_and_saveexec_b32 s19, s8
	s_cbranch_execz .LBB127_29
.LBB127_83:                             ;   in Loop: Header=BB127_4 Depth=1
	ds_load_b128 v[2:5], v163
	v_add_nc_u32_e32 v0, 16, v161
	s_wait_dscnt 0x0
	ds_store_b128 v0, v[2:5]
	s_wait_alu 0xfffe
	s_or_b32 exec_lo, exec_lo, s19
	s_and_saveexec_b32 s19, s9
	s_cbranch_execz .LBB127_30
.LBB127_84:                             ;   in Loop: Header=BB127_4 Depth=1
	ds_load_b128 v[2:5], v164
	v_add_nc_u32_e32 v0, 32, v161
	s_wait_dscnt 0x0
	ds_store_b128 v0, v[2:5]
	s_wait_alu 0xfffe
	s_or_b32 exec_lo, exec_lo, s19
	s_and_saveexec_b32 s19, s10
	s_cbranch_execnz .LBB127_31
	s_branch .LBB127_32
.LBB127_85:                             ;   in Loop: Header=BB127_4 Depth=1
	ds_load_b128 v[10:13], v162
	s_wait_dscnt 0x0
	ds_store_b128 v169, v[10:13]
	s_wait_alu 0xfffe
	s_or_b32 exec_lo, exec_lo, s19
	s_and_saveexec_b32 s19, s8
	s_cbranch_execz .LBB127_50
.LBB127_86:                             ;   in Loop: Header=BB127_4 Depth=1
	ds_load_b128 v[10:13], v163
	s_wait_dscnt 0x0
	ds_store_b128 v170, v[10:13]
	s_wait_alu 0xfffe
	s_or_b32 exec_lo, exec_lo, s19
	s_and_saveexec_b32 s19, s9
	s_cbranch_execz .LBB127_51
.LBB127_87:                             ;   in Loop: Header=BB127_4 Depth=1
	ds_load_b128 v[10:13], v164
	s_wait_dscnt 0x0
	ds_store_b128 v171, v[10:13]
	s_wait_alu 0xfffe
	s_or_b32 exec_lo, exec_lo, s19
	s_and_saveexec_b32 s19, s10
	s_cbranch_execnz .LBB127_52
	s_branch .LBB127_53
.LBB127_88:                             ;   in Loop: Header=BB127_4 Depth=1
	global_load_b128 v[10:13], v[4:5], off
	s_wait_loadcnt 0x0
	ds_store_2addr_b64 v155, v[10:11], v[12:13] offset1:1
	s_or_b32 exec_lo, exec_lo, s19
	s_and_saveexec_b32 s19, s4
	s_wait_alu 0xfffe
	s_xor_b32 s19, exec_lo, s19
	s_cbranch_execz .LBB127_20
.LBB127_89:                             ;   in Loop: Header=BB127_4 Depth=1
	v_dual_mov_b32 v0, v1 :: v_dual_mov_b32 v3, v1
	v_mov_b32_e32 v2, v1
	ds_store_b128 v158, v[0:3]
	s_wait_alu 0xfffe
	s_and_not1_saveexec_b32 s19, s19
	s_cbranch_execz .LBB127_21
.LBB127_90:                             ;   in Loop: Header=BB127_4 Depth=1
	s_lshl_b64 s[64:65], s[42:43], 4
	s_wait_alu 0xfffe
	v_add_co_u32 v2, vcc_lo, v4, s64
	s_wait_alu 0xfffd
	v_add_co_ci_u32_e64 v3, null, s65, v5, vcc_lo
	global_load_b128 v[10:13], v[2:3], off
	s_wait_loadcnt 0x0
	ds_store_2addr_b64 v158, v[10:11], v[12:13] offset1:1
	s_or_b32 exec_lo, exec_lo, s19
	s_and_saveexec_b32 s19, s5
	s_wait_alu 0xfffe
	s_xor_b32 s19, exec_lo, s19
	s_cbranch_execz .LBB127_22
.LBB127_91:                             ;   in Loop: Header=BB127_4 Depth=1
	v_dual_mov_b32 v0, v1 :: v_dual_mov_b32 v3, v1
	v_mov_b32_e32 v2, v1
	ds_store_b128 v159, v[0:3]
	s_wait_alu 0xfffe
	s_and_not1_saveexec_b32 s19, s19
	s_cbranch_execz .LBB127_23
.LBB127_92:                             ;   in Loop: Header=BB127_4 Depth=1
	s_lshl_b64 s[64:65], s[44:45], 4
	s_wait_alu 0xfffe
	v_add_co_u32 v2, vcc_lo, v4, s64
	s_wait_alu 0xfffd
	v_add_co_ci_u32_e64 v3, null, s65, v5, vcc_lo
	global_load_b128 v[10:13], v[2:3], off
	s_wait_loadcnt 0x0
	ds_store_2addr_b64 v159, v[10:11], v[12:13] offset1:1
	s_or_b32 exec_lo, exec_lo, s19
	s_and_saveexec_b32 s19, s6
	s_wait_alu 0xfffe
	s_xor_b32 s19, exec_lo, s19
	s_cbranch_execz .LBB127_24
.LBB127_93:                             ;   in Loop: Header=BB127_4 Depth=1
	v_dual_mov_b32 v0, v1 :: v_dual_mov_b32 v3, v1
	v_mov_b32_e32 v2, v1
	ds_store_b128 v160, v[0:3]
	s_wait_alu 0xfffe
	s_and_not1_saveexec_b32 s19, s19
	s_cbranch_execnz .LBB127_25
	s_branch .LBB127_26
.LBB127_94:                             ;   in Loop: Header=BB127_4 Depth=1
	global_load_b128 v[12:15], v[10:11], off
	s_wait_loadcnt 0x0
	ds_store_2addr_b64 v155, v[12:13], v[14:15] offset1:1
	s_or_b32 exec_lo, exec_lo, s19
	s_and_saveexec_b32 s19, s14
	s_wait_alu 0xfffe
	s_xor_b32 s19, exec_lo, s19
	s_cbranch_execz .LBB127_41
.LBB127_95:                             ;   in Loop: Header=BB127_4 Depth=1
	v_dual_mov_b32 v0, v1 :: v_dual_mov_b32 v3, v1
	v_mov_b32_e32 v2, v1
	ds_store_b128 v158, v[0:3]
	s_wait_alu 0xfffe
	s_and_not1_saveexec_b32 s19, s19
	s_cbranch_execz .LBB127_42
.LBB127_96:                             ;   in Loop: Header=BB127_4 Depth=1
	s_lshl_b64 s[64:65], s[42:43], 4
	s_wait_alu 0xfffe
	v_add_co_u32 v2, vcc_lo, v10, s64
	s_wait_alu 0xfffd
	v_add_co_ci_u32_e64 v3, null, s65, v11, vcc_lo
	global_load_b128 v[12:15], v[2:3], off
	s_wait_loadcnt 0x0
	ds_store_2addr_b64 v158, v[12:13], v[14:15] offset1:1
	s_or_b32 exec_lo, exec_lo, s19
	s_and_saveexec_b32 s19, s15
	s_wait_alu 0xfffe
	s_xor_b32 s19, exec_lo, s19
	s_cbranch_execz .LBB127_43
.LBB127_97:                             ;   in Loop: Header=BB127_4 Depth=1
	v_dual_mov_b32 v0, v1 :: v_dual_mov_b32 v3, v1
	v_mov_b32_e32 v2, v1
	ds_store_b128 v159, v[0:3]
	s_wait_alu 0xfffe
	s_and_not1_saveexec_b32 s19, s19
	s_cbranch_execz .LBB127_44
.LBB127_98:                             ;   in Loop: Header=BB127_4 Depth=1
	s_lshl_b64 s[64:65], s[44:45], 4
	s_wait_alu 0xfffe
	v_add_co_u32 v2, vcc_lo, v10, s64
	s_wait_alu 0xfffd
	v_add_co_ci_u32_e64 v3, null, s65, v11, vcc_lo
	global_load_b128 v[12:15], v[2:3], off
	s_wait_loadcnt 0x0
	ds_store_2addr_b64 v159, v[12:13], v[14:15] offset1:1
	s_or_b32 exec_lo, exec_lo, s19
	s_and_saveexec_b32 s19, s16
	s_wait_alu 0xfffe
	s_xor_b32 s19, exec_lo, s19
	s_cbranch_execz .LBB127_45
.LBB127_99:                             ;   in Loop: Header=BB127_4 Depth=1
	v_dual_mov_b32 v0, v1 :: v_dual_mov_b32 v3, v1
	v_mov_b32_e32 v2, v1
	ds_store_b128 v160, v[0:3]
	s_wait_alu 0xfffe
	s_and_not1_saveexec_b32 s19, s19
	s_cbranch_execnz .LBB127_46
	s_branch .LBB127_47
.LBB127_100:                            ;   in Loop: Header=BB127_4 Depth=1
	global_load_b128 v[10:13], v[8:9], off
	s_wait_loadcnt 0x0
	ds_store_2addr_b64 v155, v[10:11], v[12:13] offset1:1
	s_or_b32 exec_lo, exec_lo, s19
	s_and_saveexec_b32 s19, s4
	s_wait_alu 0xfffe
	s_xor_b32 s19, exec_lo, s19
	s_cbranch_execz .LBB127_62
.LBB127_101:                            ;   in Loop: Header=BB127_4 Depth=1
	v_dual_mov_b32 v0, v1 :: v_dual_mov_b32 v3, v1
	v_mov_b32_e32 v2, v1
	ds_store_b128 v158, v[0:3]
	s_wait_alu 0xfffe
	s_and_not1_saveexec_b32 s19, s19
	s_cbranch_execz .LBB127_63
.LBB127_102:                            ;   in Loop: Header=BB127_4 Depth=1
	s_lshl_b64 s[64:65], s[42:43], 4
	s_wait_alu 0xfffe
	v_add_co_u32 v2, vcc_lo, v8, s64
	s_wait_alu 0xfffd
	v_add_co_ci_u32_e64 v3, null, s65, v9, vcc_lo
	global_load_b128 v[10:13], v[2:3], off
	s_wait_loadcnt 0x0
	ds_store_2addr_b64 v158, v[10:11], v[12:13] offset1:1
	s_or_b32 exec_lo, exec_lo, s19
	s_and_saveexec_b32 s19, s5
	s_wait_alu 0xfffe
	s_xor_b32 s19, exec_lo, s19
	s_cbranch_execz .LBB127_64
.LBB127_103:                            ;   in Loop: Header=BB127_4 Depth=1
	v_dual_mov_b32 v0, v1 :: v_dual_mov_b32 v3, v1
	v_mov_b32_e32 v2, v1
	ds_store_b128 v159, v[0:3]
	s_wait_alu 0xfffe
	s_and_not1_saveexec_b32 s19, s19
	s_cbranch_execz .LBB127_65
.LBB127_104:                            ;   in Loop: Header=BB127_4 Depth=1
	s_lshl_b64 s[64:65], s[44:45], 4
	s_wait_alu 0xfffe
	v_add_co_u32 v2, vcc_lo, v8, s64
	s_wait_alu 0xfffd
	v_add_co_ci_u32_e64 v3, null, s65, v9, vcc_lo
	global_load_b128 v[10:13], v[2:3], off
	s_wait_loadcnt 0x0
	ds_store_2addr_b64 v159, v[10:11], v[12:13] offset1:1
	s_or_b32 exec_lo, exec_lo, s19
	s_and_saveexec_b32 s19, s6
	s_wait_alu 0xfffe
	s_xor_b32 s19, exec_lo, s19
	s_cbranch_execz .LBB127_66
.LBB127_105:                            ;   in Loop: Header=BB127_4 Depth=1
	v_dual_mov_b32 v0, v1 :: v_dual_mov_b32 v3, v1
	v_mov_b32_e32 v2, v1
	ds_store_b128 v160, v[0:3]
	s_wait_alu 0xfffe
	s_and_not1_saveexec_b32 s19, s19
	s_cbranch_execnz .LBB127_67
	s_branch .LBB127_68
.LBB127_106:
	s_nop 0
	s_sendmsg sendmsg(MSG_DEALLOC_VGPRS)
	s_endpgm
	.section	.rodata,"a",@progbits
	.p2align	6, 0x0
	.amdhsa_kernel _ZL26rocblas_hemvn_kernel_lowerILb0ELi64ELi4ELi33ELi32ELi16EiPK19rocblas_complex_numIdES3_PS1_EviT6_lT7_lT5_lS6_lS7_lS5_lT8_i
		.amdhsa_group_segment_fixed_size 19200
		.amdhsa_private_segment_fixed_size 0
		.amdhsa_kernarg_size 376
		.amdhsa_user_sgpr_count 2
		.amdhsa_user_sgpr_dispatch_ptr 0
		.amdhsa_user_sgpr_queue_ptr 0
		.amdhsa_user_sgpr_kernarg_segment_ptr 1
		.amdhsa_user_sgpr_dispatch_id 0
		.amdhsa_user_sgpr_private_segment_size 0
		.amdhsa_wavefront_size32 1
		.amdhsa_uses_dynamic_stack 0
		.amdhsa_enable_private_segment 0
		.amdhsa_system_sgpr_workgroup_id_x 1
		.amdhsa_system_sgpr_workgroup_id_y 0
		.amdhsa_system_sgpr_workgroup_id_z 1
		.amdhsa_system_sgpr_workgroup_info 0
		.amdhsa_system_vgpr_workitem_id 1
		.amdhsa_next_free_vgpr 215
		.amdhsa_next_free_sgpr 76
		.amdhsa_reserve_vcc 1
		.amdhsa_float_round_mode_32 0
		.amdhsa_float_round_mode_16_64 0
		.amdhsa_float_denorm_mode_32 3
		.amdhsa_float_denorm_mode_16_64 3
		.amdhsa_fp16_overflow 0
		.amdhsa_workgroup_processor_mode 1
		.amdhsa_memory_ordered 1
		.amdhsa_forward_progress 1
		.amdhsa_inst_pref_size 79
		.amdhsa_round_robin_scheduling 0
		.amdhsa_exception_fp_ieee_invalid_op 0
		.amdhsa_exception_fp_denorm_src 0
		.amdhsa_exception_fp_ieee_div_zero 0
		.amdhsa_exception_fp_ieee_overflow 0
		.amdhsa_exception_fp_ieee_underflow 0
		.amdhsa_exception_fp_ieee_inexact 0
		.amdhsa_exception_int_div_zero 0
	.end_amdhsa_kernel
	.section	.text._ZL26rocblas_hemvn_kernel_lowerILb0ELi64ELi4ELi33ELi32ELi16EiPK19rocblas_complex_numIdES3_PS1_EviT6_lT7_lT5_lS6_lS7_lS5_lT8_i,"axG",@progbits,_ZL26rocblas_hemvn_kernel_lowerILb0ELi64ELi4ELi33ELi32ELi16EiPK19rocblas_complex_numIdES3_PS1_EviT6_lT7_lT5_lS6_lS7_lS5_lT8_i,comdat
.Lfunc_end127:
	.size	_ZL26rocblas_hemvn_kernel_lowerILb0ELi64ELi4ELi33ELi32ELi16EiPK19rocblas_complex_numIdES3_PS1_EviT6_lT7_lT5_lS6_lS7_lS5_lT8_i, .Lfunc_end127-_ZL26rocblas_hemvn_kernel_lowerILb0ELi64ELi4ELi33ELi32ELi16EiPK19rocblas_complex_numIdES3_PS1_EviT6_lT7_lT5_lS6_lS7_lS5_lT8_i
                                        ; -- End function
	.set _ZL26rocblas_hemvn_kernel_lowerILb0ELi64ELi4ELi33ELi32ELi16EiPK19rocblas_complex_numIdES3_PS1_EviT6_lT7_lT5_lS6_lS7_lS5_lT8_i.num_vgpr, 215
	.set _ZL26rocblas_hemvn_kernel_lowerILb0ELi64ELi4ELi33ELi32ELi16EiPK19rocblas_complex_numIdES3_PS1_EviT6_lT7_lT5_lS6_lS7_lS5_lT8_i.num_agpr, 0
	.set _ZL26rocblas_hemvn_kernel_lowerILb0ELi64ELi4ELi33ELi32ELi16EiPK19rocblas_complex_numIdES3_PS1_EviT6_lT7_lT5_lS6_lS7_lS5_lT8_i.numbered_sgpr, 76
	.set _ZL26rocblas_hemvn_kernel_lowerILb0ELi64ELi4ELi33ELi32ELi16EiPK19rocblas_complex_numIdES3_PS1_EviT6_lT7_lT5_lS6_lS7_lS5_lT8_i.num_named_barrier, 0
	.set _ZL26rocblas_hemvn_kernel_lowerILb0ELi64ELi4ELi33ELi32ELi16EiPK19rocblas_complex_numIdES3_PS1_EviT6_lT7_lT5_lS6_lS7_lS5_lT8_i.private_seg_size, 0
	.set _ZL26rocblas_hemvn_kernel_lowerILb0ELi64ELi4ELi33ELi32ELi16EiPK19rocblas_complex_numIdES3_PS1_EviT6_lT7_lT5_lS6_lS7_lS5_lT8_i.uses_vcc, 1
	.set _ZL26rocblas_hemvn_kernel_lowerILb0ELi64ELi4ELi33ELi32ELi16EiPK19rocblas_complex_numIdES3_PS1_EviT6_lT7_lT5_lS6_lS7_lS5_lT8_i.uses_flat_scratch, 0
	.set _ZL26rocblas_hemvn_kernel_lowerILb0ELi64ELi4ELi33ELi32ELi16EiPK19rocblas_complex_numIdES3_PS1_EviT6_lT7_lT5_lS6_lS7_lS5_lT8_i.has_dyn_sized_stack, 0
	.set _ZL26rocblas_hemvn_kernel_lowerILb0ELi64ELi4ELi33ELi32ELi16EiPK19rocblas_complex_numIdES3_PS1_EviT6_lT7_lT5_lS6_lS7_lS5_lT8_i.has_recursion, 0
	.set _ZL26rocblas_hemvn_kernel_lowerILb0ELi64ELi4ELi33ELi32ELi16EiPK19rocblas_complex_numIdES3_PS1_EviT6_lT7_lT5_lS6_lS7_lS5_lT8_i.has_indirect_call, 0
	.section	.AMDGPU.csdata,"",@progbits
; Kernel info:
; codeLenInByte = 10012
; TotalNumSgprs: 78
; NumVgprs: 215
; ScratchSize: 0
; MemoryBound: 0
; FloatMode: 240
; IeeeMode: 1
; LDSByteSize: 19200 bytes/workgroup (compile time only)
; SGPRBlocks: 0
; VGPRBlocks: 26
; NumSGPRsForWavesPerEU: 78
; NumVGPRsForWavesPerEU: 215
; Occupancy: 7
; WaveLimiterHint : 0
; COMPUTE_PGM_RSRC2:SCRATCH_EN: 0
; COMPUTE_PGM_RSRC2:USER_SGPR: 2
; COMPUTE_PGM_RSRC2:TRAP_HANDLER: 0
; COMPUTE_PGM_RSRC2:TGID_X_EN: 1
; COMPUTE_PGM_RSRC2:TGID_Y_EN: 0
; COMPUTE_PGM_RSRC2:TGID_Z_EN: 1
; COMPUTE_PGM_RSRC2:TIDIG_COMP_CNT: 1
	.section	.text._ZL26rocblas_hemvn_kernel_lowerILb0ELi64ELi4ELi33ELi32ELi16El19rocblas_complex_numIdEPKS1_PS1_EviT6_lT7_lT5_lS6_lS7_lS5_lT8_i,"axG",@progbits,_ZL26rocblas_hemvn_kernel_lowerILb0ELi64ELi4ELi33ELi32ELi16El19rocblas_complex_numIdEPKS1_PS1_EviT6_lT7_lT5_lS6_lS7_lS5_lT8_i,comdat
	.globl	_ZL26rocblas_hemvn_kernel_lowerILb0ELi64ELi4ELi33ELi32ELi16El19rocblas_complex_numIdEPKS1_PS1_EviT6_lT7_lT5_lS6_lS7_lS5_lT8_i ; -- Begin function _ZL26rocblas_hemvn_kernel_lowerILb0ELi64ELi4ELi33ELi32ELi16El19rocblas_complex_numIdEPKS1_PS1_EviT6_lT7_lT5_lS6_lS7_lS5_lT8_i
	.p2align	8
	.type	_ZL26rocblas_hemvn_kernel_lowerILb0ELi64ELi4ELi33ELi32ELi16El19rocblas_complex_numIdEPKS1_PS1_EviT6_lT7_lT5_lS6_lS7_lS5_lT8_i,@function
_ZL26rocblas_hemvn_kernel_lowerILb0ELi64ELi4ELi33ELi32ELi16El19rocblas_complex_numIdEPKS1_PS1_EviT6_lT7_lT5_lS6_lS7_lS5_lT8_i: ; @_ZL26rocblas_hemvn_kernel_lowerILb0ELi64ELi4ELi33ELi32ELi16El19rocblas_complex_numIdEPKS1_PS1_EviT6_lT7_lT5_lS6_lS7_lS5_lT8_i
; %bb.0:
	s_clause 0x1
	s_load_b64 s[2:3], s[0:1], 0x94
	s_load_b32 s33, s[0:1], 0x80
	s_lshr_b32 s34, ttmp7, 16
	s_wait_kmcnt 0x0
	s_lshr_b32 s4, s2, 16
	s_and_b32 s2, s2, 0xffff
	s_and_b32 s3, s3, 0xffff
	s_mul_i32 s2, s4, s2
	s_delay_alu instid0(SALU_CYCLE_1) | instskip(NEXT) | instid1(SALU_CYCLE_1)
	s_mul_i32 s2, s2, s3
	s_cmp_lg_u32 s2, 0x100
	s_cselect_b32 s2, -1, 0
	s_cmp_ge_u32 s34, s33
	s_cselect_b32 s3, -1, 0
	s_delay_alu instid0(SALU_CYCLE_1) | instskip(NEXT) | instid1(SALU_CYCLE_1)
	s_or_b32 s2, s2, s3
	s_and_b32 vcc_lo, exec_lo, s2
	s_cbranch_vccnz .LBB128_104
; %bb.1:
	s_clause 0x2
	s_load_b128 s[8:11], s[0:1], 0x8
	s_load_b32 s2, s[0:1], 0x0
	s_load_b512 s[16:31], s[0:1], 0x20
	v_bfe_u32 v13, v0, 10, 10
	s_add_nc_u64 s[14:15], s[0:1], 0x88
	s_clause 0x1
	s_load_b64 s[12:13], s[0:1], 0x78
	s_load_b128 s[4:7], s[0:1], 0x60
	v_dual_mov_b32 v2, 0 :: v_dual_and_b32 v161, 0x3ff, v0
	v_lshlrev_b32_e32 v14, 6, v13
	s_lshl_b32 s48, ttmp9, 6
	v_and_b32_e32 v1, 31, v0
	s_delay_alu instid0(VALU_DEP_3)
	v_add_nc_u32_e32 v3, s48, v161
	s_load_b32 s36, s[14:15], 0x0
	v_add_nc_u32_e32 v15, v14, v161
	s_mov_b32 s37, 0
	v_lshlrev_b32_e32 v162, 4, v161
	v_ashrrev_i32_e32 v4, 31, v3
	v_add_nc_u32_e32 v189, 0x4300, v14
	v_lshrrev_b32_e32 v12, 5, v15
	v_cmp_eq_u32_e64 s0, 0, v13
	s_wait_kmcnt 0x0
	v_cmp_neq_f64_e64 s1, s[8:9], 0
	v_cmp_neq_f64_e64 s35, s[10:11], 0
	v_mul_lo_u32 v9, s28, v4
	v_mul_lo_u32 v10, s29, v3
	v_mad_co_u64_u32 v[5:6], null, s28, v3, 0
	v_mad_co_u64_u32 v[7:8], null, s20, v12, v[1:2]
	s_ashr_i32 s3, s2, 31
	v_lshlrev_b32_e32 v17, 2, v12
	v_cmp_neq_f64_e64 s50, s[4:5], 1.0
	s_lshr_b32 s5, s3, 26
	v_add3_u32 v6, v6, v9, v10
	s_wait_alu 0xfffe
	s_add_co_i32 s5, s2, s5
	v_mad_co_u64_u32 v[9:10], null, s21, v12, v[8:9]
	s_lshl_b64 s[8:9], s[26:27], 4
	v_lshlrev_b64_e32 v[5:6], 4, v[5:6]
	s_lshl_b64 s[10:11], s[18:19], 4
	s_wait_alu 0xfffe
	s_and_not1_b32 s5, s5, 63
	v_lshlrev_b32_e32 v19, 6, v12
	v_or_b32_e32 v20, 1, v17
	v_dual_mov_b32 v8, v9 :: v_dual_lshlrev_b32 v11, 4, v1
	v_cmp_neq_f64_e64 s58, s[6:7], 0
	s_add_nc_u64 s[6:7], s[24:25], s[8:9]
	s_add_nc_u64 s[8:9], s[16:17], s[10:11]
	s_add_co_i32 s10, s36, -1
	v_lshl_or_b32 v18, v1, 9, v11
	s_mul_i32 s4, s2, ttmp9
	s_mul_u64 s[24:25], s[36:37], s[2:3]
	s_wait_alu 0xfffe
	s_sub_co_i32 s2, s2, s5
	v_add_co_u32 v165, vcc_lo, s6, v5
	v_mad_u32_u24 v164, 0x210, v12, v11
	v_add_co_ci_u32_e64 v166, null, s7, v6, vcc_lo
	v_add_nc_u32_e32 v172, v18, v19
	v_cmp_lt_u32_e64 s7, v17, v1
	s_or_b32 s35, s1, s35
	s_cmp_eq_u32 ttmp9, s10
	v_mad_u32_u24 v173, 0x840, v12, v11
	s_cselect_b32 s26, s2, 0
	v_or_b32_e32 v18, 2, v17
	v_mad_u32_u24 v175, 0x210, v20, v11
	v_or_b32_e32 v11, 3, v17
	v_mul_u32_u24_e32 v17, 33, v1
	s_cmp_eq_u32 s26, 0
	v_add_nc_u32_e32 v10, 16, v12
	s_cselect_b32 s60, -1, 0
	s_cmp_lg_u32 s26, 0
	v_cmp_lt_u32_e64 s10, v11, v1
	v_lshlrev_b32_e32 v178, 4, v17
	v_or_b32_e32 v11, 32, v1
	v_lshlrev_b32_e32 v17, 2, v13
	s_cselect_b32 s1, -1, 0
	s_ashr_i32 s5, s4, 31
	s_ashr_i32 s49, s48, 31
	v_lshlrev_b64_e32 v[5:6], 4, v[7:8]
	s_wait_alu 0xfffe
	s_lshl_b64 s[2:3], s[4:5], 4
	s_lshl_b64 s[4:5], s[48:49], 4
	s_sub_co_i32 s16, s26, 32
	v_cmp_le_i32_e32 vcc_lo, s26, v161
	s_add_nc_u64 s[38:39], s[12:13], s[2:3]
	s_wait_alu 0xfffe
	s_add_nc_u64 s[2:3], s[8:9], s[4:5]
	v_cmp_le_i32_e64 s5, s26, v10
	v_cmp_gt_i32_e64 s12, s26, v11
	v_cmp_le_i32_e64 s15, s16, v10
	v_mad_co_u64_u32 v[10:11], null, s20, v17, 0
	v_add_nc_u32_e32 v8, 8, v12
	v_cmp_lt_u32_e64 s9, v18, v1
	v_lshlrev_b32_e32 v18, 4, v12
	s_and_b32 s1, s1, vcc_lo
	v_add_co_u32 v5, vcc_lo, s2, v5
	s_mul_u64 s[18:19], s[20:21], s[48:49]
	s_wait_alu 0xfffd
	v_add_co_ci_u32_e64 v6, null, s3, v6, vcc_lo
	s_lshl_b64 s[2:3], s[18:19], 4
	v_add_nc_u32_e32 v16, 24, v12
	v_cmp_le_i32_e64 s4, s26, v8
	v_add_nc_u32_e32 v182, v178, v18
	v_cmp_le_i32_e64 s14, s16, v8
	v_mov_b32_e32 v8, v11
	s_wait_alu 0xfffe
	v_add_co_u32 v167, vcc_lo, v5, s2
	s_wait_alu 0xfffd
	v_add_co_ci_u32_e64 v168, null, s3, v6, vcc_lo
	v_sub_co_u32 v5, s3, 0, v1
	s_wait_alu 0xf1ff
	v_sub_co_ci_u32_e64 v6, null, 0, 0, s3
	v_cmp_le_i32_e64 s3, s26, v12
	v_cmp_le_i32_e64 s6, s26, v16
	;; [unrolled: 1-line block ×4, first 2 shown]
	v_cmp_eq_u32_e64 s17, 1, v12
	v_mul_i32_i24_e32 v16, 0xffffffd0, v12
	v_mad_u32_u24 v187, v12, 48, v182
	v_mad_co_u64_u32 v[11:12], null, s21, v17, v[8:9]
	v_lshrrev_b32_e32 v12, 4, v15
	v_sub_co_u32 v7, vcc_lo, 0, v7
	v_and_b32_e32 v17, 15, v0
	s_wait_alu 0xfffd
	v_sub_co_ci_u32_e64 v8, null, 0, v9, vcc_lo
	v_and_b32_e32 v0, 48, v0
	v_lshlrev_b32_e32 v9, 6, v12
	v_add_nc_u32_e32 v181, 0x4700, v19
	v_add_nc_u32_e32 v183, v178, v19
	v_or_b32_e32 v14, 0xf0, v162
	v_lshlrev_b32_e32 v0, 4, v0
	v_mad_u32_u24 v191, 0x430, v17, v9
	v_mul_i32_i24_e32 v9, 0xffffffd0, v12
	s_lshl_b64 s[40:41], s[20:21], 7
	s_lshl_b64 s[42:43], s[20:21], 8
	s_ashr_i32 s27, s26, 31
	s_lshl_b64 s[46:47], s[20:21], 5
	s_xor_b32 s36, s1, -1
	s_mul_u64 s[48:49], s[28:29], s[48:49]
	s_cmp_gt_i32 ttmp9, 0
	v_lshlrev_b64_e32 v[153:154], 4, v[5:6]
	v_lshlrev_b64_e32 v[155:156], 4, v[7:8]
	;; [unrolled: 1-line block ×4, first 2 shown]
	v_add_nc_u32_e32 v163, 0x4700, v162
	v_add_nc_u32_e32 v169, 0x1080, v164
	;; [unrolled: 1-line block ×4, first 2 shown]
	v_cmp_gt_i32_e64 s2, s26, v1
	v_cmp_lt_u32_e64 s8, v20, v1
	v_add_nc_u32_e32 v174, 16, v172
	v_add_nc_u32_e32 v176, 32, v172
	;; [unrolled: 1-line block ×5, first 2 shown]
	v_cmp_gt_u32_e64 s11, 32, v15
	v_add_nc_u32_e32 v184, 16, v183
	v_add_nc_u32_e32 v185, 32, v183
	;; [unrolled: 1-line block ×3, first 2 shown]
	s_sub_nc_u64 s[56:57], 0, s[18:19]
	v_add_nc_u32_e32 v188, 0x4300, v162
	v_mad_u32_u24 v190, 0x10c0, v13, v162
	v_cmp_gt_u32_e64 s18, 64, v15
	v_mad_u32_u24 v192, 0x430, v17, v0
	v_mad_u32_u24 v193, 0x430, v17, v14
	;; [unrolled: 1-line block ×3, first 2 shown]
	v_cndmask_b32_e64 v195, 0, 1, s35
	v_add_nc_u32_e32 v196, 0x4700, v18
	v_add_nc_u32_e32 v197, v181, v16
	;; [unrolled: 1-line block ×3, first 2 shown]
	v_lshlrev_b32_e32 v199, 4, v1
	s_sub_nc_u64 s[52:53], 0, s[46:47]
	s_wait_alu 0xfffe
	s_sub_nc_u64 s[54:55], 0, s[48:49]
	s_cselect_b32 s61, -1, 0
	s_or_b32 s35, s35, s50
	s_mul_u64 s[44:45], s[20:21], 0x180
	s_and_b32 s19, s0, s36
	s_sub_nc_u64 s[48:49], 0, s[26:27]
	s_lshl_b64 s[50:51], s[20:21], 4
	s_mul_u64 s[20:21], s[20:21], 0xd0
	s_wait_alu 0xfffe
	s_or_b32 s62, s35, s58
	s_lshl_b64 s[52:53], s[52:53], 4
	s_lshl_b64 s[54:55], s[54:55], 4
	;; [unrolled: 1-line block ×3, first 2 shown]
	s_branch .LBB128_4
.LBB128_2:                              ;   in Loop: Header=BB128_4 Depth=1
	s_wait_alu 0xfffe
	s_or_b32 exec_lo, exec_lo, s35
.LBB128_3:                              ;   in Loop: Header=BB128_4 Depth=1
	s_add_co_i32 s34, s34, 0x10000
	s_wait_alu 0xfffe
	s_cmp_lt_u32 s34, s33
	s_cbranch_scc0 .LBB128_104
.LBB128_4:                              ; =>This Loop Header: Depth=1
                                        ;     Child Loop BB128_74 Depth 2
	s_and_not1_b32 vcc_lo, exec_lo, s62
	s_wait_alu 0xfffe
	s_cbranch_vccnz .LBB128_3
; %bb.5:                                ;   in Loop: Header=BB128_4 Depth=1
	v_cmp_ne_u32_e32 vcc_lo, 1, v195
	s_cbranch_vccnz .LBB128_3
; %bb.6:                                ;   in Loop: Header=BB128_4 Depth=1
	s_mov_b32 s35, s37
	s_wait_alu 0xfffe
	s_mul_u64 s[58:59], s[30:31], s[34:35]
	s_wait_alu 0xfffe
	s_lshl_b64 s[58:59], s[58:59], 4
	s_wait_alu 0xfffe
	v_add_co_u32 v41, vcc_lo, v165, s58
	s_wait_alu 0xfffd
	v_add_co_ci_u32_e64 v42, null, s59, v166, vcc_lo
	s_and_saveexec_b32 s36, s0
	s_cbranch_execz .LBB128_11
; %bb.7:                                ;   in Loop: Header=BB128_4 Depth=1
	s_and_saveexec_b32 s58, s1
	s_wait_alu 0xfffe
	s_xor_b32 s58, exec_lo, s58
; %bb.8:                                ;   in Loop: Header=BB128_4 Depth=1
	v_dual_mov_b32 v1, v2 :: v_dual_mov_b32 v4, v2
	v_mov_b32_e32 v3, v2
	ds_store_b128 v163, v[1:4]
; %bb.9:                                ;   in Loop: Header=BB128_4 Depth=1
	s_wait_alu 0xfffe
	s_and_not1_saveexec_b32 s58, s58
	s_cbranch_execz .LBB128_11
; %bb.10:                               ;   in Loop: Header=BB128_4 Depth=1
	global_load_b128 v[3:6], v[41:42], off
	s_wait_loadcnt 0x0
	ds_store_2addr_b64 v163, v[3:4], v[5:6] offset1:1
.LBB128_11:                             ;   in Loop: Header=BB128_4 Depth=1
	s_wait_alu 0xfffe
	s_or_b32 exec_lo, exec_lo, s36
	s_mul_u64 s[58:59], s[22:23], s[34:35]
	s_mov_b32 s36, -1
	s_wait_alu 0xfffe
	s_lshl_b64 s[58:59], s[58:59], 4
	s_wait_alu 0xfffe
	v_add_co_u32 v9, vcc_lo, v167, s58
	s_wait_alu 0xfffd
	v_add_co_ci_u32_e64 v10, null, s59, v168, vcc_lo
	s_and_not1_b32 vcc_lo, exec_lo, s60
	s_wait_alu 0xfffe
	s_cbranch_vccnz .LBB128_13
; %bb.12:                               ;   in Loop: Header=BB128_4 Depth=1
	v_add_co_u32 v0, vcc_lo, v9, s40
	s_wait_alu 0xfffd
	v_add_co_ci_u32_e64 v1, null, s41, v10, vcc_lo
	s_mov_b32 s36, 0
	v_add_co_u32 v7, vcc_lo, v0, s40
	s_wait_alu 0xfffd
	v_add_co_ci_u32_e64 v8, null, s41, v1, vcc_lo
	s_delay_alu instid0(VALU_DEP_2) | instskip(SKIP_1) | instid1(VALU_DEP_2)
	v_add_co_u32 v19, vcc_lo, v7, s40
	s_wait_alu 0xfffd
	v_add_co_ci_u32_e64 v20, null, s41, v8, vcc_lo
	s_clause 0x3
	global_load_b128 v[3:6], v[9:10], off
	global_load_b128 v[11:14], v[0:1], off
	;; [unrolled: 1-line block ×4, first 2 shown]
	s_wait_loadcnt 0x3
	ds_store_2addr_b64 v164, v[3:4], v[5:6] offset1:1
	s_wait_loadcnt 0x2
	ds_store_2addr_b64 v169, v[11:12], v[13:14] offset1:1
	;; [unrolled: 2-line block ×4, first 2 shown]
.LBB128_13:                             ;   in Loop: Header=BB128_4 Depth=1
	s_wait_alu 0xfffe
	s_and_not1_b32 vcc_lo, exec_lo, s36
	s_wait_alu 0xfffe
	s_cbranch_vccnz .LBB128_25
; %bb.14:                               ;   in Loop: Header=BB128_4 Depth=1
	s_and_saveexec_b32 s36, s3
	s_wait_alu 0xfffe
	s_xor_b32 s36, exec_lo, s36
; %bb.15:                               ;   in Loop: Header=BB128_4 Depth=1
	v_dual_mov_b32 v1, v2 :: v_dual_mov_b32 v4, v2
	v_mov_b32_e32 v3, v2
	ds_store_b128 v164, v[1:4]
; %bb.16:                               ;   in Loop: Header=BB128_4 Depth=1
	s_wait_alu 0xfffe
	s_or_saveexec_b32 s36, s36
	v_add_co_u32 v0, vcc_lo, v9, v153
	s_wait_alu 0xfffd
	v_add_co_ci_u32_e64 v1, null, v10, v154, vcc_lo
	s_lshl_b64 s[58:59], s[26:27], 4
	s_wait_alu 0xfffe
	v_add_co_u32 v0, vcc_lo, v0, s58
	s_wait_alu 0xfffd
	v_add_co_ci_u32_e64 v1, null, s59, v1, vcc_lo
	s_delay_alu instid0(VALU_DEP_2) | instskip(SKIP_1) | instid1(VALU_DEP_2)
	v_add_co_u32 v0, vcc_lo, v0, -16
	s_wait_alu 0xfffd
	v_add_co_ci_u32_e64 v1, null, -1, v1, vcc_lo
	s_delay_alu instid0(VALU_DEP_2) | instskip(NEXT) | instid1(VALU_DEP_2)
	v_cndmask_b32_e64 v5, v0, v9, s2
	v_cndmask_b32_e64 v6, v1, v10, s2
	s_xor_b32 exec_lo, exec_lo, s36
	s_cbranch_execnz .LBB128_86
; %bb.17:                               ;   in Loop: Header=BB128_4 Depth=1
	s_or_b32 exec_lo, exec_lo, s36
	s_and_saveexec_b32 s36, s4
	s_wait_alu 0xfffe
	s_xor_b32 s36, exec_lo, s36
	s_cbranch_execnz .LBB128_87
.LBB128_18:                             ;   in Loop: Header=BB128_4 Depth=1
	s_wait_alu 0xfffe
	s_and_not1_saveexec_b32 s36, s36
	s_cbranch_execnz .LBB128_88
.LBB128_19:                             ;   in Loop: Header=BB128_4 Depth=1
	s_wait_alu 0xfffe
	s_or_b32 exec_lo, exec_lo, s36
	s_and_saveexec_b32 s36, s5
	s_wait_alu 0xfffe
	s_xor_b32 s36, exec_lo, s36
	s_cbranch_execnz .LBB128_89
.LBB128_20:                             ;   in Loop: Header=BB128_4 Depth=1
	s_wait_alu 0xfffe
	s_and_not1_saveexec_b32 s36, s36
	s_cbranch_execnz .LBB128_90
.LBB128_21:                             ;   in Loop: Header=BB128_4 Depth=1
	s_wait_alu 0xfffe
	s_or_b32 exec_lo, exec_lo, s36
	s_and_saveexec_b32 s36, s6
	s_wait_alu 0xfffe
	s_xor_b32 s36, exec_lo, s36
	s_cbranch_execnz .LBB128_91
.LBB128_22:                             ;   in Loop: Header=BB128_4 Depth=1
	s_wait_alu 0xfffe
	s_and_not1_saveexec_b32 s36, s36
	s_cbranch_execz .LBB128_24
.LBB128_23:                             ;   in Loop: Header=BB128_4 Depth=1
	v_add_co_u32 v0, vcc_lo, v5, s44
	s_wait_alu 0xfffd
	v_add_co_ci_u32_e64 v1, null, s45, v6, vcc_lo
	global_load_b128 v[11:14], v[0:1], off
	s_wait_loadcnt 0x0
	ds_store_2addr_b64 v171, v[11:12], v[13:14] offset1:1
.LBB128_24:                             ;   in Loop: Header=BB128_4 Depth=1
	s_wait_alu 0xfffe
	s_or_b32 exec_lo, exec_lo, s36
	v_add_co_u32 v0, vcc_lo, v5, v199
	s_wait_alu 0xfffd
	v_add_co_ci_u32_e64 v1, null, 0, v6, vcc_lo
	s_lshl_b64 s[58:59], s[48:49], 4
	s_wait_alu 0xfffe
	v_add_co_u32 v0, vcc_lo, v0, s58
	s_wait_alu 0xfffd
	v_add_co_ci_u32_e64 v1, null, s59, v1, vcc_lo
	s_delay_alu instid0(VALU_DEP_2) | instskip(SKIP_1) | instid1(VALU_DEP_2)
	v_add_co_u32 v0, vcc_lo, v0, 16
	s_wait_alu 0xfffd
	v_add_co_ci_u32_e64 v1, null, 0, v1, vcc_lo
	s_delay_alu instid0(VALU_DEP_2) | instskip(NEXT) | instid1(VALU_DEP_2)
	v_cndmask_b32_e64 v9, v0, v9, s2
	v_cndmask_b32_e64 v10, v1, v10, s2
.LBB128_25:                             ;   in Loop: Header=BB128_4 Depth=1
	s_wait_dscnt 0x0
	s_barrier_signal -1
	s_barrier_wait -1
	global_inv scope:SCOPE_SE
	s_and_saveexec_b32 s36, s7
	s_cbranch_execnz .LBB128_80
; %bb.26:                               ;   in Loop: Header=BB128_4 Depth=1
	s_wait_alu 0xfffe
	s_or_b32 exec_lo, exec_lo, s36
	s_and_saveexec_b32 s36, s8
	s_cbranch_execnz .LBB128_81
.LBB128_27:                             ;   in Loop: Header=BB128_4 Depth=1
	s_wait_alu 0xfffe
	s_or_b32 exec_lo, exec_lo, s36
	s_and_saveexec_b32 s36, s9
	s_cbranch_execnz .LBB128_82
.LBB128_28:                             ;   in Loop: Header=BB128_4 Depth=1
	s_wait_alu 0xfffe
	s_or_b32 exec_lo, exec_lo, s36
	s_and_saveexec_b32 s36, s10
	s_cbranch_execz .LBB128_30
.LBB128_29:                             ;   in Loop: Header=BB128_4 Depth=1
	ds_load_b128 v[3:6], v180
	s_wait_dscnt 0x0
	ds_store_b128 v179, v[3:6]
.LBB128_30:                             ;   in Loop: Header=BB128_4 Depth=1
	s_wait_alu 0xfffe
	s_or_b32 exec_lo, exec_lo, s36
	s_wait_loadcnt_dscnt 0x0
	s_barrier_signal -1
	s_barrier_wait -1
	global_inv scope:SCOPE_SE
	ds_load_b128 v[3:6], v173
	ds_load_b128 v[11:14], v181
	ds_load_b128 v[15:18], v181 offset:16
	ds_load_b128 v[19:22], v175
	s_wait_dscnt 0x2
	v_mul_f64_e32 v[0:1], v[13:14], v[5:6]
	v_mul_f64_e32 v[5:6], v[11:12], v[5:6]
	s_wait_dscnt 0x0
	v_mul_f64_e32 v[7:8], v[17:18], v[21:22]
	v_mul_f64_e32 v[29:30], v[15:16], v[21:22]
	s_delay_alu instid0(VALU_DEP_4) | instskip(NEXT) | instid1(VALU_DEP_4)
	v_fma_f64 v[0:1], v[11:12], v[3:4], -v[0:1]
	v_fma_f64 v[31:32], v[13:14], v[3:4], v[5:6]
	ds_load_b128 v[3:6], v177
	ds_load_b128 v[11:14], v181 offset:32
	ds_load_b128 v[21:24], v181 offset:48
	ds_load_b128 v[25:28], v180
	v_fma_f64 v[7:8], v[15:16], v[19:20], -v[7:8]
	v_fma_f64 v[15:16], v[17:18], v[19:20], v[29:30]
	s_wait_loadcnt_dscnt 0x0
	s_barrier_signal -1
	s_barrier_wait -1
	global_inv scope:SCOPE_SE
	v_mul_f64_e32 v[33:34], v[13:14], v[5:6]
	v_mul_f64_e32 v[5:6], v[11:12], v[5:6]
	v_mul_f64_e32 v[19:20], v[23:24], v[27:28]
	v_mul_f64_e32 v[27:28], v[21:22], v[27:28]
	v_add_f64_e32 v[0:1], 0, v[0:1]
	v_add_f64_e32 v[17:18], 0, v[31:32]
	v_fma_f64 v[11:12], v[11:12], v[3:4], -v[33:34]
	v_fma_f64 v[3:4], v[13:14], v[3:4], v[5:6]
	v_fma_f64 v[13:14], v[23:24], v[25:26], v[27:28]
	v_add_f64_e32 v[0:1], v[0:1], v[7:8]
	v_add_f64_e32 v[5:6], v[17:18], v[15:16]
	v_fma_f64 v[7:8], v[21:22], v[25:26], -v[19:20]
	s_delay_alu instid0(VALU_DEP_3) | instskip(NEXT) | instid1(VALU_DEP_3)
	v_add_f64_e32 v[0:1], v[0:1], v[11:12]
	v_add_f64_e32 v[3:4], v[5:6], v[3:4]
	v_mov_b32_e32 v5, 0
	v_mov_b32_e32 v6, 0
	s_delay_alu instid0(VALU_DEP_4) | instskip(NEXT) | instid1(VALU_DEP_4)
	v_add_f64_e32 v[11:12], v[0:1], v[7:8]
	v_add_f64_e32 v[13:14], v[3:4], v[13:14]
	v_mov_b32_e32 v7, 0
	v_mov_b32_e32 v8, 0
	ds_store_b128 v182, v[11:14]
	s_wait_loadcnt_dscnt 0x0
	s_barrier_signal -1
	s_barrier_wait -1
	global_inv scope:SCOPE_SE
	s_and_saveexec_b32 s36, s11
	s_cbranch_execz .LBB128_32
; %bb.31:                               ;   in Loop: Header=BB128_4 Depth=1
	ds_load_b128 v[3:6], v178
	ds_load_b128 v[11:14], v178 offset:16
	s_wait_dscnt 0x0
	v_add_f64_e32 v[0:1], v[11:12], v[3:4]
	v_add_f64_e32 v[7:8], v[13:14], v[5:6]
	ds_load_b128 v[3:6], v178 offset:32
	ds_load_b128 v[11:14], v178 offset:48
	s_wait_dscnt 0x1
	v_add_f64_e32 v[0:1], v[0:1], v[3:4]
	v_add_f64_e32 v[3:4], v[7:8], v[5:6]
	s_wait_dscnt 0x0
	s_delay_alu instid0(VALU_DEP_2) | instskip(NEXT) | instid1(VALU_DEP_2)
	v_add_f64_e32 v[0:1], v[0:1], v[11:12]
	v_add_f64_e32 v[7:8], v[3:4], v[13:14]
	ds_load_b128 v[3:6], v178 offset:64
	ds_load_b128 v[11:14], v178 offset:80
	s_wait_dscnt 0x1
	v_add_f64_e32 v[0:1], v[0:1], v[3:4]
	v_add_f64_e32 v[3:4], v[7:8], v[5:6]
	s_wait_dscnt 0x0
	s_delay_alu instid0(VALU_DEP_2) | instskip(NEXT) | instid1(VALU_DEP_2)
	;; [unrolled: 9-line block ×3, first 2 shown]
	v_add_f64_e32 v[5:6], v[0:1], v[11:12]
	v_add_f64_e32 v[7:8], v[3:4], v[13:14]
.LBB128_32:                             ;   in Loop: Header=BB128_4 Depth=1
	s_wait_alu 0xfffe
	s_or_b32 exec_lo, exec_lo, s36
	s_lshl_b64 s[58:59], s[46:47], 4
	s_mov_b32 s36, -1
	s_wait_alu 0xfffe
	v_add_co_u32 v0, vcc_lo, v9, s58
	s_wait_alu 0xfffd
	v_add_co_ci_u32_e64 v11, null, s59, v10, vcc_lo
	s_wait_loadcnt 0x0
	s_delay_alu instid0(VALU_DEP_2) | instskip(SKIP_1) | instid1(VALU_DEP_2)
	v_add_co_u32 v9, vcc_lo, 0x200, v0
	s_wait_alu 0xfffd
	v_add_co_ci_u32_e64 v10, null, 0, v11, vcc_lo
	s_and_not1_b32 vcc_lo, exec_lo, s60
	s_barrier_signal -1
	s_barrier_wait -1
	global_inv scope:SCOPE_SE
	s_wait_alu 0xfffe
	s_cbranch_vccnz .LBB128_34
; %bb.33:                               ;   in Loop: Header=BB128_4 Depth=1
	v_add_co_u32 v3, vcc_lo, v0, s40
	s_wait_alu 0xfffd
	v_add_co_ci_u32_e64 v4, null, s41, v11, vcc_lo
	s_mov_b32 s36, 0
	v_add_co_u32 v20, vcc_lo, v3, s40
	s_wait_alu 0xfffd
	v_add_co_ci_u32_e64 v21, null, s41, v4, vcc_lo
	s_delay_alu instid0(VALU_DEP_2) | instskip(SKIP_1) | instid1(VALU_DEP_2)
	v_add_co_u32 v24, vcc_lo, v20, s40
	s_wait_alu 0xfffd
	v_add_co_ci_u32_e64 v25, null, s41, v21, vcc_lo
	s_clause 0x3
	global_load_b128 v[12:15], v[9:10], off
	global_load_b128 v[16:19], v[3:4], off offset:512
	global_load_b128 v[20:23], v[20:21], off offset:512
	;; [unrolled: 1-line block ×3, first 2 shown]
	s_wait_loadcnt 0x3
	ds_store_2addr_b64 v164, v[12:13], v[14:15] offset1:1
	s_wait_loadcnt 0x2
	ds_store_2addr_b64 v169, v[16:17], v[18:19] offset1:1
	;; [unrolled: 2-line block ×4, first 2 shown]
.LBB128_34:                             ;   in Loop: Header=BB128_4 Depth=1
	s_wait_alu 0xfffe
	s_and_not1_b32 vcc_lo, exec_lo, s36
	s_wait_alu 0xfffe
	s_cbranch_vccnz .LBB128_46
; %bb.35:                               ;   in Loop: Header=BB128_4 Depth=1
	s_and_saveexec_b32 s36, s13
	s_wait_alu 0xfffe
	s_xor_b32 s36, exec_lo, s36
; %bb.36:                               ;   in Loop: Header=BB128_4 Depth=1
	v_dual_mov_b32 v1, v2 :: v_dual_mov_b32 v4, v2
	v_mov_b32_e32 v3, v2
	ds_store_b128 v164, v[1:4]
; %bb.37:                               ;   in Loop: Header=BB128_4 Depth=1
	s_wait_alu 0xfffe
	s_or_saveexec_b32 s36, s36
	v_add_co_u32 v0, vcc_lo, v0, v153
	s_wait_alu 0xfffd
	v_add_co_ci_u32_e64 v1, null, v11, v154, vcc_lo
	s_lshl_b64 s[58:59], s[26:27], 4
	s_wait_alu 0xfffe
	v_add_co_u32 v0, vcc_lo, v0, s58
	s_wait_alu 0xfffd
	v_add_co_ci_u32_e64 v1, null, s59, v1, vcc_lo
	s_delay_alu instid0(VALU_DEP_2) | instskip(SKIP_1) | instid1(VALU_DEP_2)
	v_add_co_u32 v0, vcc_lo, v0, -16
	s_wait_alu 0xfffd
	v_add_co_ci_u32_e64 v1, null, -1, v1, vcc_lo
	s_delay_alu instid0(VALU_DEP_2) | instskip(NEXT) | instid1(VALU_DEP_2)
	v_cndmask_b32_e64 v11, v0, v9, s12
	v_cndmask_b32_e64 v12, v1, v10, s12
	s_xor_b32 exec_lo, exec_lo, s36
	s_cbranch_execnz .LBB128_92
; %bb.38:                               ;   in Loop: Header=BB128_4 Depth=1
	s_or_b32 exec_lo, exec_lo, s36
	s_and_saveexec_b32 s36, s14
	s_wait_alu 0xfffe
	s_xor_b32 s36, exec_lo, s36
	s_cbranch_execnz .LBB128_93
.LBB128_39:                             ;   in Loop: Header=BB128_4 Depth=1
	s_wait_alu 0xfffe
	s_and_not1_saveexec_b32 s36, s36
	s_cbranch_execnz .LBB128_94
.LBB128_40:                             ;   in Loop: Header=BB128_4 Depth=1
	s_wait_alu 0xfffe
	s_or_b32 exec_lo, exec_lo, s36
	s_and_saveexec_b32 s36, s15
	s_wait_alu 0xfffe
	s_xor_b32 s36, exec_lo, s36
	s_cbranch_execnz .LBB128_95
.LBB128_41:                             ;   in Loop: Header=BB128_4 Depth=1
	s_wait_alu 0xfffe
	s_and_not1_saveexec_b32 s36, s36
	s_cbranch_execnz .LBB128_96
.LBB128_42:                             ;   in Loop: Header=BB128_4 Depth=1
	s_wait_alu 0xfffe
	s_or_b32 exec_lo, exec_lo, s36
	s_and_saveexec_b32 s36, s16
	s_wait_alu 0xfffe
	s_xor_b32 s36, exec_lo, s36
	s_cbranch_execnz .LBB128_97
.LBB128_43:                             ;   in Loop: Header=BB128_4 Depth=1
	s_wait_alu 0xfffe
	s_and_not1_saveexec_b32 s36, s36
	s_cbranch_execz .LBB128_45
.LBB128_44:                             ;   in Loop: Header=BB128_4 Depth=1
	v_add_co_u32 v0, vcc_lo, v11, s44
	s_wait_alu 0xfffd
	v_add_co_ci_u32_e64 v1, null, s45, v12, vcc_lo
	global_load_b128 v[13:16], v[0:1], off
	s_wait_loadcnt 0x0
	ds_store_2addr_b64 v171, v[13:14], v[15:16] offset1:1
.LBB128_45:                             ;   in Loop: Header=BB128_4 Depth=1
	s_wait_alu 0xfffe
	s_or_b32 exec_lo, exec_lo, s36
	v_add_co_u32 v0, vcc_lo, v11, v199
	s_wait_alu 0xfffd
	v_add_co_ci_u32_e64 v1, null, 0, v12, vcc_lo
	s_lshl_b64 s[58:59], s[48:49], 4
	s_wait_alu 0xfffe
	v_add_co_u32 v0, vcc_lo, v0, s58
	s_wait_alu 0xfffd
	v_add_co_ci_u32_e64 v1, null, s59, v1, vcc_lo
	s_delay_alu instid0(VALU_DEP_2) | instskip(SKIP_1) | instid1(VALU_DEP_2)
	v_add_co_u32 v0, vcc_lo, 0x210, v0
	s_wait_alu 0xfffd
	v_add_co_ci_u32_e64 v1, null, 0, v1, vcc_lo
	s_delay_alu instid0(VALU_DEP_2) | instskip(NEXT) | instid1(VALU_DEP_2)
	v_cndmask_b32_e64 v9, v0, v9, s12
	v_cndmask_b32_e64 v10, v1, v10, s12
.LBB128_46:                             ;   in Loop: Header=BB128_4 Depth=1
	s_wait_loadcnt_dscnt 0x0
	s_barrier_signal -1
	s_barrier_wait -1
	global_inv scope:SCOPE_SE
	s_and_saveexec_b32 s36, s7
	s_cbranch_execnz .LBB128_83
; %bb.47:                               ;   in Loop: Header=BB128_4 Depth=1
	s_wait_alu 0xfffe
	s_or_b32 exec_lo, exec_lo, s36
	s_and_saveexec_b32 s36, s8
	s_cbranch_execnz .LBB128_84
.LBB128_48:                             ;   in Loop: Header=BB128_4 Depth=1
	s_wait_alu 0xfffe
	s_or_b32 exec_lo, exec_lo, s36
	s_and_saveexec_b32 s36, s9
	s_cbranch_execnz .LBB128_85
.LBB128_49:                             ;   in Loop: Header=BB128_4 Depth=1
	s_wait_alu 0xfffe
	s_or_b32 exec_lo, exec_lo, s36
	s_and_saveexec_b32 s36, s10
	s_cbranch_execz .LBB128_51
.LBB128_50:                             ;   in Loop: Header=BB128_4 Depth=1
	ds_load_b128 v[11:14], v180
	s_wait_dscnt 0x0
	ds_store_b128 v186, v[11:14]
.LBB128_51:                             ;   in Loop: Header=BB128_4 Depth=1
	s_wait_alu 0xfffe
	s_or_b32 exec_lo, exec_lo, s36
	s_wait_loadcnt_dscnt 0x0
	s_barrier_signal -1
	s_barrier_wait -1
	global_inv scope:SCOPE_SE
	ds_load_b128 v[11:14], v173
	ds_load_b128 v[15:18], v181 offset:512
	ds_load_b128 v[19:22], v181 offset:528
	ds_load_b128 v[23:26], v175
	s_wait_dscnt 0x2
	v_mul_f64_e32 v[0:1], v[17:18], v[13:14]
	v_mul_f64_e32 v[3:4], v[15:16], v[13:14]
	s_wait_dscnt 0x0
	v_mul_f64_e32 v[33:34], v[21:22], v[25:26]
	v_mul_f64_e32 v[35:36], v[19:20], v[25:26]
	s_delay_alu instid0(VALU_DEP_4) | instskip(NEXT) | instid1(VALU_DEP_4)
	v_fma_f64 v[0:1], v[15:16], v[11:12], -v[0:1]
	v_fma_f64 v[3:4], v[17:18], v[11:12], v[3:4]
	ds_load_b128 v[11:14], v177
	ds_load_b128 v[15:18], v181 offset:544
	ds_load_b128 v[25:28], v181 offset:560
	ds_load_b128 v[29:32], v180
	v_fma_f64 v[19:20], v[19:20], v[23:24], -v[33:34]
	v_fma_f64 v[21:22], v[21:22], v[23:24], v[35:36]
	s_wait_loadcnt_dscnt 0x0
	s_barrier_signal -1
	s_barrier_wait -1
	global_inv scope:SCOPE_SE
	v_mul_f64_e32 v[37:38], v[17:18], v[13:14]
	v_mul_f64_e32 v[13:14], v[15:16], v[13:14]
	;; [unrolled: 1-line block ×4, first 2 shown]
	v_add_f64_e32 v[0:1], 0, v[0:1]
	v_add_f64_e32 v[3:4], 0, v[3:4]
	v_fma_f64 v[15:16], v[15:16], v[11:12], -v[37:38]
	v_fma_f64 v[11:12], v[17:18], v[11:12], v[13:14]
	v_fma_f64 v[13:14], v[25:26], v[29:30], -v[23:24]
	v_fma_f64 v[17:18], v[27:28], v[29:30], v[31:32]
	v_add_f64_e32 v[0:1], v[0:1], v[19:20]
	v_add_f64_e32 v[3:4], v[3:4], v[21:22]
	s_delay_alu instid0(VALU_DEP_2) | instskip(NEXT) | instid1(VALU_DEP_2)
	v_add_f64_e32 v[0:1], v[0:1], v[15:16]
	v_add_f64_e32 v[3:4], v[3:4], v[11:12]
	s_delay_alu instid0(VALU_DEP_2) | instskip(NEXT) | instid1(VALU_DEP_2)
	v_add_f64_e32 v[11:12], v[0:1], v[13:14]
	v_add_f64_e32 v[13:14], v[3:4], v[17:18]
	ds_store_b128 v182, v[11:14]
	s_wait_loadcnt_dscnt 0x0
	s_barrier_signal -1
	s_barrier_wait -1
	global_inv scope:SCOPE_SE
	s_and_saveexec_b32 s36, s17
	s_cbranch_execz .LBB128_53
; %bb.52:                               ;   in Loop: Header=BB128_4 Depth=1
	ds_load_b128 v[3:6], v178
	ds_load_b128 v[11:14], v178 offset:16
	s_wait_dscnt 0x0
	v_add_f64_e32 v[0:1], v[11:12], v[3:4]
	v_add_f64_e32 v[7:8], v[13:14], v[5:6]
	ds_load_b128 v[3:6], v178 offset:32
	ds_load_b128 v[11:14], v178 offset:48
	s_wait_dscnt 0x1
	v_add_f64_e32 v[0:1], v[0:1], v[3:4]
	v_add_f64_e32 v[3:4], v[7:8], v[5:6]
	s_wait_dscnt 0x0
	s_delay_alu instid0(VALU_DEP_2) | instskip(NEXT) | instid1(VALU_DEP_2)
	v_add_f64_e32 v[0:1], v[0:1], v[11:12]
	v_add_f64_e32 v[7:8], v[3:4], v[13:14]
	ds_load_b128 v[3:6], v178 offset:64
	ds_load_b128 v[11:14], v178 offset:80
	s_wait_dscnt 0x1
	v_add_f64_e32 v[0:1], v[0:1], v[3:4]
	v_add_f64_e32 v[3:4], v[7:8], v[5:6]
	s_wait_dscnt 0x0
	s_delay_alu instid0(VALU_DEP_2) | instskip(NEXT) | instid1(VALU_DEP_2)
	;; [unrolled: 9-line block ×3, first 2 shown]
	v_add_f64_e32 v[5:6], v[0:1], v[11:12]
	v_add_f64_e32 v[7:8], v[3:4], v[13:14]
.LBB128_53:                             ;   in Loop: Header=BB128_4 Depth=1
	s_wait_alu 0xfffe
	s_or_b32 exec_lo, exec_lo, s36
	v_add_co_u32 v43, vcc_lo, v9, s52
	s_wait_alu 0xfffd
	v_add_co_ci_u32_e64 v44, null, s53, v10, vcc_lo
	s_and_not1_b32 vcc_lo, exec_lo, s60
	s_mov_b32 s36, -1
	s_wait_loadcnt 0x0
	s_barrier_signal -1
	s_barrier_wait -1
	global_inv scope:SCOPE_SE
	s_wait_alu 0xfffe
	s_cbranch_vccnz .LBB128_55
; %bb.54:                               ;   in Loop: Header=BB128_4 Depth=1
	v_add_co_u32 v0, vcc_lo, v43, s40
	s_wait_alu 0xfffd
	v_add_co_ci_u32_e64 v1, null, s41, v44, vcc_lo
	s_mov_b32 s36, 0
	v_add_co_u32 v3, vcc_lo, v0, s40
	s_wait_alu 0xfffd
	v_add_co_ci_u32_e64 v4, null, s41, v1, vcc_lo
	s_delay_alu instid0(VALU_DEP_2) | instskip(SKIP_1) | instid1(VALU_DEP_2)
	v_add_co_u32 v21, vcc_lo, v3, s40
	s_wait_alu 0xfffd
	v_add_co_ci_u32_e64 v22, null, s41, v4, vcc_lo
	s_clause 0x3
	global_load_b128 v[9:12], v[43:44], off
	global_load_b128 v[13:16], v[0:1], off
	;; [unrolled: 1-line block ×4, first 2 shown]
	s_wait_loadcnt 0x3
	ds_store_2addr_b64 v164, v[9:10], v[11:12] offset1:1
	s_wait_loadcnt 0x2
	ds_store_2addr_b64 v169, v[13:14], v[15:16] offset1:1
	;; [unrolled: 2-line block ×4, first 2 shown]
.LBB128_55:                             ;   in Loop: Header=BB128_4 Depth=1
	s_wait_alu 0xfffe
	s_and_not1_b32 vcc_lo, exec_lo, s36
	s_wait_alu 0xfffe
	s_cbranch_vccnz .LBB128_67
; %bb.56:                               ;   in Loop: Header=BB128_4 Depth=1
	s_and_saveexec_b32 s36, s3
	s_wait_alu 0xfffe
	s_xor_b32 s36, exec_lo, s36
; %bb.57:                               ;   in Loop: Header=BB128_4 Depth=1
	v_dual_mov_b32 v1, v2 :: v_dual_mov_b32 v4, v2
	v_mov_b32_e32 v3, v2
	ds_store_b128 v164, v[1:4]
; %bb.58:                               ;   in Loop: Header=BB128_4 Depth=1
	s_wait_alu 0xfffe
	s_or_saveexec_b32 s36, s36
	v_add_co_u32 v0, vcc_lo, v43, v153
	s_wait_alu 0xfffd
	v_add_co_ci_u32_e64 v1, null, v44, v154, vcc_lo
	s_lshl_b64 s[58:59], s[26:27], 4
	s_wait_alu 0xfffe
	v_add_co_u32 v0, vcc_lo, v0, s58
	s_wait_alu 0xfffd
	v_add_co_ci_u32_e64 v1, null, s59, v1, vcc_lo
	s_delay_alu instid0(VALU_DEP_2) | instskip(SKIP_1) | instid1(VALU_DEP_2)
	v_add_co_u32 v0, vcc_lo, 0xfffffdf0, v0
	s_wait_alu 0xfffd
	v_add_co_ci_u32_e64 v1, null, -1, v1, vcc_lo
	s_delay_alu instid0(VALU_DEP_2) | instskip(NEXT) | instid1(VALU_DEP_2)
	v_cndmask_b32_e64 v9, v0, v43, s12
	v_cndmask_b32_e64 v10, v1, v44, s12
	s_xor_b32 exec_lo, exec_lo, s36
	s_cbranch_execnz .LBB128_98
; %bb.59:                               ;   in Loop: Header=BB128_4 Depth=1
	s_or_b32 exec_lo, exec_lo, s36
	s_and_saveexec_b32 s36, s4
	s_wait_alu 0xfffe
	s_xor_b32 s36, exec_lo, s36
	s_cbranch_execnz .LBB128_99
.LBB128_60:                             ;   in Loop: Header=BB128_4 Depth=1
	s_wait_alu 0xfffe
	s_and_not1_saveexec_b32 s36, s36
	s_cbranch_execnz .LBB128_100
.LBB128_61:                             ;   in Loop: Header=BB128_4 Depth=1
	s_wait_alu 0xfffe
	s_or_b32 exec_lo, exec_lo, s36
	s_and_saveexec_b32 s36, s5
	s_wait_alu 0xfffe
	s_xor_b32 s36, exec_lo, s36
	s_cbranch_execnz .LBB128_101
.LBB128_62:                             ;   in Loop: Header=BB128_4 Depth=1
	s_wait_alu 0xfffe
	s_and_not1_saveexec_b32 s36, s36
	s_cbranch_execnz .LBB128_102
.LBB128_63:                             ;   in Loop: Header=BB128_4 Depth=1
	s_wait_alu 0xfffe
	s_or_b32 exec_lo, exec_lo, s36
	s_and_saveexec_b32 s36, s6
	s_wait_alu 0xfffe
	s_xor_b32 s36, exec_lo, s36
	s_cbranch_execnz .LBB128_103
.LBB128_64:                             ;   in Loop: Header=BB128_4 Depth=1
	s_wait_alu 0xfffe
	s_and_not1_saveexec_b32 s36, s36
	s_cbranch_execz .LBB128_66
.LBB128_65:                             ;   in Loop: Header=BB128_4 Depth=1
	v_add_co_u32 v0, vcc_lo, v9, s44
	s_wait_alu 0xfffd
	v_add_co_ci_u32_e64 v1, null, s45, v10, vcc_lo
	global_load_b128 v[11:14], v[0:1], off
	s_wait_loadcnt 0x0
	ds_store_2addr_b64 v171, v[11:12], v[13:14] offset1:1
.LBB128_66:                             ;   in Loop: Header=BB128_4 Depth=1
	s_wait_alu 0xfffe
	s_or_b32 exec_lo, exec_lo, s36
	v_add_co_u32 v0, vcc_lo, v9, v199
	s_wait_alu 0xfffd
	v_add_co_ci_u32_e64 v1, null, 0, v10, vcc_lo
	s_lshl_b64 s[58:59], s[48:49], 4
	s_wait_alu 0xfffe
	v_add_co_u32 v0, vcc_lo, v0, s58
	s_wait_alu 0xfffd
	v_add_co_ci_u32_e64 v1, null, s59, v1, vcc_lo
	s_delay_alu instid0(VALU_DEP_2) | instskip(SKIP_1) | instid1(VALU_DEP_2)
	v_add_co_u32 v0, vcc_lo, 0x210, v0
	s_wait_alu 0xfffd
	v_add_co_ci_u32_e64 v1, null, 0, v1, vcc_lo
	s_delay_alu instid0(VALU_DEP_2) | instskip(NEXT) | instid1(VALU_DEP_2)
	v_cndmask_b32_e64 v43, v0, v43, s12
	v_cndmask_b32_e64 v44, v1, v44, s12
.LBB128_67:                             ;   in Loop: Header=BB128_4 Depth=1
	s_wait_loadcnt_dscnt 0x0
	s_barrier_signal -1
	s_barrier_wait -1
	global_inv scope:SCOPE_SE
	ds_load_b128 v[9:12], v197
	ds_load_b128 v[13:16], v164
	;; [unrolled: 1-line block ×3, first 2 shown]
	ds_load_b128 v[21:24], v196 offset:384
	ds_load_b128 v[25:28], v196 offset:128
	;; [unrolled: 1-line block ×3, first 2 shown]
	s_wait_dscnt 0x4
	v_mul_f64_e32 v[0:1], v[11:12], v[15:16]
	v_mul_f64_e32 v[3:4], v[9:10], v[15:16]
	s_wait_dscnt 0x1
	v_mul_f64_e32 v[33:34], v[27:28], v[19:20]
	v_mul_f64_e32 v[19:20], v[25:26], v[19:20]
	s_delay_alu instid0(VALU_DEP_4) | instskip(NEXT) | instid1(VALU_DEP_4)
	v_fma_f64 v[0:1], v[9:10], v[13:14], -v[0:1]
	v_fma_f64 v[3:4], v[11:12], v[13:14], v[3:4]
	ds_load_b128 v[9:12], v170
	ds_load_b128 v[13:16], v171
	v_fma_f64 v[25:26], v[25:26], v[17:18], -v[33:34]
	v_fma_f64 v[17:18], v[27:28], v[17:18], v[19:20]
	s_wait_dscnt 0x1
	v_mul_f64_e32 v[35:36], v[31:32], v[11:12]
	v_mul_f64_e32 v[11:12], v[29:30], v[11:12]
	s_wait_dscnt 0x0
	v_mul_f64_e32 v[19:20], v[23:24], v[15:16]
	v_mul_f64_e32 v[15:16], v[21:22], v[15:16]
	v_add_f64_e32 v[0:1], 0, v[0:1]
	v_add_f64_e32 v[3:4], 0, v[3:4]
	v_fma_f64 v[27:28], v[29:30], v[9:10], -v[35:36]
	v_fma_f64 v[9:10], v[31:32], v[9:10], v[11:12]
	v_fma_f64 v[11:12], v[21:22], v[13:14], -v[19:20]
	v_fma_f64 v[13:14], v[23:24], v[13:14], v[15:16]
	v_add_f64_e32 v[0:1], v[0:1], v[25:26]
	v_add_f64_e32 v[3:4], v[3:4], v[17:18]
	s_delay_alu instid0(VALU_DEP_2) | instskip(NEXT) | instid1(VALU_DEP_2)
	v_add_f64_e32 v[0:1], v[0:1], v[27:28]
	v_add_f64_e32 v[3:4], v[3:4], v[9:10]
	s_delay_alu instid0(VALU_DEP_2) | instskip(NEXT) | instid1(VALU_DEP_2)
	v_add_f64_e32 v[45:46], v[0:1], v[11:12]
	v_add_f64_e32 v[47:48], v[3:4], v[13:14]
	ds_load_b128 v[33:36], v187
	ds_load_b128 v[25:28], v187 offset:16
	ds_load_b128 v[13:16], v187 offset:32
	;; [unrolled: 1-line block ×7, first 2 shown]
	s_wait_loadcnt_dscnt 0x0
	s_barrier_signal -1
	s_barrier_wait -1
	global_inv scope:SCOPE_SE
	ds_store_b128 v182, v[45:48]
	s_wait_loadcnt_dscnt 0x0
	s_barrier_signal -1
	s_barrier_wait -1
	global_inv scope:SCOPE_SE
	s_and_saveexec_b32 s36, s17
	s_cbranch_execz .LBB128_69
; %bb.68:                               ;   in Loop: Header=BB128_4 Depth=1
	ds_load_b128 v[45:48], v178
	ds_load_b128 v[49:52], v178 offset:16
	s_wait_dscnt 0x1
	v_add_f64_e32 v[0:1], v[5:6], v[45:46]
	v_add_f64_e32 v[3:4], v[7:8], v[47:48]
	s_wait_dscnt 0x0
	s_delay_alu instid0(VALU_DEP_2) | instskip(NEXT) | instid1(VALU_DEP_2)
	v_add_f64_e32 v[0:1], v[0:1], v[49:50]
	v_add_f64_e32 v[7:8], v[3:4], v[51:52]
	ds_load_b128 v[3:6], v178 offset:32
	ds_load_b128 v[45:48], v178 offset:48
	s_wait_dscnt 0x1
	v_add_f64_e32 v[0:1], v[0:1], v[3:4]
	v_add_f64_e32 v[3:4], v[7:8], v[5:6]
	s_wait_dscnt 0x0
	s_delay_alu instid0(VALU_DEP_2) | instskip(NEXT) | instid1(VALU_DEP_2)
	v_add_f64_e32 v[0:1], v[0:1], v[45:46]
	v_add_f64_e32 v[7:8], v[3:4], v[47:48]
	ds_load_b128 v[3:6], v178 offset:64
	;; [unrolled: 9-line block ×3, first 2 shown]
	ds_load_b128 v[45:48], v178 offset:112
	s_wait_dscnt 0x1
	v_add_f64_e32 v[0:1], v[0:1], v[3:4]
	v_add_f64_e32 v[3:4], v[7:8], v[5:6]
	s_wait_dscnt 0x0
	s_delay_alu instid0(VALU_DEP_2) | instskip(NEXT) | instid1(VALU_DEP_2)
	v_add_f64_e32 v[5:6], v[0:1], v[45:46]
	v_add_f64_e32 v[7:8], v[3:4], v[47:48]
.LBB128_69:                             ;   in Loop: Header=BB128_4 Depth=1
	s_wait_alu 0xfffe
	s_or_b32 exec_lo, exec_lo, s36
	v_mul_f64_e32 v[0:1], v[35:36], v[39:40]
	v_mul_f64_e32 v[3:4], v[33:34], v[39:40]
	;; [unrolled: 1-line block ×4, first 2 shown]
	s_wait_loadcnt 0x0
	s_barrier_signal -1
	s_barrier_wait -1
	global_inv scope:SCOPE_SE
	v_fma_f64 v[0:1], v[33:34], v[37:38], -v[0:1]
	v_fma_f64 v[3:4], v[35:36], v[37:38], v[3:4]
	v_mul_f64_e32 v[33:34], v[15:16], v[23:24]
	v_mul_f64_e32 v[23:24], v[13:14], v[23:24]
	v_fma_f64 v[25:26], v[25:26], v[29:30], -v[39:40]
	v_fma_f64 v[27:28], v[27:28], v[29:30], v[31:32]
	v_mul_f64_e32 v[29:30], v[11:12], v[19:20]
	v_mul_f64_e32 v[19:20], v[9:10], v[19:20]
	v_add_f64_e32 v[0:1], 0, v[0:1]
	v_add_f64_e32 v[3:4], 0, v[3:4]
	v_fma_f64 v[13:14], v[13:14], v[21:22], -v[33:34]
	v_fma_f64 v[15:16], v[15:16], v[21:22], v[23:24]
	v_fma_f64 v[9:10], v[9:10], v[17:18], -v[29:30]
	v_fma_f64 v[11:12], v[11:12], v[17:18], v[19:20]
	v_add_f64_e32 v[0:1], v[0:1], v[25:26]
	v_add_f64_e32 v[3:4], v[3:4], v[27:28]
	s_delay_alu instid0(VALU_DEP_2) | instskip(NEXT) | instid1(VALU_DEP_2)
	v_add_f64_e32 v[0:1], v[0:1], v[13:14]
	v_add_f64_e32 v[3:4], v[3:4], v[15:16]
	s_delay_alu instid0(VALU_DEP_2) | instskip(NEXT) | instid1(VALU_DEP_2)
	v_add_f64_e32 v[9:10], v[0:1], v[9:10]
	v_add_f64_e32 v[11:12], v[3:4], v[11:12]
	ds_store_b128 v182, v[9:12]
	s_wait_loadcnt_dscnt 0x0
	s_barrier_signal -1
	s_barrier_wait -1
	global_inv scope:SCOPE_SE
	s_and_saveexec_b32 s36, s11
	s_cbranch_execz .LBB128_71
; %bb.70:                               ;   in Loop: Header=BB128_4 Depth=1
	ds_load_b128 v[9:12], v178
	ds_load_b128 v[13:16], v178 offset:16
	s_wait_dscnt 0x1
	v_add_f64_e32 v[0:1], v[5:6], v[9:10]
	v_add_f64_e32 v[3:4], v[7:8], v[11:12]
	s_wait_dscnt 0x0
	s_delay_alu instid0(VALU_DEP_2) | instskip(NEXT) | instid1(VALU_DEP_2)
	v_add_f64_e32 v[0:1], v[0:1], v[13:14]
	v_add_f64_e32 v[11:12], v[3:4], v[15:16]
	ds_load_b128 v[3:6], v178 offset:32
	ds_load_b128 v[7:10], v178 offset:48
	s_wait_dscnt 0x1
	v_add_f64_e32 v[0:1], v[0:1], v[3:4]
	v_add_f64_e32 v[3:4], v[11:12], v[5:6]
	s_wait_dscnt 0x0
	s_delay_alu instid0(VALU_DEP_2) | instskip(NEXT) | instid1(VALU_DEP_2)
	v_add_f64_e32 v[0:1], v[0:1], v[7:8]
	v_add_f64_e32 v[11:12], v[3:4], v[9:10]
	ds_load_b128 v[3:6], v178 offset:64
	ds_load_b128 v[7:10], v178 offset:80
	s_wait_dscnt 0x1
	v_add_f64_e32 v[0:1], v[0:1], v[3:4]
	v_add_f64_e32 v[3:4], v[11:12], v[5:6]
	s_wait_dscnt 0x0
	s_delay_alu instid0(VALU_DEP_2) | instskip(NEXT) | instid1(VALU_DEP_2)
	v_add_f64_e32 v[0:1], v[0:1], v[7:8]
	v_add_f64_e32 v[11:12], v[3:4], v[9:10]
	ds_load_b128 v[3:6], v178 offset:96
	ds_load_b128 v[7:10], v178 offset:112
	s_wait_dscnt 0x1
	v_add_f64_e32 v[0:1], v[0:1], v[3:4]
	v_add_f64_e32 v[3:4], v[11:12], v[5:6]
	s_wait_dscnt 0x0
	s_delay_alu instid0(VALU_DEP_2) | instskip(NEXT) | instid1(VALU_DEP_2)
	v_add_f64_e32 v[5:6], v[0:1], v[7:8]
	v_add_f64_e32 v[7:8], v[3:4], v[9:10]
.LBB128_71:                             ;   in Loop: Header=BB128_4 Depth=1
	s_wait_alu 0xfffe
	s_or_b32 exec_lo, exec_lo, s36
	s_mul_u64 s[58:59], s[24:25], s[34:35]
	s_and_not1_b32 vcc_lo, exec_lo, s61
	s_wait_alu 0xfffe
	s_lshl_b64 s[58:59], s[58:59], 4
	s_wait_loadcnt 0x0
	s_wait_alu 0xfffe
	s_add_nc_u64 s[58:59], s[38:39], s[58:59]
	s_barrier_signal -1
	s_barrier_wait -1
	global_inv scope:SCOPE_SE
	s_cbranch_vccnz .LBB128_78
; %bb.72:                               ;   in Loop: Header=BB128_4 Depth=1
	v_add_co_u32 v0, vcc_lo, v43, s56
	s_wait_alu 0xfffd
	v_add_co_ci_u32_e64 v1, null, s57, v44, vcc_lo
	v_lshlrev_b32_e32 v3, 4, v161
	s_delay_alu instid0(VALU_DEP_3) | instskip(SKIP_1) | instid1(VALU_DEP_3)
	v_add_co_u32 v0, vcc_lo, v0, v155
	s_wait_alu 0xfffd
	v_add_co_ci_u32_e64 v1, null, v1, v156, vcc_lo
	s_lshl_b64 s[64:65], s[26:27], 4
	v_add_co_u32 v0, vcc_lo, v0, v157
	s_wait_alu 0xfffd
	v_add_co_ci_u32_e64 v1, null, v1, v158, vcc_lo
	s_mov_b32 s35, ttmp9
	s_wait_alu 0xfffe
	v_add_co_u32 v4, vcc_lo, v0, s64
	s_wait_alu 0xfffd
	v_add_co_ci_u32_e64 v9, null, s65, v1, vcc_lo
	v_add_co_u32 v0, vcc_lo, v0, v3
	s_wait_alu 0xfffd
	v_add_co_ci_u32_e64 v1, null, 0, v1, vcc_lo
	v_add_co_u32 v3, vcc_lo, 0xfffffdf0, v4
	s_wait_alu 0xfffd
	v_add_co_ci_u32_e64 v4, null, -1, v9, vcc_lo
	v_add_co_u32 v0, vcc_lo, 0xfffffe00, v0
	s_wait_alu 0xfffd
	v_add_co_ci_u32_e64 v1, null, -1, v1, vcc_lo
	v_add_co_u32 v200, vcc_lo, v41, s54
	s_wait_alu 0xfffd
	v_add_co_ci_u32_e64 v201, null, s55, v42, vcc_lo
	s_delay_alu instid0(VALU_DEP_3)
	v_cndmask_b32_e64 v1, v1, v4, s1
	v_cndmask_b32_e64 v0, v0, v3, s1
	s_mov_b32 s36, 0
	s_branch .LBB128_74
.LBB128_73:                             ;   in Loop: Header=BB128_74 Depth=2
	s_or_b32 exec_lo, exec_lo, s63
	v_mul_f64_e32 v[0:1], v[19:20], v[27:28]
	v_mul_f64_e32 v[27:28], v[17:18], v[27:28]
	;; [unrolled: 1-line block ×4, first 2 shown]
	s_wait_alu 0xfffe
	s_add_co_i32 s35, s35, -1
	s_add_co_i32 s36, s36, 64
	s_wait_alu 0xfffe
	s_cmp_eq_u32 s35, 0
	s_wait_loadcnt 0x0
	s_wait_storecnt 0x0
	s_barrier_signal -1
	s_barrier_wait -1
	global_inv scope:SCOPE_SE
	v_fma_f64 v[0:1], v[17:18], v[25:26], -v[0:1]
	v_fma_f64 v[17:18], v[19:20], v[25:26], v[27:28]
	v_mul_f64_e32 v[19:20], v[15:16], v[39:40]
	v_mul_f64_e32 v[25:26], v[13:14], v[39:40]
	v_fma_f64 v[21:22], v[21:22], v[41:42], -v[89:90]
	v_fma_f64 v[23:24], v[23:24], v[41:42], v[43:44]
	v_add_f64_e32 v[0:1], v[5:6], v[0:1]
	v_add_f64_e32 v[5:6], v[7:8], v[17:18]
	v_mul_f64_e32 v[7:8], v[11:12], v[35:36]
	v_mul_f64_e32 v[17:18], v[9:10], v[35:36]
	v_fma_f64 v[13:14], v[13:14], v[37:38], -v[19:20]
	v_fma_f64 v[15:16], v[15:16], v[37:38], v[25:26]
	v_mul_f64_e32 v[19:20], v[31:32], v[59:60]
	v_add_f64_e32 v[0:1], v[0:1], v[21:22]
	v_add_f64_e32 v[5:6], v[5:6], v[23:24]
	v_mul_f64_e32 v[21:22], v[29:30], v[59:60]
	v_fma_f64 v[7:8], v[9:10], v[33:34], -v[7:8]
	v_fma_f64 v[9:10], v[11:12], v[33:34], v[17:18]
	v_mul_f64_e32 v[11:12], v[55:56], v[75:76]
	v_add_f64_e32 v[0:1], v[0:1], v[13:14]
	v_add_f64_e32 v[5:6], v[5:6], v[15:16]
	v_mul_f64_e32 v[13:14], v[53:54], v[75:76]
	v_fma_f64 v[15:16], v[29:30], v[57:58], -v[19:20]
	v_fma_f64 v[17:18], v[31:32], v[57:58], v[21:22]
	v_fma_f64 v[11:12], v[53:54], v[73:74], -v[11:12]
	v_add_f64_e32 v[0:1], v[0:1], v[7:8]
	v_add_f64_e32 v[5:6], v[5:6], v[9:10]
	v_mul_f64_e32 v[7:8], v[51:52], v[71:72]
	v_mul_f64_e32 v[9:10], v[49:50], v[71:72]
	v_fma_f64 v[13:14], v[55:56], v[73:74], v[13:14]
	v_add_f64_e32 v[0:1], v[0:1], v[15:16]
	v_add_f64_e32 v[5:6], v[5:6], v[17:18]
	v_mul_f64_e32 v[15:16], v[47:48], v[67:68]
	v_mul_f64_e32 v[17:18], v[45:46], v[67:68]
	v_fma_f64 v[7:8], v[49:50], v[69:70], -v[7:8]
	v_fma_f64 v[9:10], v[51:52], v[69:70], v[9:10]
	v_add_f64_e32 v[0:1], v[0:1], v[11:12]
	v_add_f64_e32 v[5:6], v[5:6], v[13:14]
	v_mul_f64_e32 v[11:12], v[63:64], v[95:96]
	v_mul_f64_e32 v[13:14], v[61:62], v[95:96]
	v_fma_f64 v[15:16], v[45:46], v[65:66], -v[15:16]
	;; [unrolled: 6-line block ×9, first 2 shown]
	v_fma_f64 v[13:14], v[123:124], v[145:146], v[13:14]
	v_add_f64_e32 v[0:1], v[0:1], v[15:16]
	v_add_f64_e32 v[5:6], v[5:6], v[17:18]
	v_fma_f64 v[7:8], v[133:134], v[141:142], -v[7:8]
	v_fma_f64 v[9:10], v[135:136], v[141:142], v[9:10]
	s_delay_alu instid0(VALU_DEP_4) | instskip(NEXT) | instid1(VALU_DEP_4)
	v_add_f64_e32 v[0:1], v[0:1], v[11:12]
	v_add_f64_e32 v[11:12], v[5:6], v[13:14]
	s_delay_alu instid0(VALU_DEP_2) | instskip(NEXT) | instid1(VALU_DEP_2)
	v_add_f64_e32 v[5:6], v[0:1], v[7:8]
	v_add_f64_e32 v[7:8], v[11:12], v[9:10]
	v_add_co_u32 v0, vcc_lo, v3, s20
	s_wait_alu 0xfffd
	v_add_co_ci_u32_e64 v1, null, s21, v4, vcc_lo
	s_cbranch_scc1 .LBB128_78
.LBB128_74:                             ;   Parent Loop BB128_4 Depth=1
                                        ; =>  This Inner Loop Header: Depth=2
	s_and_saveexec_b32 s63, s0
	s_cbranch_execz .LBB128_76
; %bb.75:                               ;   in Loop: Header=BB128_74 Depth=2
	s_wait_alu 0xfffe
	s_mul_u64 s[64:65], s[28:29], s[36:37]
	s_wait_alu 0xfffe
	s_lshl_b64 s[64:65], s[64:65], 4
	s_wait_alu 0xfffe
	v_add_co_u32 v3, vcc_lo, v200, s64
	s_wait_alu 0xfffd
	v_add_co_ci_u32_e64 v4, null, s65, v201, vcc_lo
	global_load_b128 v[9:12], v[3:4], off
	s_wait_loadcnt 0x0
	ds_store_2addr_b64 v188, v[9:10], v[11:12] offset1:1
.LBB128_76:                             ;   in Loop: Header=BB128_74 Depth=2
	s_or_b32 exec_lo, exec_lo, s63
	v_add_co_u32 v3, vcc_lo, v0, s50
	s_wait_alu 0xfffd
	v_add_co_ci_u32_e64 v4, null, s51, v1, vcc_lo
	s_wait_loadcnt_dscnt 0x0
	s_delay_alu instid0(VALU_DEP_2) | instskip(SKIP_1) | instid1(VALU_DEP_2)
	v_add_co_u32 v9, vcc_lo, v3, s50
	s_wait_alu 0xfffd
	v_add_co_ci_u32_e64 v10, null, s51, v4, vcc_lo
	s_barrier_signal -1
	s_barrier_wait -1
	global_inv scope:SCOPE_SE
	global_load_b128 v[17:20], v[0:1], off
	v_add_co_u32 v0, vcc_lo, v9, s50
	s_wait_alu 0xfffd
	v_add_co_ci_u32_e64 v1, null, s51, v10, vcc_lo
	s_clause 0x2
	global_load_b128 v[21:24], v[3:4], off
	global_load_b128 v[13:16], v[9:10], off
	;; [unrolled: 1-line block ×3, first 2 shown]
	ds_load_b128 v[29:32], v163
	ds_load_b128 v[25:28], v189
	v_add_co_u32 v0, vcc_lo, v0, s20
	s_wait_alu 0xfffd
	v_add_co_ci_u32_e64 v1, null, s21, v1, vcc_lo
	s_wait_loadcnt_dscnt 0x301
	v_mul_f64_e32 v[3:4], v[19:20], v[31:32]
	v_mul_f64_e32 v[33:34], v[17:18], v[31:32]
	s_wait_loadcnt 0x2
	v_mul_f64_e32 v[35:36], v[23:24], v[31:32]
	v_mul_f64_e32 v[37:38], v[21:22], v[31:32]
	s_wait_loadcnt 0x1
	;; [unrolled: 3-line block ×3, first 2 shown]
	v_mul_f64_e32 v[43:44], v[11:12], v[31:32]
	v_mul_f64_e32 v[31:32], v[9:10], v[31:32]
	v_fma_f64 v[45:46], v[17:18], v[29:30], -v[3:4]
	v_fma_f64 v[47:48], v[19:20], v[29:30], v[33:34]
	v_add_co_u32 v3, vcc_lo, v0, s50
	v_fma_f64 v[49:50], v[21:22], v[29:30], -v[35:36]
	v_fma_f64 v[51:52], v[23:24], v[29:30], v[37:38]
	v_fma_f64 v[53:54], v[13:14], v[29:30], -v[39:40]
	v_fma_f64 v[55:56], v[15:16], v[29:30], v[41:42]
	;; [unrolled: 2-line block ×3, first 2 shown]
	s_wait_alu 0xfffd
	v_add_co_ci_u32_e64 v4, null, s51, v1, vcc_lo
	v_add_co_u32 v61, vcc_lo, v3, s50
	ds_load_b128 v[41:44], v189 offset:16
	ds_load_b128 v[37:40], v189 offset:32
	s_wait_alu 0xfffd
	v_add_co_ci_u32_e64 v62, null, s51, v4, vcc_lo
	ds_load_b128 v[33:36], v189 offset:48
	ds_store_b128 v190, v[45:48]
	ds_store_b128 v190, v[49:52] offset:1072
	ds_store_b128 v190, v[53:56] offset:2144
	ds_store_b128 v190, v[57:60] offset:3216
	s_wait_dscnt 0x0
	s_barrier_signal -1
	s_barrier_wait -1
	global_inv scope:SCOPE_SE
	ds_load_b128 v[105:108], v191
	ds_load_b128 v[101:104], v191 offset:16
	ds_load_b128 v[97:100], v191 offset:32
	ds_load_b128 v[89:92], v191 offset:48
	s_wait_loadcnt_dscnt 0x0
	s_barrier_signal -1
	s_barrier_wait -1
	global_inv scope:SCOPE_SE
	global_load_b128 v[29:32], v[0:1], off
	v_add_co_u32 v0, vcc_lo, v61, s50
	s_wait_alu 0xfffd
	v_add_co_ci_u32_e64 v1, null, s51, v62, vcc_lo
	s_clause 0x2
	global_load_b128 v[53:56], v[3:4], off
	global_load_b128 v[49:52], v[61:62], off
	;; [unrolled: 1-line block ×3, first 2 shown]
	ds_load_b128 v[61:64], v163
	ds_load_b128 v[57:60], v189 offset:256
	v_add_co_u32 v0, vcc_lo, v0, s20
	s_wait_alu 0xfffd
	v_add_co_ci_u32_e64 v1, null, s21, v1, vcc_lo
	s_wait_loadcnt_dscnt 0x301
	v_mul_f64_e32 v[3:4], v[31:32], v[63:64]
	v_mul_f64_e32 v[65:66], v[29:30], v[63:64]
	s_wait_loadcnt 0x2
	v_mul_f64_e32 v[67:68], v[55:56], v[63:64]
	v_mul_f64_e32 v[69:70], v[53:54], v[63:64]
	s_wait_loadcnt 0x1
	;; [unrolled: 3-line block ×3, first 2 shown]
	v_mul_f64_e32 v[75:76], v[47:48], v[63:64]
	v_mul_f64_e32 v[63:64], v[45:46], v[63:64]
	v_fma_f64 v[77:78], v[29:30], v[61:62], -v[3:4]
	v_fma_f64 v[79:80], v[31:32], v[61:62], v[65:66]
	v_add_co_u32 v3, vcc_lo, v0, s50
	v_fma_f64 v[81:82], v[53:54], v[61:62], -v[67:68]
	v_fma_f64 v[83:84], v[55:56], v[61:62], v[69:70]
	v_fma_f64 v[85:86], v[49:50], v[61:62], -v[71:72]
	v_fma_f64 v[87:88], v[51:52], v[61:62], v[73:74]
	;; [unrolled: 2-line block ×3, first 2 shown]
	s_wait_alu 0xfffd
	v_add_co_ci_u32_e64 v4, null, s51, v1, vcc_lo
	v_add_co_u32 v109, vcc_lo, v3, s50
	ds_load_b128 v[73:76], v189 offset:272
	ds_load_b128 v[69:72], v189 offset:288
	;; [unrolled: 1-line block ×3, first 2 shown]
	s_wait_alu 0xfffd
	v_add_co_ci_u32_e64 v110, null, s51, v4, vcc_lo
	ds_store_b128 v190, v[77:80]
	ds_store_b128 v190, v[81:84] offset:1072
	ds_store_b128 v190, v[85:88] offset:2144
	;; [unrolled: 1-line block ×3, first 2 shown]
	s_wait_dscnt 0x0
	s_barrier_signal -1
	s_barrier_wait -1
	global_inv scope:SCOPE_SE
	ds_load_b128 v[202:205], v191
	ds_load_b128 v[206:209], v191 offset:16
	ds_load_b128 v[210:213], v191 offset:32
	;; [unrolled: 1-line block ×3, first 2 shown]
	s_wait_loadcnt_dscnt 0x0
	s_barrier_signal -1
	s_barrier_wait -1
	global_inv scope:SCOPE_SE
	global_load_b128 v[61:64], v[0:1], off
	v_add_co_u32 v0, vcc_lo, v109, s50
	s_wait_alu 0xfffd
	v_add_co_ci_u32_e64 v1, null, s51, v110, vcc_lo
	s_clause 0x1
	global_load_b128 v[85:88], v[3:4], off
	global_load_b128 v[77:80], v[109:110], off
	;; [unrolled: 1-line block ×3, first 2 shown]
	ds_load_b128 v[109:112], v163
	ds_load_b128 v[93:96], v189 offset:512
	v_add_co_u32 v0, vcc_lo, v0, s20
	s_wait_alu 0xfffd
	v_add_co_ci_u32_e64 v1, null, s21, v1, vcc_lo
	v_add_f64_e32 v[202:203], 0, v[202:203]
	s_delay_alu instid0(VALU_DEP_3) | instskip(SKIP_1) | instid1(VALU_DEP_3)
	v_add_co_u32 v141, vcc_lo, v0, s50
	s_wait_alu 0xfffd
	v_add_co_ci_u32_e64 v142, null, s51, v1, vcc_lo
	v_add_f64_e32 v[204:205], 0, v[204:205]
	s_delay_alu instid0(VALU_DEP_3) | instskip(SKIP_1) | instid1(VALU_DEP_3)
	v_add_co_u32 v143, vcc_lo, v141, s50
	s_wait_alu 0xfffd
	v_add_co_ci_u32_e64 v144, null, s51, v142, vcc_lo
	v_add_f64_e32 v[202:203], v[202:203], v[206:207]
	s_delay_alu instid0(VALU_DEP_4) | instskip(NEXT) | instid1(VALU_DEP_2)
	v_add_f64_e32 v[204:205], v[204:205], v[208:209]
	v_add_f64_e32 v[202:203], v[202:203], v[210:211]
	s_delay_alu instid0(VALU_DEP_2)
	v_add_f64_e32 v[204:205], v[204:205], v[212:213]
	s_wait_loadcnt_dscnt 0x301
	v_mul_f64_e32 v[3:4], v[63:64], v[111:112]
	v_mul_f64_e32 v[113:114], v[61:62], v[111:112]
	s_wait_loadcnt 0x2
	v_mul_f64_e32 v[115:116], v[87:88], v[111:112]
	v_mul_f64_e32 v[117:118], v[85:86], v[111:112]
	s_wait_loadcnt 0x1
	v_mul_f64_e32 v[119:120], v[79:80], v[111:112]
	v_mul_f64_e32 v[125:126], v[77:78], v[111:112]
	s_wait_loadcnt 0x0
	v_mul_f64_e32 v[127:128], v[83:84], v[111:112]
	v_mul_f64_e32 v[111:112], v[81:82], v[111:112]
	v_fma_f64 v[121:122], v[61:62], v[109:110], -v[3:4]
	v_fma_f64 v[123:124], v[63:64], v[109:110], v[113:114]
	v_add_co_u32 v3, vcc_lo, v143, s50
	v_fma_f64 v[129:130], v[85:86], v[109:110], -v[115:116]
	v_fma_f64 v[131:132], v[87:88], v[109:110], v[117:118]
	v_fma_f64 v[133:134], v[77:78], v[109:110], -v[119:120]
	v_fma_f64 v[135:136], v[79:80], v[109:110], v[125:126]
	;; [unrolled: 2-line block ×3, first 2 shown]
	ds_load_b128 v[125:128], v189 offset:528
	ds_load_b128 v[117:120], v189 offset:544
	;; [unrolled: 1-line block ×3, first 2 shown]
	ds_store_b128 v190, v[121:124]
	ds_store_b128 v190, v[129:132] offset:1072
	ds_store_b128 v190, v[133:136] offset:2144
	ds_store_b128 v190, v[137:140] offset:3216
	s_wait_dscnt 0x0
	s_barrier_signal -1
	s_barrier_wait -1
	global_inv scope:SCOPE_SE
	ds_load_b128 v[218:221], v191
	ds_load_b128 v[222:225], v191 offset:16
	ds_load_b128 v[226:229], v191 offset:32
	;; [unrolled: 1-line block ×3, first 2 shown]
	s_wait_loadcnt_dscnt 0x0
	s_barrier_signal -1
	s_barrier_wait -1
	global_inv scope:SCOPE_SE
	global_load_b128 v[109:112], v[0:1], off
	s_wait_alu 0xfffd
	v_add_co_ci_u32_e64 v4, null, s51, v144, vcc_lo
	global_load_b128 v[129:132], v[141:142], off
	global_load_b128 v[121:124], v[143:144], off
	;; [unrolled: 1-line block ×3, first 2 shown]
	ds_load_b128 v[141:144], v163
	ds_load_b128 v[137:140], v189 offset:768
	v_add_f64_e32 v[218:219], 0, v[218:219]
	v_add_f64_e32 v[220:221], 0, v[220:221]
	s_delay_alu instid0(VALU_DEP_2) | instskip(NEXT) | instid1(VALU_DEP_2)
	v_add_f64_e32 v[206:207], v[218:219], v[222:223]
	v_add_f64_e32 v[208:209], v[220:221], v[224:225]
	s_delay_alu instid0(VALU_DEP_2) | instskip(NEXT) | instid1(VALU_DEP_2)
	v_add_f64_e32 v[206:207], v[206:207], v[226:227]
	v_add_f64_e32 v[208:209], v[208:209], v[228:229]
	s_wait_loadcnt_dscnt 0x301
	v_mul_f64_e32 v[0:1], v[111:112], v[143:144]
	v_mul_f64_e32 v[145:146], v[109:110], v[143:144]
	s_wait_loadcnt 0x2
	v_mul_f64_e32 v[147:148], v[131:132], v[143:144]
	v_mul_f64_e32 v[149:150], v[129:130], v[143:144]
	s_wait_loadcnt 0x1
	;; [unrolled: 3-line block ×3, first 2 shown]
	v_mul_f64_e32 v[246:247], v[135:136], v[143:144]
	v_mul_f64_e32 v[143:144], v[133:134], v[143:144]
	v_fma_f64 v[234:235], v[109:110], v[141:142], -v[0:1]
	v_fma_f64 v[236:237], v[111:112], v[141:142], v[145:146]
	v_fma_f64 v[238:239], v[129:130], v[141:142], -v[147:148]
	v_fma_f64 v[240:241], v[131:132], v[141:142], v[149:150]
	v_fma_f64 v[242:243], v[121:122], v[141:142], -v[151:152]
	v_fma_f64 v[244:245], v[123:124], v[141:142], v[244:245]
	v_fma_f64 v[246:247], v[133:134], v[141:142], -v[246:247]
	v_fma_f64 v[248:249], v[135:136], v[141:142], v[143:144]
	ds_load_b128 v[149:152], v189 offset:784
	ds_load_b128 v[145:148], v189 offset:800
	ds_load_b128 v[141:144], v189 offset:816
	ds_store_b128 v190, v[234:237]
	ds_store_b128 v190, v[238:241] offset:1072
	ds_store_b128 v190, v[242:245] offset:2144
	;; [unrolled: 1-line block ×3, first 2 shown]
	s_wait_dscnt 0x0
	s_barrier_signal -1
	s_barrier_wait -1
	global_inv scope:SCOPE_SE
	ds_load_b128 v[234:237], v191
	v_add_f64_e32 v[0:1], 0, v[105:106]
	v_add_f64_e32 v[238:239], 0, v[107:108]
	ds_load_b128 v[105:108], v191 offset:16
	s_wait_dscnt 0x1
	v_add_f64_e32 v[234:235], 0, v[234:235]
	v_add_f64_e32 v[236:237], 0, v[236:237]
	;; [unrolled: 1-line block ×4, first 2 shown]
	ds_load_b128 v[101:104], v191 offset:32
	s_wait_dscnt 0x1
	v_add_f64_e32 v[105:106], v[234:235], v[105:106]
	v_add_f64_e32 v[107:108], v[236:237], v[107:108]
	;; [unrolled: 1-line block ×4, first 2 shown]
	ds_load_b128 v[97:100], v191 offset:48
	s_wait_loadcnt_dscnt 0x0
	s_barrier_signal -1
	s_barrier_wait -1
	global_inv scope:SCOPE_SE
	v_add_f64_e32 v[210:211], v[105:106], v[101:102]
	v_add_f64_e32 v[212:213], v[107:108], v[103:104]
	v_add_f64_e32 v[101:102], v[202:203], v[214:215]
	v_add_f64_e32 v[103:104], v[204:205], v[216:217]
	v_add_f64_e32 v[105:106], v[206:207], v[230:231]
	v_add_f64_e32 v[107:108], v[208:209], v[232:233]
	v_add_f64_e32 v[89:90], v[0:1], v[89:90]
	v_add_f64_e32 v[91:92], v[218:219], v[91:92]
	v_add_f64_e32 v[97:98], v[210:211], v[97:98]
	v_add_f64_e32 v[99:100], v[212:213], v[99:100]
	ds_store_b128 v198, v[89:92]
	ds_store_b128 v198, v[101:104] offset:256
	ds_store_b128 v198, v[105:108] offset:512
	;; [unrolled: 1-line block ×3, first 2 shown]
	s_wait_loadcnt_dscnt 0x0
	s_barrier_signal -1
	s_barrier_wait -1
	global_inv scope:SCOPE_SE
	s_and_saveexec_b32 s63, s18
	s_cbranch_execz .LBB128_73
; %bb.77:                               ;   in Loop: Header=BB128_74 Depth=2
	ds_load_b128 v[89:92], v192
	ds_load_b128 v[97:100], v192 offset:16
	s_wait_dscnt 0x0
	v_add_f64_e32 v[0:1], v[97:98], v[89:90]
	v_add_f64_e32 v[101:102], v[99:100], v[91:92]
	ds_load_b128 v[89:92], v192 offset:32
	ds_load_b128 v[97:100], v192 offset:48
	s_wait_dscnt 0x1
	v_add_f64_e32 v[0:1], v[0:1], v[89:90]
	v_add_f64_e32 v[89:90], v[101:102], v[91:92]
	s_wait_dscnt 0x0
	s_delay_alu instid0(VALU_DEP_2) | instskip(NEXT) | instid1(VALU_DEP_2)
	v_add_f64_e32 v[0:1], v[0:1], v[97:98]
	v_add_f64_e32 v[101:102], v[89:90], v[99:100]
	ds_load_b128 v[89:92], v192 offset:64
	ds_load_b128 v[97:100], v192 offset:80
	s_wait_dscnt 0x1
	v_add_f64_e32 v[0:1], v[0:1], v[89:90]
	v_add_f64_e32 v[89:90], v[101:102], v[91:92]
	s_wait_dscnt 0x0
	s_delay_alu instid0(VALU_DEP_2) | instskip(NEXT) | instid1(VALU_DEP_2)
	v_add_f64_e32 v[0:1], v[0:1], v[97:98]
	v_add_f64_e32 v[101:102], v[89:90], v[99:100]
	ds_load_b128 v[89:92], v192 offset:96
	ds_load_b128 v[97:100], v192 offset:112
	s_wait_dscnt 0x1
	v_add_f64_e32 v[0:1], v[0:1], v[89:90]
	v_add_f64_e32 v[89:90], v[101:102], v[91:92]
	s_wait_dscnt 0x0
	s_delay_alu instid0(VALU_DEP_2) | instskip(NEXT) | instid1(VALU_DEP_2)
	v_add_f64_e32 v[0:1], v[0:1], v[97:98]
	v_add_f64_e32 v[101:102], v[89:90], v[99:100]
	ds_load_b128 v[89:92], v192 offset:128
	ds_load_b128 v[97:100], v192 offset:144
	s_wait_dscnt 0x1
	v_add_f64_e32 v[0:1], v[0:1], v[89:90]
	v_add_f64_e32 v[89:90], v[101:102], v[91:92]
	s_wait_dscnt 0x0
	s_delay_alu instid0(VALU_DEP_2) | instskip(NEXT) | instid1(VALU_DEP_2)
	v_add_f64_e32 v[0:1], v[0:1], v[97:98]
	v_add_f64_e32 v[101:102], v[89:90], v[99:100]
	ds_load_b128 v[89:92], v192 offset:160
	ds_load_b128 v[97:100], v192 offset:176
	s_wait_dscnt 0x1
	v_add_f64_e32 v[0:1], v[0:1], v[89:90]
	v_add_f64_e32 v[89:90], v[101:102], v[91:92]
	s_wait_dscnt 0x0
	s_delay_alu instid0(VALU_DEP_2) | instskip(NEXT) | instid1(VALU_DEP_2)
	v_add_f64_e32 v[0:1], v[0:1], v[97:98]
	v_add_f64_e32 v[101:102], v[89:90], v[99:100]
	ds_load_b128 v[89:92], v192 offset:192
	ds_load_b128 v[97:100], v192 offset:208
	s_wait_dscnt 0x1
	v_add_f64_e32 v[0:1], v[0:1], v[89:90]
	v_add_f64_e32 v[89:90], v[101:102], v[91:92]
	s_wait_dscnt 0x0
	s_delay_alu instid0(VALU_DEP_2) | instskip(NEXT) | instid1(VALU_DEP_2)
	v_add_f64_e32 v[0:1], v[0:1], v[97:98]
	v_add_f64_e32 v[101:102], v[89:90], v[99:100]
	ds_load_b128 v[89:92], v192 offset:224
	ds_load_b128 v[97:100], v193
	s_wait_dscnt 0x1
	v_add_f64_e32 v[0:1], v[0:1], v[89:90]
	v_add_f64_e32 v[91:92], v[101:102], v[91:92]
	s_wait_dscnt 0x0
	s_delay_alu instid0(VALU_DEP_2) | instskip(NEXT) | instid1(VALU_DEP_2)
	v_add_f64_e32 v[89:90], v[0:1], v[97:98]
	v_add_f64_e32 v[91:92], v[91:92], v[99:100]
	s_wait_alu 0xfffe
	v_add_nc_u32_e32 v1, s36, v161
	s_delay_alu instid0(VALU_DEP_1) | instskip(NEXT) | instid1(VALU_DEP_1)
	v_lshlrev_b64_e32 v[0:1], 4, v[1:2]
	v_add_co_u32 v0, vcc_lo, s58, v0
	s_wait_alu 0xfffd
	s_delay_alu instid0(VALU_DEP_2)
	v_add_co_ci_u32_e64 v1, null, s59, v1, vcc_lo
	global_store_b128 v[0:1], v[89:92], off
	s_branch .LBB128_73
.LBB128_78:                             ;   in Loop: Header=BB128_4 Depth=1
	ds_store_b128 v194, v[5:8]
	s_wait_loadcnt_dscnt 0x0
	s_barrier_signal -1
	s_barrier_wait -1
	global_inv scope:SCOPE_SE
	s_and_saveexec_b32 s35, s19
	s_cbranch_execz .LBB128_2
; %bb.79:                               ;   in Loop: Header=BB128_4 Depth=1
	ds_load_b128 v[3:6], v162 offset:1072
	ds_load_b128 v[7:10], v162
	s_wait_dscnt 0x0
	v_add_f64_e32 v[0:1], v[3:4], v[7:8]
	v_add_f64_e32 v[11:12], v[5:6], v[9:10]
	ds_load_b128 v[3:6], v162 offset:2144
	ds_load_b128 v[7:10], v162 offset:3216
	s_wait_dscnt 0x1
	v_add_f64_e32 v[0:1], v[0:1], v[3:4]
	v_add_f64_e32 v[5:6], v[11:12], v[5:6]
	s_wait_dscnt 0x0
	s_delay_alu instid0(VALU_DEP_2) | instskip(NEXT) | instid1(VALU_DEP_2)
	v_add_f64_e32 v[3:4], v[0:1], v[7:8]
	v_add_f64_e32 v[5:6], v[5:6], v[9:10]
	s_wait_alu 0xfffe
	v_add_co_u32 v0, vcc_lo, s58, v159
	s_wait_alu 0xfffd
	v_add_co_ci_u32_e64 v1, null, s59, v160, vcc_lo
	global_store_b128 v[0:1], v[3:6], off
	s_branch .LBB128_2
.LBB128_80:                             ;   in Loop: Header=BB128_4 Depth=1
	ds_load_b128 v[3:6], v173
	s_wait_dscnt 0x0
	ds_store_b128 v172, v[3:6]
	s_wait_alu 0xfffe
	s_or_b32 exec_lo, exec_lo, s36
	s_and_saveexec_b32 s36, s8
	s_cbranch_execz .LBB128_27
.LBB128_81:                             ;   in Loop: Header=BB128_4 Depth=1
	ds_load_b128 v[3:6], v175
	s_wait_dscnt 0x0
	ds_store_b128 v174, v[3:6]
	s_wait_alu 0xfffe
	s_or_b32 exec_lo, exec_lo, s36
	s_and_saveexec_b32 s36, s9
	s_cbranch_execz .LBB128_28
.LBB128_82:                             ;   in Loop: Header=BB128_4 Depth=1
	ds_load_b128 v[3:6], v177
	s_wait_dscnt 0x0
	ds_store_b128 v176, v[3:6]
	s_wait_alu 0xfffe
	s_or_b32 exec_lo, exec_lo, s36
	s_and_saveexec_b32 s36, s10
	s_cbranch_execnz .LBB128_29
	s_branch .LBB128_30
.LBB128_83:                             ;   in Loop: Header=BB128_4 Depth=1
	ds_load_b128 v[11:14], v173
	s_wait_dscnt 0x0
	ds_store_b128 v183, v[11:14]
	s_wait_alu 0xfffe
	s_or_b32 exec_lo, exec_lo, s36
	s_and_saveexec_b32 s36, s8
	s_cbranch_execz .LBB128_48
.LBB128_84:                             ;   in Loop: Header=BB128_4 Depth=1
	ds_load_b128 v[11:14], v175
	s_wait_dscnt 0x0
	ds_store_b128 v184, v[11:14]
	s_wait_alu 0xfffe
	s_or_b32 exec_lo, exec_lo, s36
	s_and_saveexec_b32 s36, s9
	s_cbranch_execz .LBB128_49
.LBB128_85:                             ;   in Loop: Header=BB128_4 Depth=1
	ds_load_b128 v[11:14], v177
	s_wait_dscnt 0x0
	ds_store_b128 v185, v[11:14]
	s_wait_alu 0xfffe
	s_or_b32 exec_lo, exec_lo, s36
	s_and_saveexec_b32 s36, s10
	s_cbranch_execnz .LBB128_50
	s_branch .LBB128_51
.LBB128_86:                             ;   in Loop: Header=BB128_4 Depth=1
	global_load_b128 v[11:14], v[5:6], off
	s_wait_loadcnt 0x0
	ds_store_2addr_b64 v164, v[11:12], v[13:14] offset1:1
	s_or_b32 exec_lo, exec_lo, s36
	s_and_saveexec_b32 s36, s4
	s_wait_alu 0xfffe
	s_xor_b32 s36, exec_lo, s36
	s_cbranch_execz .LBB128_18
.LBB128_87:                             ;   in Loop: Header=BB128_4 Depth=1
	v_dual_mov_b32 v1, v2 :: v_dual_mov_b32 v4, v2
	v_mov_b32_e32 v3, v2
	ds_store_b128 v169, v[1:4]
	s_wait_alu 0xfffe
	s_and_not1_saveexec_b32 s36, s36
	s_cbranch_execz .LBB128_19
.LBB128_88:                             ;   in Loop: Header=BB128_4 Depth=1
	v_add_co_u32 v0, vcc_lo, v5, s40
	s_wait_alu 0xfffd
	v_add_co_ci_u32_e64 v1, null, s41, v6, vcc_lo
	global_load_b128 v[11:14], v[0:1], off
	s_wait_loadcnt 0x0
	ds_store_2addr_b64 v169, v[11:12], v[13:14] offset1:1
	s_wait_alu 0xfffe
	s_or_b32 exec_lo, exec_lo, s36
	s_and_saveexec_b32 s36, s5
	s_wait_alu 0xfffe
	s_xor_b32 s36, exec_lo, s36
	s_cbranch_execz .LBB128_20
.LBB128_89:                             ;   in Loop: Header=BB128_4 Depth=1
	v_dual_mov_b32 v1, v2 :: v_dual_mov_b32 v4, v2
	v_mov_b32_e32 v3, v2
	ds_store_b128 v170, v[1:4]
	s_wait_alu 0xfffe
	s_and_not1_saveexec_b32 s36, s36
	s_cbranch_execz .LBB128_21
.LBB128_90:                             ;   in Loop: Header=BB128_4 Depth=1
	v_add_co_u32 v0, vcc_lo, v5, s42
	s_wait_alu 0xfffd
	v_add_co_ci_u32_e64 v1, null, s43, v6, vcc_lo
	global_load_b128 v[11:14], v[0:1], off
	s_wait_loadcnt 0x0
	ds_store_2addr_b64 v170, v[11:12], v[13:14] offset1:1
	s_wait_alu 0xfffe
	s_or_b32 exec_lo, exec_lo, s36
	s_and_saveexec_b32 s36, s6
	s_wait_alu 0xfffe
	s_xor_b32 s36, exec_lo, s36
	s_cbranch_execz .LBB128_22
.LBB128_91:                             ;   in Loop: Header=BB128_4 Depth=1
	v_dual_mov_b32 v1, v2 :: v_dual_mov_b32 v4, v2
	v_mov_b32_e32 v3, v2
	ds_store_b128 v171, v[1:4]
	s_wait_alu 0xfffe
	s_and_not1_saveexec_b32 s36, s36
	s_cbranch_execnz .LBB128_23
	s_branch .LBB128_24
.LBB128_92:                             ;   in Loop: Header=BB128_4 Depth=1
	global_load_b128 v[13:16], v[11:12], off
	s_wait_loadcnt 0x0
	ds_store_2addr_b64 v164, v[13:14], v[15:16] offset1:1
	s_or_b32 exec_lo, exec_lo, s36
	s_and_saveexec_b32 s36, s14
	s_wait_alu 0xfffe
	s_xor_b32 s36, exec_lo, s36
	s_cbranch_execz .LBB128_39
.LBB128_93:                             ;   in Loop: Header=BB128_4 Depth=1
	v_dual_mov_b32 v1, v2 :: v_dual_mov_b32 v4, v2
	v_mov_b32_e32 v3, v2
	ds_store_b128 v169, v[1:4]
	s_wait_alu 0xfffe
	s_and_not1_saveexec_b32 s36, s36
	s_cbranch_execz .LBB128_40
.LBB128_94:                             ;   in Loop: Header=BB128_4 Depth=1
	v_add_co_u32 v0, vcc_lo, v11, s40
	s_wait_alu 0xfffd
	v_add_co_ci_u32_e64 v1, null, s41, v12, vcc_lo
	global_load_b128 v[13:16], v[0:1], off
	s_wait_loadcnt 0x0
	ds_store_2addr_b64 v169, v[13:14], v[15:16] offset1:1
	s_wait_alu 0xfffe
	s_or_b32 exec_lo, exec_lo, s36
	s_and_saveexec_b32 s36, s15
	s_wait_alu 0xfffe
	s_xor_b32 s36, exec_lo, s36
	s_cbranch_execz .LBB128_41
.LBB128_95:                             ;   in Loop: Header=BB128_4 Depth=1
	v_dual_mov_b32 v1, v2 :: v_dual_mov_b32 v4, v2
	v_mov_b32_e32 v3, v2
	ds_store_b128 v170, v[1:4]
	s_wait_alu 0xfffe
	s_and_not1_saveexec_b32 s36, s36
	s_cbranch_execz .LBB128_42
.LBB128_96:                             ;   in Loop: Header=BB128_4 Depth=1
	v_add_co_u32 v0, vcc_lo, v11, s42
	s_wait_alu 0xfffd
	v_add_co_ci_u32_e64 v1, null, s43, v12, vcc_lo
	global_load_b128 v[13:16], v[0:1], off
	s_wait_loadcnt 0x0
	ds_store_2addr_b64 v170, v[13:14], v[15:16] offset1:1
	s_wait_alu 0xfffe
	s_or_b32 exec_lo, exec_lo, s36
	s_and_saveexec_b32 s36, s16
	s_wait_alu 0xfffe
	s_xor_b32 s36, exec_lo, s36
	s_cbranch_execz .LBB128_43
.LBB128_97:                             ;   in Loop: Header=BB128_4 Depth=1
	v_dual_mov_b32 v1, v2 :: v_dual_mov_b32 v4, v2
	v_mov_b32_e32 v3, v2
	ds_store_b128 v171, v[1:4]
	s_wait_alu 0xfffe
	s_and_not1_saveexec_b32 s36, s36
	s_cbranch_execnz .LBB128_44
	s_branch .LBB128_45
.LBB128_98:                             ;   in Loop: Header=BB128_4 Depth=1
	global_load_b128 v[11:14], v[9:10], off
	s_wait_loadcnt 0x0
	ds_store_2addr_b64 v164, v[11:12], v[13:14] offset1:1
	s_or_b32 exec_lo, exec_lo, s36
	s_and_saveexec_b32 s36, s4
	s_wait_alu 0xfffe
	s_xor_b32 s36, exec_lo, s36
	s_cbranch_execz .LBB128_60
.LBB128_99:                             ;   in Loop: Header=BB128_4 Depth=1
	v_dual_mov_b32 v1, v2 :: v_dual_mov_b32 v4, v2
	v_mov_b32_e32 v3, v2
	ds_store_b128 v169, v[1:4]
	s_wait_alu 0xfffe
	s_and_not1_saveexec_b32 s36, s36
	s_cbranch_execz .LBB128_61
.LBB128_100:                            ;   in Loop: Header=BB128_4 Depth=1
	v_add_co_u32 v0, vcc_lo, v9, s40
	s_wait_alu 0xfffd
	v_add_co_ci_u32_e64 v1, null, s41, v10, vcc_lo
	global_load_b128 v[11:14], v[0:1], off
	s_wait_loadcnt 0x0
	ds_store_2addr_b64 v169, v[11:12], v[13:14] offset1:1
	s_wait_alu 0xfffe
	s_or_b32 exec_lo, exec_lo, s36
	s_and_saveexec_b32 s36, s5
	s_wait_alu 0xfffe
	s_xor_b32 s36, exec_lo, s36
	s_cbranch_execz .LBB128_62
.LBB128_101:                            ;   in Loop: Header=BB128_4 Depth=1
	v_dual_mov_b32 v1, v2 :: v_dual_mov_b32 v4, v2
	v_mov_b32_e32 v3, v2
	ds_store_b128 v170, v[1:4]
	s_wait_alu 0xfffe
	s_and_not1_saveexec_b32 s36, s36
	s_cbranch_execz .LBB128_63
.LBB128_102:                            ;   in Loop: Header=BB128_4 Depth=1
	v_add_co_u32 v0, vcc_lo, v9, s42
	s_wait_alu 0xfffd
	v_add_co_ci_u32_e64 v1, null, s43, v10, vcc_lo
	global_load_b128 v[11:14], v[0:1], off
	s_wait_loadcnt 0x0
	ds_store_2addr_b64 v170, v[11:12], v[13:14] offset1:1
	s_wait_alu 0xfffe
	s_or_b32 exec_lo, exec_lo, s36
	s_and_saveexec_b32 s36, s6
	s_wait_alu 0xfffe
	s_xor_b32 s36, exec_lo, s36
	s_cbranch_execz .LBB128_64
.LBB128_103:                            ;   in Loop: Header=BB128_4 Depth=1
	v_dual_mov_b32 v1, v2 :: v_dual_mov_b32 v4, v2
	v_mov_b32_e32 v3, v2
	ds_store_b128 v171, v[1:4]
	s_wait_alu 0xfffe
	s_and_not1_saveexec_b32 s36, s36
	s_cbranch_execnz .LBB128_65
	s_branch .LBB128_66
.LBB128_104:
	s_nop 0
	s_sendmsg sendmsg(MSG_DEALLOC_VGPRS)
	s_endpgm
	.section	.rodata,"a",@progbits
	.p2align	6, 0x0
	.amdhsa_kernel _ZL26rocblas_hemvn_kernel_lowerILb0ELi64ELi4ELi33ELi32ELi16El19rocblas_complex_numIdEPKS1_PS1_EviT6_lT7_lT5_lS6_lS7_lS5_lT8_i
		.amdhsa_group_segment_fixed_size 19200
		.amdhsa_private_segment_fixed_size 0
		.amdhsa_kernarg_size 392
		.amdhsa_user_sgpr_count 2
		.amdhsa_user_sgpr_dispatch_ptr 0
		.amdhsa_user_sgpr_queue_ptr 0
		.amdhsa_user_sgpr_kernarg_segment_ptr 1
		.amdhsa_user_sgpr_dispatch_id 0
		.amdhsa_user_sgpr_private_segment_size 0
		.amdhsa_wavefront_size32 1
		.amdhsa_uses_dynamic_stack 0
		.amdhsa_enable_private_segment 0
		.amdhsa_system_sgpr_workgroup_id_x 1
		.amdhsa_system_sgpr_workgroup_id_y 0
		.amdhsa_system_sgpr_workgroup_id_z 1
		.amdhsa_system_sgpr_workgroup_info 0
		.amdhsa_system_vgpr_workitem_id 1
		.amdhsa_next_free_vgpr 250
		.amdhsa_next_free_sgpr 66
		.amdhsa_reserve_vcc 1
		.amdhsa_float_round_mode_32 0
		.amdhsa_float_round_mode_16_64 0
		.amdhsa_float_denorm_mode_32 3
		.amdhsa_float_denorm_mode_16_64 3
		.amdhsa_fp16_overflow 0
		.amdhsa_workgroup_processor_mode 1
		.amdhsa_memory_ordered 1
		.amdhsa_forward_progress 1
		.amdhsa_inst_pref_size 77
		.amdhsa_round_robin_scheduling 0
		.amdhsa_exception_fp_ieee_invalid_op 0
		.amdhsa_exception_fp_denorm_src 0
		.amdhsa_exception_fp_ieee_div_zero 0
		.amdhsa_exception_fp_ieee_overflow 0
		.amdhsa_exception_fp_ieee_underflow 0
		.amdhsa_exception_fp_ieee_inexact 0
		.amdhsa_exception_int_div_zero 0
	.end_amdhsa_kernel
	.section	.text._ZL26rocblas_hemvn_kernel_lowerILb0ELi64ELi4ELi33ELi32ELi16El19rocblas_complex_numIdEPKS1_PS1_EviT6_lT7_lT5_lS6_lS7_lS5_lT8_i,"axG",@progbits,_ZL26rocblas_hemvn_kernel_lowerILb0ELi64ELi4ELi33ELi32ELi16El19rocblas_complex_numIdEPKS1_PS1_EviT6_lT7_lT5_lS6_lS7_lS5_lT8_i,comdat
.Lfunc_end128:
	.size	_ZL26rocblas_hemvn_kernel_lowerILb0ELi64ELi4ELi33ELi32ELi16El19rocblas_complex_numIdEPKS1_PS1_EviT6_lT7_lT5_lS6_lS7_lS5_lT8_i, .Lfunc_end128-_ZL26rocblas_hemvn_kernel_lowerILb0ELi64ELi4ELi33ELi32ELi16El19rocblas_complex_numIdEPKS1_PS1_EviT6_lT7_lT5_lS6_lS7_lS5_lT8_i
                                        ; -- End function
	.set _ZL26rocblas_hemvn_kernel_lowerILb0ELi64ELi4ELi33ELi32ELi16El19rocblas_complex_numIdEPKS1_PS1_EviT6_lT7_lT5_lS6_lS7_lS5_lT8_i.num_vgpr, 250
	.set _ZL26rocblas_hemvn_kernel_lowerILb0ELi64ELi4ELi33ELi32ELi16El19rocblas_complex_numIdEPKS1_PS1_EviT6_lT7_lT5_lS6_lS7_lS5_lT8_i.num_agpr, 0
	.set _ZL26rocblas_hemvn_kernel_lowerILb0ELi64ELi4ELi33ELi32ELi16El19rocblas_complex_numIdEPKS1_PS1_EviT6_lT7_lT5_lS6_lS7_lS5_lT8_i.numbered_sgpr, 66
	.set _ZL26rocblas_hemvn_kernel_lowerILb0ELi64ELi4ELi33ELi32ELi16El19rocblas_complex_numIdEPKS1_PS1_EviT6_lT7_lT5_lS6_lS7_lS5_lT8_i.num_named_barrier, 0
	.set _ZL26rocblas_hemvn_kernel_lowerILb0ELi64ELi4ELi33ELi32ELi16El19rocblas_complex_numIdEPKS1_PS1_EviT6_lT7_lT5_lS6_lS7_lS5_lT8_i.private_seg_size, 0
	.set _ZL26rocblas_hemvn_kernel_lowerILb0ELi64ELi4ELi33ELi32ELi16El19rocblas_complex_numIdEPKS1_PS1_EviT6_lT7_lT5_lS6_lS7_lS5_lT8_i.uses_vcc, 1
	.set _ZL26rocblas_hemvn_kernel_lowerILb0ELi64ELi4ELi33ELi32ELi16El19rocblas_complex_numIdEPKS1_PS1_EviT6_lT7_lT5_lS6_lS7_lS5_lT8_i.uses_flat_scratch, 0
	.set _ZL26rocblas_hemvn_kernel_lowerILb0ELi64ELi4ELi33ELi32ELi16El19rocblas_complex_numIdEPKS1_PS1_EviT6_lT7_lT5_lS6_lS7_lS5_lT8_i.has_dyn_sized_stack, 0
	.set _ZL26rocblas_hemvn_kernel_lowerILb0ELi64ELi4ELi33ELi32ELi16El19rocblas_complex_numIdEPKS1_PS1_EviT6_lT7_lT5_lS6_lS7_lS5_lT8_i.has_recursion, 0
	.set _ZL26rocblas_hemvn_kernel_lowerILb0ELi64ELi4ELi33ELi32ELi16El19rocblas_complex_numIdEPKS1_PS1_EviT6_lT7_lT5_lS6_lS7_lS5_lT8_i.has_indirect_call, 0
	.section	.AMDGPU.csdata,"",@progbits
; Kernel info:
; codeLenInByte = 9780
; TotalNumSgprs: 68
; NumVgprs: 250
; ScratchSize: 0
; MemoryBound: 0
; FloatMode: 240
; IeeeMode: 1
; LDSByteSize: 19200 bytes/workgroup (compile time only)
; SGPRBlocks: 0
; VGPRBlocks: 31
; NumSGPRsForWavesPerEU: 68
; NumVGPRsForWavesPerEU: 250
; Occupancy: 5
; WaveLimiterHint : 1
; COMPUTE_PGM_RSRC2:SCRATCH_EN: 0
; COMPUTE_PGM_RSRC2:USER_SGPR: 2
; COMPUTE_PGM_RSRC2:TRAP_HANDLER: 0
; COMPUTE_PGM_RSRC2:TGID_X_EN: 1
; COMPUTE_PGM_RSRC2:TGID_Y_EN: 0
; COMPUTE_PGM_RSRC2:TGID_Z_EN: 1
; COMPUTE_PGM_RSRC2:TIDIG_COMP_CNT: 1
	.section	.text._ZL26rocblas_hemvn_kernel_lowerILb0ELi64ELi4ELi33ELi32ELi16Ei19rocblas_complex_numIdEPKS1_PS1_EviT6_lT7_lT5_lS6_lS7_lS5_lT8_i,"axG",@progbits,_ZL26rocblas_hemvn_kernel_lowerILb0ELi64ELi4ELi33ELi32ELi16Ei19rocblas_complex_numIdEPKS1_PS1_EviT6_lT7_lT5_lS6_lS7_lS5_lT8_i,comdat
	.globl	_ZL26rocblas_hemvn_kernel_lowerILb0ELi64ELi4ELi33ELi32ELi16Ei19rocblas_complex_numIdEPKS1_PS1_EviT6_lT7_lT5_lS6_lS7_lS5_lT8_i ; -- Begin function _ZL26rocblas_hemvn_kernel_lowerILb0ELi64ELi4ELi33ELi32ELi16Ei19rocblas_complex_numIdEPKS1_PS1_EviT6_lT7_lT5_lS6_lS7_lS5_lT8_i
	.p2align	8
	.type	_ZL26rocblas_hemvn_kernel_lowerILb0ELi64ELi4ELi33ELi32ELi16Ei19rocblas_complex_numIdEPKS1_PS1_EviT6_lT7_lT5_lS6_lS7_lS5_lT8_i,@function
_ZL26rocblas_hemvn_kernel_lowerILb0ELi64ELi4ELi33ELi32ELi16Ei19rocblas_complex_numIdEPKS1_PS1_EviT6_lT7_lT5_lS6_lS7_lS5_lT8_i: ; @_ZL26rocblas_hemvn_kernel_lowerILb0ELi64ELi4ELi33ELi32ELi16Ei19rocblas_complex_numIdEPKS1_PS1_EviT6_lT7_lT5_lS6_lS7_lS5_lT8_i
; %bb.0:
	s_clause 0x1
	s_load_b64 s[2:3], s[0:1], 0x94
	s_load_b32 s19, s[0:1], 0x80
	s_lshr_b32 s24, ttmp7, 16
	s_wait_kmcnt 0x0
	s_lshr_b32 s4, s2, 16
	s_and_b32 s2, s2, 0xffff
	s_and_b32 s3, s3, 0xffff
	s_mul_i32 s2, s4, s2
	s_delay_alu instid0(SALU_CYCLE_1) | instskip(NEXT) | instid1(SALU_CYCLE_1)
	s_mul_i32 s2, s2, s3
	s_cmp_lg_u32 s2, 0x100
	s_cselect_b32 s2, -1, 0
	s_cmp_ge_u32 s24, s19
	s_cselect_b32 s3, -1, 0
	s_delay_alu instid0(SALU_CYCLE_1) | instskip(NEXT) | instid1(SALU_CYCLE_1)
	s_or_b32 s2, s2, s3
	s_and_b32 vcc_lo, exec_lo, s2
	s_cbranch_vccnz .LBB129_104
; %bb.1:
	s_clause 0x7
	s_load_b128 s[12:15], s[0:1], 0x8
	s_load_b32 s2, s[0:1], 0x0
	s_load_b128 s[4:7], s[0:1], 0x20
	s_load_b32 s46, s[0:1], 0x30
	s_load_b128 s[20:23], s[0:1], 0x38
	s_load_b96 s[16:18], s[0:1], 0x48
	s_load_b64 s[26:27], s[0:1], 0x58
	s_load_b128 s[8:11], s[0:1], 0x60
	v_bfe_u32 v14, v0, 10, 10
	s_add_nc_u64 s[28:29], s[0:1], 0x88
	v_and_b32_e32 v162, 0x3ff, v0
	s_lshl_b32 s40, ttmp9, 6
	v_and_b32_e32 v2, 31, v0
	v_lshlrev_b32_e32 v15, 6, v14
	s_mov_b32 s25, 0
	v_add_nc_u32_e32 v3, s40, v162
	v_and_b32_e32 v20, 15, v0
	v_lshlrev_b32_e32 v10, 4, v2
	v_add_nc_u32_e32 v16, v15, v162
	v_and_b32_e32 v0, 48, v0
	v_add_nc_u32_e32 v190, 0x4300, v15
	v_lshlrev_b32_e32 v200, 4, v2
	s_wait_kmcnt 0x0
	s_lshl_b64 s[6:7], s[6:7], 4
	v_lshrrev_b32_e32 v11, 5, v16
	s_add_nc_u64 s[4:5], s[4:5], s[6:7]
	v_cmp_neq_f64_e64 s30, s[12:13], 0
	v_cmp_neq_f64_e64 s31, s[14:15], 0
	s_load_b32 s14, s[28:29], 0x0
	v_mul_lo_u32 v4, s18, v3
	s_ashr_i32 s3, s2, 31
	s_load_b64 s[12:13], s[0:1], 0x78
	s_lshr_b32 s1, s3, 26
	v_mad_co_u64_u32 v[6:7], null, s46, v11, v[2:3]
	s_add_co_i32 s1, s2, s1
	s_ashr_i32 s47, s46, 31
	v_ashrrev_i32_e32 v5, 31, v4
	s_and_not1_b32 s1, s1, 63
	s_lshl_b64 s[16:17], s[16:17], 4
	s_sub_co_i32 s1, s2, s1
	v_ashrrev_i32_e32 v7, 31, v6
	v_lshlrev_b64_e32 v[4:5], 4, v[4:5]
	v_cmp_neq_f64_e64 s48, s[10:11], 0
	s_add_nc_u64 s[10:11], s[22:23], s[16:17]
	v_cmp_neq_f64_e64 s44, s[8:9], 1.0
	v_lshlrev_b64_e32 v[8:9], 4, v[6:7]
	s_mul_i32 s8, s2, ttmp9
	s_wait_kmcnt 0x0
	s_add_co_i32 s6, s14, -1
	s_wait_alu 0xfffe
	v_add_co_u32 v166, vcc_lo, s10, v4
	s_delay_alu instid0(VALU_DEP_1)
	v_add_co_ci_u32_e64 v167, null, s11, v5, vcc_lo
	s_mul_i32 s42, s46, s40
	v_lshlrev_b32_e32 v13, 2, v11
	s_mov_b32 s15, s25
	v_lshl_or_b32 v17, v2, 9, v10
	s_wait_alu 0xfffe
	s_mul_u64 s[22:23], s[14:15], s[2:3]
	v_lshlrev_b32_e32 v18, 6, v11
	v_or_b32_e32 v19, 1, v13
	v_mad_u32_u24 v165, 0x210, v11, v10
	v_mad_u32_u24 v174, 0x840, v11, v10
	v_add_nc_u32_e32 v5, 16, v11
	v_add_nc_u32_e32 v173, v17, v18
	v_or_b32_e32 v17, 2, v13
	s_or_b32 s45, s30, s31
	s_cmp_eq_u32 ttmp9, s6
	v_mad_u32_u24 v176, 0x210, v19, v10
	s_cselect_b32 s28, s1, 0
	v_or_b32_e32 v10, 3, v13
	s_cmp_eq_u32 s28, 0
	v_cmp_le_i32_e32 vcc_lo, s28, v162
	s_cselect_b32 s33, -1, 0
	s_cmp_lg_u32 s28, 0
	v_add_nc_u32_e32 v12, 24, v11
	s_cselect_b32 s1, -1, 0
	s_ashr_i32 s41, s40, 31
	s_and_b32 s1, s1, vcc_lo
	s_wait_alu 0xfffe
	s_lshl_b64 s[6:7], s[40:41], 4
	s_ashr_i32 s9, s8, 31
	s_add_nc_u64 s[4:5], s[4:5], s[6:7]
	s_ashr_i32 s43, s42, 31
	v_add_co_u32 v1, vcc_lo, s4, v8
	s_wait_alu 0xfffd
	v_add_co_ci_u32_e64 v4, null, s5, v9, vcc_lo
	s_wait_alu 0xfffe
	s_lshl_b64 s[2:3], s[8:9], 4
	s_lshl_b64 s[8:9], s[42:43], 4
	v_cmp_lt_u32_e64 s7, v13, v2
	s_wait_alu 0xfffe
	v_add_co_u32 v168, vcc_lo, v1, s8
	s_wait_alu 0xfffd
	v_add_co_ci_u32_e64 v169, null, s9, v4, vcc_lo
	v_add_nc_u32_e32 v4, 8, v11
	v_mul_u32_u24_e32 v13, 33, v2
	s_sub_co_i32 s16, s28, 32
	v_cmp_lt_u32_e64 s8, v19, v2
	v_cmp_lt_u32_e64 s9, v17, v2
	v_cmp_le_i32_e64 s4, s28, v4
	v_cmp_le_i32_e64 s14, s16, v4
	v_mul_lo_u32 v4, v14, s46
	v_lshlrev_b32_e32 v17, 4, v11
	v_lshlrev_b32_e32 v179, 4, v13
	v_lshrrev_b32_e32 v19, 4, v16
	v_cmp_lt_u32_e64 s10, v10, v2
	v_or_b32_e32 v10, 32, v2
	s_mul_i32 s40, s18, s40
	v_mov_b32_e32 v1, 0
	v_cmp_le_i32_e64 s5, s28, v5
	v_add_nc_u32_e32 v183, v179, v17
	v_cmp_le_i32_e64 s15, s16, v5
	v_lshl_add_u32 v5, v4, 2, v162
	v_lshlrev_b32_e32 v4, 6, v19
	v_lshlrev_b32_e32 v163, 4, v162
	s_wait_alu 0xfffe
	s_ashr_i32 s41, s40, 31
	s_add_nc_u64 s[34:35], s[12:13], s[2:3]
	v_sub_co_u32 v8, s3, 0, v2
	v_cmp_le_i32_e64 s6, s28, v12
	v_cmp_gt_i32_e64 s12, s28, v10
	v_cmp_le_i32_e64 s13, s16, v11
	v_cmp_le_i32_e64 s16, s16, v12
	s_wait_alu 0xfffe
	s_sub_nc_u64 s[54:55], 0, s[40:41]
	v_sub_co_u32 v10, vcc_lo, 0, v6
	v_sub_co_u32 v12, s40, 0, v162
	v_sub_co_ci_u32_e64 v9, null, 0, 0, s3
	v_cmp_le_i32_e64 s3, s28, v11
	v_add_nc_u32_e32 v182, 0x4700, v18
	v_add_nc_u32_e32 v184, v179, v18
	v_cmp_eq_u32_e64 s17, 1, v11
	v_mul_i32_i24_e32 v18, 0xffffffd0, v11
	v_mad_u32_u24 v188, v11, 48, v183
	s_wait_alu 0xfffd
	v_sub_co_ci_u32_e64 v11, null, 0, v7, vcc_lo
	v_ashrrev_i32_e32 v6, 31, v5
	s_wait_alu 0xf1ff
	v_sub_co_ci_u32_e64 v13, null, 0, 0, s40
	v_mad_u32_u24 v192, 0x430, v20, v4
	v_ashrrev_i32_e32 v4, 31, v3
	s_lshl_b32 s30, s46, 3
	s_lshl_b32 s36, s46, 4
	s_mul_i32 s38, s46, 24
	s_lshl_b32 s50, s46, 5
	v_lshlrev_b32_e32 v0, 4, v0
	v_or_b32_e32 v7, 0xf0, v163
	v_mul_i32_i24_e32 v15, 0xffffffd0, v19
	v_cmp_eq_u32_e64 s0, 0, v14
	s_ashr_i32 s31, s30, 31
	s_ashr_i32 s37, s36, 31
	;; [unrolled: 1-line block ×5, first 2 shown]
	s_xor_b32 s49, s1, -1
	s_cmp_gt_i32 ttmp9, 0
	v_lshlrev_b64_e32 v[152:153], 4, v[8:9]
	v_lshlrev_b64_e32 v[154:155], 4, v[10:11]
	;; [unrolled: 1-line block ×5, first 2 shown]
	v_add_nc_u32_e32 v164, 0x4700, v163
	v_add_nc_u32_e32 v170, 0x1080, v165
	;; [unrolled: 1-line block ×4, first 2 shown]
	v_cmp_gt_i32_e64 s2, s28, v2
	v_add_nc_u32_e32 v175, 16, v173
	v_add_nc_u32_e32 v177, 32, v173
	;; [unrolled: 1-line block ×5, first 2 shown]
	v_cmp_gt_u32_e64 s11, 32, v16
	v_add_nc_u32_e32 v185, 16, v184
	v_add_nc_u32_e32 v186, 32, v184
	;; [unrolled: 1-line block ×3, first 2 shown]
	s_cselect_b32 s60, -1, 0
	s_lshl_b32 s61, s18, 6
	v_add_nc_u32_e32 v189, 0x4300, v163
	v_mad_u32_u24 v191, 0x10c0, v14, v163
	v_cmp_gt_u32_e64 s18, 64, v16
	v_mad_u32_u24 v193, 0x430, v20, v0
	v_mad_u32_u24 v194, 0x430, v20, v7
	;; [unrolled: 1-line block ×3, first 2 shown]
	v_cndmask_b32_e64 v196, 0, 1, s45
	v_add_nc_u32_e32 v197, 0x4700, v17
	v_add_nc_u32_e32 v198, v182, v18
	;; [unrolled: 1-line block ×3, first 2 shown]
	s_sub_nc_u64 s[52:53], 0, s[50:51]
	s_sub_nc_u64 s[56:57], 0, s[42:43]
	s_and_b32 s62, s0, s49
	s_or_b32 s49, s45, s44
	s_lshl_b64 s[40:41], s[46:47], 7
	s_wait_alu 0xfffe
	s_sub_nc_u64 s[42:43], 0, s[28:29]
	s_lshl_b64 s[44:45], s[46:47], 4
	s_mul_u64 s[46:47], s[46:47], 0xd0
	s_or_b32 s63, s49, s48
	s_lshl_b64 s[48:49], s[50:51], 4
	s_lshl_b64 s[50:51], s[52:53], 4
	;; [unrolled: 1-line block ×4, first 2 shown]
	s_branch .LBB129_4
.LBB129_2:                              ;   in Loop: Header=BB129_4 Depth=1
	s_wait_alu 0xfffe
	s_or_b32 exec_lo, exec_lo, s58
.LBB129_3:                              ;   in Loop: Header=BB129_4 Depth=1
	s_add_co_i32 s24, s24, 0x10000
	s_delay_alu instid0(SALU_CYCLE_1)
	s_cmp_lt_u32 s24, s19
	s_cbranch_scc0 .LBB129_104
.LBB129_4:                              ; =>This Loop Header: Depth=1
                                        ;     Child Loop BB129_74 Depth 2
	s_and_not1_b32 vcc_lo, exec_lo, s63
	s_wait_alu 0xfffe
	s_cbranch_vccnz .LBB129_3
; %bb.5:                                ;   in Loop: Header=BB129_4 Depth=1
	v_cmp_ne_u32_e32 vcc_lo, 1, v196
	s_cbranch_vccnz .LBB129_3
; %bb.6:                                ;   in Loop: Header=BB129_4 Depth=1
	s_mul_u64 s[56:57], s[26:27], s[24:25]
	s_wait_alu 0xfffe
	s_lshl_b64 s[56:57], s[56:57], 4
	s_wait_alu 0xfffe
	v_add_co_u32 v40, vcc_lo, v166, s56
	s_wait_alu 0xfffd
	v_add_co_ci_u32_e64 v41, null, s57, v167, vcc_lo
	s_and_saveexec_b32 s56, s0
	s_cbranch_execz .LBB129_11
; %bb.7:                                ;   in Loop: Header=BB129_4 Depth=1
	s_and_saveexec_b32 s57, s1
	s_wait_alu 0xfffe
	s_xor_b32 s57, exec_lo, s57
; %bb.8:                                ;   in Loop: Header=BB129_4 Depth=1
	v_dual_mov_b32 v0, v1 :: v_dual_mov_b32 v3, v1
	v_mov_b32_e32 v2, v1
	ds_store_b128 v164, v[0:3]
; %bb.9:                                ;   in Loop: Header=BB129_4 Depth=1
	s_wait_alu 0xfffe
	s_and_not1_saveexec_b32 s57, s57
	s_cbranch_execz .LBB129_11
; %bb.10:                               ;   in Loop: Header=BB129_4 Depth=1
	global_load_b128 v[2:5], v[40:41], off
	s_wait_loadcnt 0x0
	ds_store_2addr_b64 v164, v[2:3], v[4:5] offset1:1
.LBB129_11:                             ;   in Loop: Header=BB129_4 Depth=1
	s_wait_alu 0xfffe
	s_or_b32 exec_lo, exec_lo, s56
	s_mul_u64 s[56:57], s[20:21], s[24:25]
	s_wait_alu 0xfffe
	s_lshl_b64 s[56:57], s[56:57], 4
	s_wait_alu 0xfffe
	v_add_co_u32 v8, vcc_lo, v168, s56
	s_wait_alu 0xfffd
	v_add_co_ci_u32_e64 v9, null, s57, v169, vcc_lo
	s_and_not1_b32 vcc_lo, exec_lo, s33
	s_mov_b32 s56, -1
	s_wait_alu 0xfffe
	s_cbranch_vccnz .LBB129_13
; %bb.12:                               ;   in Loop: Header=BB129_4 Depth=1
	s_lshl_b64 s[56:57], s[30:31], 4
	s_wait_alu 0xfffe
	v_add_co_u32 v6, vcc_lo, v8, s56
	s_wait_alu 0xfffd
	v_add_co_ci_u32_e64 v7, null, s57, v9, vcc_lo
	s_mov_b32 s56, 0
	v_add_co_u32 v14, vcc_lo, v6, s40
	s_wait_alu 0xfffd
	v_add_co_ci_u32_e64 v15, null, s41, v7, vcc_lo
	s_delay_alu instid0(VALU_DEP_2) | instskip(SKIP_1) | instid1(VALU_DEP_2)
	v_add_co_u32 v18, vcc_lo, v14, s40
	s_wait_alu 0xfffd
	v_add_co_ci_u32_e64 v19, null, s41, v15, vcc_lo
	s_clause 0x3
	global_load_b128 v[2:5], v[8:9], off
	global_load_b128 v[10:13], v[6:7], off
	;; [unrolled: 1-line block ×4, first 2 shown]
	s_wait_loadcnt 0x3
	ds_store_2addr_b64 v165, v[2:3], v[4:5] offset1:1
	s_wait_loadcnt 0x2
	ds_store_2addr_b64 v170, v[10:11], v[12:13] offset1:1
	;; [unrolled: 2-line block ×4, first 2 shown]
.LBB129_13:                             ;   in Loop: Header=BB129_4 Depth=1
	s_wait_alu 0xfffe
	s_and_not1_b32 vcc_lo, exec_lo, s56
	s_wait_alu 0xfffe
	s_cbranch_vccnz .LBB129_25
; %bb.14:                               ;   in Loop: Header=BB129_4 Depth=1
	s_and_saveexec_b32 s56, s3
	s_wait_alu 0xfffe
	s_xor_b32 s56, exec_lo, s56
; %bb.15:                               ;   in Loop: Header=BB129_4 Depth=1
	v_dual_mov_b32 v0, v1 :: v_dual_mov_b32 v3, v1
	v_mov_b32_e32 v2, v1
	ds_store_b128 v165, v[0:3]
; %bb.16:                               ;   in Loop: Header=BB129_4 Depth=1
	s_wait_alu 0xfffe
	s_or_saveexec_b32 s56, s56
	v_add_co_u32 v0, vcc_lo, v8, v152
	s_wait_alu 0xfffd
	v_add_co_ci_u32_e64 v2, null, v9, v153, vcc_lo
	s_lshl_b64 s[58:59], s[28:29], 4
	s_wait_alu 0xfffe
	v_add_co_u32 v0, vcc_lo, v0, s58
	s_wait_alu 0xfffd
	v_add_co_ci_u32_e64 v2, null, s59, v2, vcc_lo
	s_delay_alu instid0(VALU_DEP_2) | instskip(SKIP_1) | instid1(VALU_DEP_2)
	v_add_co_u32 v0, vcc_lo, v0, -16
	s_wait_alu 0xfffd
	v_add_co_ci_u32_e64 v2, null, -1, v2, vcc_lo
	s_delay_alu instid0(VALU_DEP_2) | instskip(NEXT) | instid1(VALU_DEP_2)
	v_cndmask_b32_e64 v4, v0, v8, s2
	v_cndmask_b32_e64 v5, v2, v9, s2
	s_xor_b32 exec_lo, exec_lo, s56
	s_cbranch_execnz .LBB129_86
; %bb.17:                               ;   in Loop: Header=BB129_4 Depth=1
	s_or_b32 exec_lo, exec_lo, s56
	s_and_saveexec_b32 s56, s4
	s_wait_alu 0xfffe
	s_xor_b32 s56, exec_lo, s56
	s_cbranch_execnz .LBB129_87
.LBB129_18:                             ;   in Loop: Header=BB129_4 Depth=1
	s_wait_alu 0xfffe
	s_and_not1_saveexec_b32 s56, s56
	s_cbranch_execnz .LBB129_88
.LBB129_19:                             ;   in Loop: Header=BB129_4 Depth=1
	s_wait_alu 0xfffe
	s_or_b32 exec_lo, exec_lo, s56
	s_and_saveexec_b32 s56, s5
	s_wait_alu 0xfffe
	s_xor_b32 s56, exec_lo, s56
	s_cbranch_execnz .LBB129_89
.LBB129_20:                             ;   in Loop: Header=BB129_4 Depth=1
	s_wait_alu 0xfffe
	s_and_not1_saveexec_b32 s56, s56
	s_cbranch_execnz .LBB129_90
.LBB129_21:                             ;   in Loop: Header=BB129_4 Depth=1
	s_wait_alu 0xfffe
	s_or_b32 exec_lo, exec_lo, s56
	s_and_saveexec_b32 s56, s6
	s_wait_alu 0xfffe
	s_xor_b32 s56, exec_lo, s56
	s_cbranch_execnz .LBB129_91
.LBB129_22:                             ;   in Loop: Header=BB129_4 Depth=1
	s_wait_alu 0xfffe
	s_and_not1_saveexec_b32 s56, s56
	s_cbranch_execz .LBB129_24
.LBB129_23:                             ;   in Loop: Header=BB129_4 Depth=1
	s_lshl_b64 s[58:59], s[38:39], 4
	s_wait_alu 0xfffe
	v_add_co_u32 v2, vcc_lo, v4, s58
	s_wait_alu 0xfffd
	v_add_co_ci_u32_e64 v3, null, s59, v5, vcc_lo
	global_load_b128 v[10:13], v[2:3], off
	s_wait_loadcnt 0x0
	ds_store_2addr_b64 v172, v[10:11], v[12:13] offset1:1
.LBB129_24:                             ;   in Loop: Header=BB129_4 Depth=1
	s_wait_alu 0xfffe
	s_or_b32 exec_lo, exec_lo, s56
	v_add_co_u32 v0, vcc_lo, v4, v200
	s_wait_alu 0xfffd
	v_add_co_ci_u32_e64 v2, null, 0, v5, vcc_lo
	s_lshl_b64 s[56:57], s[42:43], 4
	s_wait_alu 0xfffe
	v_add_co_u32 v0, vcc_lo, v0, s56
	s_wait_alu 0xfffd
	v_add_co_ci_u32_e64 v2, null, s57, v2, vcc_lo
	s_delay_alu instid0(VALU_DEP_2) | instskip(SKIP_1) | instid1(VALU_DEP_2)
	v_add_co_u32 v0, vcc_lo, v0, 16
	s_wait_alu 0xfffd
	v_add_co_ci_u32_e64 v2, null, 0, v2, vcc_lo
	s_delay_alu instid0(VALU_DEP_2) | instskip(NEXT) | instid1(VALU_DEP_2)
	v_cndmask_b32_e64 v8, v0, v8, s2
	v_cndmask_b32_e64 v9, v2, v9, s2
.LBB129_25:                             ;   in Loop: Header=BB129_4 Depth=1
	s_wait_dscnt 0x0
	s_barrier_signal -1
	s_barrier_wait -1
	global_inv scope:SCOPE_SE
	s_and_saveexec_b32 s56, s7
	s_cbranch_execnz .LBB129_80
; %bb.26:                               ;   in Loop: Header=BB129_4 Depth=1
	s_wait_alu 0xfffe
	s_or_b32 exec_lo, exec_lo, s56
	s_and_saveexec_b32 s56, s8
	s_cbranch_execnz .LBB129_81
.LBB129_27:                             ;   in Loop: Header=BB129_4 Depth=1
	s_wait_alu 0xfffe
	s_or_b32 exec_lo, exec_lo, s56
	s_and_saveexec_b32 s56, s9
	s_cbranch_execnz .LBB129_82
.LBB129_28:                             ;   in Loop: Header=BB129_4 Depth=1
	s_wait_alu 0xfffe
	s_or_b32 exec_lo, exec_lo, s56
	s_and_saveexec_b32 s56, s10
	s_cbranch_execz .LBB129_30
.LBB129_29:                             ;   in Loop: Header=BB129_4 Depth=1
	ds_load_b128 v[2:5], v181
	s_wait_dscnt 0x0
	ds_store_b128 v180, v[2:5]
.LBB129_30:                             ;   in Loop: Header=BB129_4 Depth=1
	s_wait_alu 0xfffe
	s_or_b32 exec_lo, exec_lo, s56
	s_wait_loadcnt_dscnt 0x0
	s_barrier_signal -1
	s_barrier_wait -1
	global_inv scope:SCOPE_SE
	ds_load_b128 v[2:5], v174
	ds_load_b128 v[10:13], v182
	ds_load_b128 v[14:17], v182 offset:16
	ds_load_b128 v[18:21], v176
	s_wait_dscnt 0x2
	v_mul_f64_e32 v[6:7], v[12:13], v[4:5]
	v_mul_f64_e32 v[4:5], v[10:11], v[4:5]
	s_wait_dscnt 0x0
	v_mul_f64_e32 v[28:29], v[16:17], v[20:21]
	v_mul_f64_e32 v[30:31], v[14:15], v[20:21]
	s_delay_alu instid0(VALU_DEP_4) | instskip(NEXT) | instid1(VALU_DEP_4)
	v_fma_f64 v[6:7], v[10:11], v[2:3], -v[6:7]
	v_fma_f64 v[32:33], v[12:13], v[2:3], v[4:5]
	ds_load_b128 v[2:5], v178
	ds_load_b128 v[10:13], v182 offset:32
	ds_load_b128 v[20:23], v182 offset:48
	ds_load_b128 v[24:27], v181
	v_fma_f64 v[14:15], v[14:15], v[18:19], -v[28:29]
	v_fma_f64 v[16:17], v[16:17], v[18:19], v[30:31]
	s_wait_loadcnt_dscnt 0x0
	s_barrier_signal -1
	s_barrier_wait -1
	global_inv scope:SCOPE_SE
	v_mul_f64_e32 v[34:35], v[12:13], v[4:5]
	v_mul_f64_e32 v[4:5], v[10:11], v[4:5]
	;; [unrolled: 1-line block ×4, first 2 shown]
	v_add_f64_e32 v[6:7], 0, v[6:7]
	v_add_f64_e32 v[18:19], 0, v[32:33]
	v_fma_f64 v[10:11], v[10:11], v[2:3], -v[34:35]
	v_fma_f64 v[2:3], v[12:13], v[2:3], v[4:5]
	v_fma_f64 v[12:13], v[20:21], v[24:25], -v[28:29]
	v_add_f64_e32 v[4:5], v[6:7], v[14:15]
	v_add_f64_e32 v[6:7], v[18:19], v[16:17]
	v_fma_f64 v[14:15], v[22:23], v[24:25], v[26:27]
	s_delay_alu instid0(VALU_DEP_3) | instskip(NEXT) | instid1(VALU_DEP_3)
	v_add_f64_e32 v[4:5], v[4:5], v[10:11]
	v_add_f64_e32 v[2:3], v[6:7], v[2:3]
	v_mov_b32_e32 v6, 0
	v_mov_b32_e32 v7, 0
	s_delay_alu instid0(VALU_DEP_4) | instskip(NEXT) | instid1(VALU_DEP_4)
	v_add_f64_e32 v[10:11], v[4:5], v[12:13]
	v_add_f64_e32 v[12:13], v[2:3], v[14:15]
	v_mov_b32_e32 v4, 0
	v_mov_b32_e32 v5, 0
	ds_store_b128 v183, v[10:13]
	s_wait_loadcnt_dscnt 0x0
	s_barrier_signal -1
	s_barrier_wait -1
	global_inv scope:SCOPE_SE
	s_and_saveexec_b32 s56, s11
	s_cbranch_execz .LBB129_32
; %bb.31:                               ;   in Loop: Header=BB129_4 Depth=1
	ds_load_b128 v[2:5], v179
	ds_load_b128 v[10:13], v179 offset:16
	s_wait_dscnt 0x0
	v_add_f64_e32 v[6:7], v[10:11], v[2:3]
	v_add_f64_e32 v[14:15], v[12:13], v[4:5]
	ds_load_b128 v[2:5], v179 offset:32
	ds_load_b128 v[10:13], v179 offset:48
	s_wait_dscnt 0x1
	v_add_f64_e32 v[2:3], v[6:7], v[2:3]
	v_add_f64_e32 v[4:5], v[14:15], v[4:5]
	s_wait_dscnt 0x0
	s_delay_alu instid0(VALU_DEP_2) | instskip(NEXT) | instid1(VALU_DEP_2)
	v_add_f64_e32 v[6:7], v[2:3], v[10:11]
	v_add_f64_e32 v[14:15], v[4:5], v[12:13]
	ds_load_b128 v[2:5], v179 offset:64
	ds_load_b128 v[10:13], v179 offset:80
	s_wait_dscnt 0x1
	v_add_f64_e32 v[2:3], v[6:7], v[2:3]
	v_add_f64_e32 v[4:5], v[14:15], v[4:5]
	s_wait_dscnt 0x0
	s_delay_alu instid0(VALU_DEP_2) | instskip(NEXT) | instid1(VALU_DEP_2)
	;; [unrolled: 9-line block ×3, first 2 shown]
	v_add_f64_e32 v[4:5], v[2:3], v[10:11]
	v_add_f64_e32 v[6:7], v[6:7], v[12:13]
.LBB129_32:                             ;   in Loop: Header=BB129_4 Depth=1
	s_wait_alu 0xfffe
	s_or_b32 exec_lo, exec_lo, s56
	v_add_co_u32 v10, vcc_lo, v8, s48
	s_wait_alu 0xfffd
	v_add_co_ci_u32_e64 v11, null, s49, v9, vcc_lo
	s_mov_b32 s56, -1
	v_add_co_u32 v8, vcc_lo, 0x200, v10
	s_wait_alu 0xfffd
	v_add_co_ci_u32_e64 v9, null, 0, v11, vcc_lo
	s_and_not1_b32 vcc_lo, exec_lo, s33
	s_wait_loadcnt 0x0
	s_barrier_signal -1
	s_barrier_wait -1
	global_inv scope:SCOPE_SE
	s_wait_alu 0xfffe
	s_cbranch_vccnz .LBB129_34
; %bb.33:                               ;   in Loop: Header=BB129_4 Depth=1
	s_lshl_b64 s[56:57], s[30:31], 4
	s_wait_alu 0xfffe
	v_add_co_u32 v2, vcc_lo, v10, s56
	s_wait_alu 0xfffd
	v_add_co_ci_u32_e64 v3, null, s57, v11, vcc_lo
	s_mov_b32 s56, 0
	v_add_co_u32 v20, vcc_lo, v2, s40
	s_wait_alu 0xfffd
	v_add_co_ci_u32_e64 v21, null, s41, v3, vcc_lo
	s_delay_alu instid0(VALU_DEP_2) | instskip(SKIP_1) | instid1(VALU_DEP_2)
	v_add_co_u32 v24, vcc_lo, v20, s40
	s_wait_alu 0xfffd
	v_add_co_ci_u32_e64 v25, null, s41, v21, vcc_lo
	s_clause 0x3
	global_load_b128 v[12:15], v[8:9], off
	global_load_b128 v[16:19], v[2:3], off offset:512
	global_load_b128 v[20:23], v[20:21], off offset:512
	;; [unrolled: 1-line block ×3, first 2 shown]
	s_wait_loadcnt 0x3
	ds_store_2addr_b64 v165, v[12:13], v[14:15] offset1:1
	s_wait_loadcnt 0x2
	ds_store_2addr_b64 v170, v[16:17], v[18:19] offset1:1
	;; [unrolled: 2-line block ×4, first 2 shown]
.LBB129_34:                             ;   in Loop: Header=BB129_4 Depth=1
	s_wait_alu 0xfffe
	s_and_not1_b32 vcc_lo, exec_lo, s56
	s_wait_alu 0xfffe
	s_cbranch_vccnz .LBB129_46
; %bb.35:                               ;   in Loop: Header=BB129_4 Depth=1
	s_and_saveexec_b32 s56, s13
	s_wait_alu 0xfffe
	s_xor_b32 s56, exec_lo, s56
; %bb.36:                               ;   in Loop: Header=BB129_4 Depth=1
	v_dual_mov_b32 v0, v1 :: v_dual_mov_b32 v3, v1
	v_mov_b32_e32 v2, v1
	ds_store_b128 v165, v[0:3]
; %bb.37:                               ;   in Loop: Header=BB129_4 Depth=1
	s_wait_alu 0xfffe
	s_or_saveexec_b32 s56, s56
	v_add_co_u32 v0, vcc_lo, v10, v152
	s_wait_alu 0xfffd
	v_add_co_ci_u32_e64 v2, null, v11, v153, vcc_lo
	s_lshl_b64 s[58:59], s[28:29], 4
	s_wait_alu 0xfffe
	v_add_co_u32 v0, vcc_lo, v0, s58
	s_wait_alu 0xfffd
	v_add_co_ci_u32_e64 v2, null, s59, v2, vcc_lo
	s_delay_alu instid0(VALU_DEP_2) | instskip(SKIP_1) | instid1(VALU_DEP_2)
	v_add_co_u32 v0, vcc_lo, v0, -16
	s_wait_alu 0xfffd
	v_add_co_ci_u32_e64 v2, null, -1, v2, vcc_lo
	s_delay_alu instid0(VALU_DEP_2) | instskip(NEXT) | instid1(VALU_DEP_2)
	v_cndmask_b32_e64 v10, v0, v8, s12
	v_cndmask_b32_e64 v11, v2, v9, s12
	s_xor_b32 exec_lo, exec_lo, s56
	s_cbranch_execnz .LBB129_92
; %bb.38:                               ;   in Loop: Header=BB129_4 Depth=1
	s_or_b32 exec_lo, exec_lo, s56
	s_and_saveexec_b32 s56, s14
	s_wait_alu 0xfffe
	s_xor_b32 s56, exec_lo, s56
	s_cbranch_execnz .LBB129_93
.LBB129_39:                             ;   in Loop: Header=BB129_4 Depth=1
	s_wait_alu 0xfffe
	s_and_not1_saveexec_b32 s56, s56
	s_cbranch_execnz .LBB129_94
.LBB129_40:                             ;   in Loop: Header=BB129_4 Depth=1
	s_wait_alu 0xfffe
	s_or_b32 exec_lo, exec_lo, s56
	s_and_saveexec_b32 s56, s15
	s_wait_alu 0xfffe
	s_xor_b32 s56, exec_lo, s56
	s_cbranch_execnz .LBB129_95
.LBB129_41:                             ;   in Loop: Header=BB129_4 Depth=1
	s_wait_alu 0xfffe
	s_and_not1_saveexec_b32 s56, s56
	s_cbranch_execnz .LBB129_96
.LBB129_42:                             ;   in Loop: Header=BB129_4 Depth=1
	s_wait_alu 0xfffe
	s_or_b32 exec_lo, exec_lo, s56
	s_and_saveexec_b32 s56, s16
	s_wait_alu 0xfffe
	s_xor_b32 s56, exec_lo, s56
	s_cbranch_execnz .LBB129_97
.LBB129_43:                             ;   in Loop: Header=BB129_4 Depth=1
	s_wait_alu 0xfffe
	s_and_not1_saveexec_b32 s56, s56
	s_cbranch_execz .LBB129_45
.LBB129_44:                             ;   in Loop: Header=BB129_4 Depth=1
	s_lshl_b64 s[58:59], s[38:39], 4
	s_wait_alu 0xfffe
	v_add_co_u32 v2, vcc_lo, v10, s58
	s_wait_alu 0xfffd
	v_add_co_ci_u32_e64 v3, null, s59, v11, vcc_lo
	global_load_b128 v[12:15], v[2:3], off
	s_wait_loadcnt 0x0
	ds_store_2addr_b64 v172, v[12:13], v[14:15] offset1:1
.LBB129_45:                             ;   in Loop: Header=BB129_4 Depth=1
	s_wait_alu 0xfffe
	s_or_b32 exec_lo, exec_lo, s56
	v_add_co_u32 v0, vcc_lo, v10, v200
	s_wait_alu 0xfffd
	v_add_co_ci_u32_e64 v2, null, 0, v11, vcc_lo
	s_lshl_b64 s[56:57], s[42:43], 4
	s_wait_alu 0xfffe
	v_add_co_u32 v0, vcc_lo, v0, s56
	s_wait_alu 0xfffd
	v_add_co_ci_u32_e64 v2, null, s57, v2, vcc_lo
	s_delay_alu instid0(VALU_DEP_2) | instskip(SKIP_1) | instid1(VALU_DEP_2)
	v_add_co_u32 v0, vcc_lo, 0x210, v0
	s_wait_alu 0xfffd
	v_add_co_ci_u32_e64 v2, null, 0, v2, vcc_lo
	s_delay_alu instid0(VALU_DEP_2) | instskip(NEXT) | instid1(VALU_DEP_2)
	v_cndmask_b32_e64 v8, v0, v8, s12
	v_cndmask_b32_e64 v9, v2, v9, s12
.LBB129_46:                             ;   in Loop: Header=BB129_4 Depth=1
	s_wait_loadcnt_dscnt 0x0
	s_barrier_signal -1
	s_barrier_wait -1
	global_inv scope:SCOPE_SE
	s_and_saveexec_b32 s56, s7
	s_cbranch_execnz .LBB129_83
; %bb.47:                               ;   in Loop: Header=BB129_4 Depth=1
	s_wait_alu 0xfffe
	s_or_b32 exec_lo, exec_lo, s56
	s_and_saveexec_b32 s56, s8
	s_cbranch_execnz .LBB129_84
.LBB129_48:                             ;   in Loop: Header=BB129_4 Depth=1
	s_wait_alu 0xfffe
	s_or_b32 exec_lo, exec_lo, s56
	s_and_saveexec_b32 s56, s9
	s_cbranch_execnz .LBB129_85
.LBB129_49:                             ;   in Loop: Header=BB129_4 Depth=1
	s_wait_alu 0xfffe
	s_or_b32 exec_lo, exec_lo, s56
	s_and_saveexec_b32 s56, s10
	s_cbranch_execz .LBB129_51
.LBB129_50:                             ;   in Loop: Header=BB129_4 Depth=1
	ds_load_b128 v[10:13], v181
	s_wait_dscnt 0x0
	ds_store_b128 v187, v[10:13]
.LBB129_51:                             ;   in Loop: Header=BB129_4 Depth=1
	s_wait_alu 0xfffe
	s_or_b32 exec_lo, exec_lo, s56
	s_wait_loadcnt_dscnt 0x0
	s_barrier_signal -1
	s_barrier_wait -1
	global_inv scope:SCOPE_SE
	ds_load_b128 v[10:13], v174
	ds_load_b128 v[14:17], v182 offset:512
	ds_load_b128 v[18:21], v182 offset:528
	ds_load_b128 v[22:25], v176
	s_wait_dscnt 0x2
	v_mul_f64_e32 v[2:3], v[16:17], v[12:13]
	v_mul_f64_e32 v[12:13], v[14:15], v[12:13]
	s_wait_dscnt 0x0
	v_mul_f64_e32 v[32:33], v[20:21], v[24:25]
	v_mul_f64_e32 v[34:35], v[18:19], v[24:25]
	s_delay_alu instid0(VALU_DEP_4) | instskip(NEXT) | instid1(VALU_DEP_4)
	v_fma_f64 v[2:3], v[14:15], v[10:11], -v[2:3]
	v_fma_f64 v[36:37], v[16:17], v[10:11], v[12:13]
	ds_load_b128 v[10:13], v178
	ds_load_b128 v[14:17], v182 offset:544
	ds_load_b128 v[24:27], v182 offset:560
	ds_load_b128 v[28:31], v181
	v_fma_f64 v[18:19], v[18:19], v[22:23], -v[32:33]
	v_fma_f64 v[20:21], v[20:21], v[22:23], v[34:35]
	s_wait_loadcnt_dscnt 0x0
	s_barrier_signal -1
	s_barrier_wait -1
	global_inv scope:SCOPE_SE
	v_mul_f64_e32 v[38:39], v[16:17], v[12:13]
	v_mul_f64_e32 v[12:13], v[14:15], v[12:13]
	;; [unrolled: 1-line block ×4, first 2 shown]
	v_add_f64_e32 v[2:3], 0, v[2:3]
	v_add_f64_e32 v[22:23], 0, v[36:37]
	v_fma_f64 v[14:15], v[14:15], v[10:11], -v[38:39]
	v_fma_f64 v[10:11], v[16:17], v[10:11], v[12:13]
	v_fma_f64 v[16:17], v[24:25], v[28:29], -v[32:33]
	v_add_f64_e32 v[2:3], v[2:3], v[18:19]
	v_add_f64_e32 v[12:13], v[22:23], v[20:21]
	v_fma_f64 v[18:19], v[26:27], v[28:29], v[30:31]
	s_delay_alu instid0(VALU_DEP_3) | instskip(NEXT) | instid1(VALU_DEP_3)
	v_add_f64_e32 v[2:3], v[2:3], v[14:15]
	v_add_f64_e32 v[12:13], v[12:13], v[10:11]
	s_delay_alu instid0(VALU_DEP_2) | instskip(NEXT) | instid1(VALU_DEP_2)
	v_add_f64_e32 v[10:11], v[2:3], v[16:17]
	v_add_f64_e32 v[12:13], v[12:13], v[18:19]
	ds_store_b128 v183, v[10:13]
	s_wait_loadcnt_dscnt 0x0
	s_barrier_signal -1
	s_barrier_wait -1
	global_inv scope:SCOPE_SE
	s_and_saveexec_b32 s56, s17
	s_cbranch_execz .LBB129_53
; %bb.52:                               ;   in Loop: Header=BB129_4 Depth=1
	ds_load_b128 v[2:5], v179
	ds_load_b128 v[10:13], v179 offset:16
	s_wait_dscnt 0x0
	v_add_f64_e32 v[6:7], v[10:11], v[2:3]
	v_add_f64_e32 v[14:15], v[12:13], v[4:5]
	ds_load_b128 v[2:5], v179 offset:32
	ds_load_b128 v[10:13], v179 offset:48
	s_wait_dscnt 0x1
	v_add_f64_e32 v[2:3], v[6:7], v[2:3]
	v_add_f64_e32 v[4:5], v[14:15], v[4:5]
	s_wait_dscnt 0x0
	s_delay_alu instid0(VALU_DEP_2) | instskip(NEXT) | instid1(VALU_DEP_2)
	v_add_f64_e32 v[6:7], v[2:3], v[10:11]
	v_add_f64_e32 v[14:15], v[4:5], v[12:13]
	ds_load_b128 v[2:5], v179 offset:64
	ds_load_b128 v[10:13], v179 offset:80
	s_wait_dscnt 0x1
	v_add_f64_e32 v[2:3], v[6:7], v[2:3]
	v_add_f64_e32 v[4:5], v[14:15], v[4:5]
	s_wait_dscnt 0x0
	s_delay_alu instid0(VALU_DEP_2) | instskip(NEXT) | instid1(VALU_DEP_2)
	v_add_f64_e32 v[6:7], v[2:3], v[10:11]
	v_add_f64_e32 v[14:15], v[4:5], v[12:13]
	ds_load_b128 v[2:5], v179 offset:96
	ds_load_b128 v[10:13], v179 offset:112
	s_wait_dscnt 0x1
	v_add_f64_e32 v[2:3], v[6:7], v[2:3]
	v_add_f64_e32 v[6:7], v[14:15], v[4:5]
	s_wait_dscnt 0x0
	s_delay_alu instid0(VALU_DEP_2) | instskip(NEXT) | instid1(VALU_DEP_2)
	v_add_f64_e32 v[4:5], v[2:3], v[10:11]
	v_add_f64_e32 v[6:7], v[6:7], v[12:13]
.LBB129_53:                             ;   in Loop: Header=BB129_4 Depth=1
	s_wait_alu 0xfffe
	s_or_b32 exec_lo, exec_lo, s56
	v_add_co_u32 v42, vcc_lo, v8, s50
	s_wait_alu 0xfffd
	v_add_co_ci_u32_e64 v43, null, s51, v9, vcc_lo
	s_and_not1_b32 vcc_lo, exec_lo, s33
	s_mov_b32 s56, -1
	s_wait_loadcnt 0x0
	s_barrier_signal -1
	s_barrier_wait -1
	global_inv scope:SCOPE_SE
	s_wait_alu 0xfffe
	s_cbranch_vccnz .LBB129_55
; %bb.54:                               ;   in Loop: Header=BB129_4 Depth=1
	s_lshl_b64 s[56:57], s[30:31], 4
	s_wait_alu 0xfffe
	v_add_co_u32 v2, vcc_lo, v42, s56
	s_wait_alu 0xfffd
	v_add_co_ci_u32_e64 v3, null, s57, v43, vcc_lo
	s_mov_b32 s56, 0
	v_add_co_u32 v16, vcc_lo, v2, s40
	s_wait_alu 0xfffd
	v_add_co_ci_u32_e64 v17, null, s41, v3, vcc_lo
	s_delay_alu instid0(VALU_DEP_2) | instskip(SKIP_1) | instid1(VALU_DEP_2)
	v_add_co_u32 v20, vcc_lo, v16, s40
	s_wait_alu 0xfffd
	v_add_co_ci_u32_e64 v21, null, s41, v17, vcc_lo
	s_clause 0x3
	global_load_b128 v[8:11], v[42:43], off
	global_load_b128 v[12:15], v[2:3], off
	;; [unrolled: 1-line block ×4, first 2 shown]
	s_wait_loadcnt 0x3
	ds_store_2addr_b64 v165, v[8:9], v[10:11] offset1:1
	s_wait_loadcnt 0x2
	ds_store_2addr_b64 v170, v[12:13], v[14:15] offset1:1
	;; [unrolled: 2-line block ×4, first 2 shown]
.LBB129_55:                             ;   in Loop: Header=BB129_4 Depth=1
	s_wait_alu 0xfffe
	s_and_not1_b32 vcc_lo, exec_lo, s56
	s_wait_alu 0xfffe
	s_cbranch_vccnz .LBB129_67
; %bb.56:                               ;   in Loop: Header=BB129_4 Depth=1
	s_and_saveexec_b32 s56, s3
	s_wait_alu 0xfffe
	s_xor_b32 s56, exec_lo, s56
; %bb.57:                               ;   in Loop: Header=BB129_4 Depth=1
	v_dual_mov_b32 v0, v1 :: v_dual_mov_b32 v3, v1
	v_mov_b32_e32 v2, v1
	ds_store_b128 v165, v[0:3]
; %bb.58:                               ;   in Loop: Header=BB129_4 Depth=1
	s_wait_alu 0xfffe
	s_or_saveexec_b32 s56, s56
	v_add_co_u32 v0, vcc_lo, v42, v152
	s_wait_alu 0xfffd
	v_add_co_ci_u32_e64 v2, null, v43, v153, vcc_lo
	s_lshl_b64 s[58:59], s[28:29], 4
	s_wait_alu 0xfffe
	v_add_co_u32 v0, vcc_lo, v0, s58
	s_wait_alu 0xfffd
	v_add_co_ci_u32_e64 v2, null, s59, v2, vcc_lo
	s_delay_alu instid0(VALU_DEP_2) | instskip(SKIP_1) | instid1(VALU_DEP_2)
	v_add_co_u32 v0, vcc_lo, 0xfffffdf0, v0
	s_wait_alu 0xfffd
	v_add_co_ci_u32_e64 v2, null, -1, v2, vcc_lo
	s_delay_alu instid0(VALU_DEP_2) | instskip(NEXT) | instid1(VALU_DEP_2)
	v_cndmask_b32_e64 v8, v0, v42, s12
	v_cndmask_b32_e64 v9, v2, v43, s12
	s_xor_b32 exec_lo, exec_lo, s56
	s_cbranch_execnz .LBB129_98
; %bb.59:                               ;   in Loop: Header=BB129_4 Depth=1
	s_or_b32 exec_lo, exec_lo, s56
	s_and_saveexec_b32 s56, s4
	s_wait_alu 0xfffe
	s_xor_b32 s56, exec_lo, s56
	s_cbranch_execnz .LBB129_99
.LBB129_60:                             ;   in Loop: Header=BB129_4 Depth=1
	s_wait_alu 0xfffe
	s_and_not1_saveexec_b32 s56, s56
	s_cbranch_execnz .LBB129_100
.LBB129_61:                             ;   in Loop: Header=BB129_4 Depth=1
	s_wait_alu 0xfffe
	s_or_b32 exec_lo, exec_lo, s56
	s_and_saveexec_b32 s56, s5
	s_wait_alu 0xfffe
	s_xor_b32 s56, exec_lo, s56
	s_cbranch_execnz .LBB129_101
.LBB129_62:                             ;   in Loop: Header=BB129_4 Depth=1
	s_wait_alu 0xfffe
	s_and_not1_saveexec_b32 s56, s56
	s_cbranch_execnz .LBB129_102
.LBB129_63:                             ;   in Loop: Header=BB129_4 Depth=1
	s_wait_alu 0xfffe
	s_or_b32 exec_lo, exec_lo, s56
	s_and_saveexec_b32 s56, s6
	s_wait_alu 0xfffe
	s_xor_b32 s56, exec_lo, s56
	s_cbranch_execnz .LBB129_103
.LBB129_64:                             ;   in Loop: Header=BB129_4 Depth=1
	s_wait_alu 0xfffe
	s_and_not1_saveexec_b32 s56, s56
	s_cbranch_execz .LBB129_66
.LBB129_65:                             ;   in Loop: Header=BB129_4 Depth=1
	s_lshl_b64 s[58:59], s[38:39], 4
	s_wait_alu 0xfffe
	v_add_co_u32 v2, vcc_lo, v8, s58
	s_wait_alu 0xfffd
	v_add_co_ci_u32_e64 v3, null, s59, v9, vcc_lo
	global_load_b128 v[10:13], v[2:3], off
	s_wait_loadcnt 0x0
	ds_store_2addr_b64 v172, v[10:11], v[12:13] offset1:1
.LBB129_66:                             ;   in Loop: Header=BB129_4 Depth=1
	s_wait_alu 0xfffe
	s_or_b32 exec_lo, exec_lo, s56
	v_add_co_u32 v0, vcc_lo, v8, v200
	s_wait_alu 0xfffd
	v_add_co_ci_u32_e64 v2, null, 0, v9, vcc_lo
	s_lshl_b64 s[56:57], s[42:43], 4
	s_wait_alu 0xfffe
	v_add_co_u32 v0, vcc_lo, v0, s56
	s_wait_alu 0xfffd
	v_add_co_ci_u32_e64 v2, null, s57, v2, vcc_lo
	s_delay_alu instid0(VALU_DEP_2) | instskip(SKIP_1) | instid1(VALU_DEP_2)
	v_add_co_u32 v0, vcc_lo, 0x210, v0
	s_wait_alu 0xfffd
	v_add_co_ci_u32_e64 v2, null, 0, v2, vcc_lo
	s_delay_alu instid0(VALU_DEP_2) | instskip(NEXT) | instid1(VALU_DEP_2)
	v_cndmask_b32_e64 v42, v0, v42, s12
	v_cndmask_b32_e64 v43, v2, v43, s12
.LBB129_67:                             ;   in Loop: Header=BB129_4 Depth=1
	s_wait_loadcnt_dscnt 0x0
	s_barrier_signal -1
	s_barrier_wait -1
	global_inv scope:SCOPE_SE
	ds_load_b128 v[8:11], v198
	ds_load_b128 v[12:15], v165
	;; [unrolled: 1-line block ×3, first 2 shown]
	ds_load_b128 v[20:23], v197 offset:384
	ds_load_b128 v[24:27], v197 offset:128
	;; [unrolled: 1-line block ×3, first 2 shown]
	s_wait_dscnt 0x4
	v_mul_f64_e32 v[2:3], v[10:11], v[14:15]
	v_mul_f64_e32 v[14:15], v[8:9], v[14:15]
	s_wait_dscnt 0x1
	v_mul_f64_e32 v[32:33], v[26:27], v[18:19]
	v_mul_f64_e32 v[18:19], v[24:25], v[18:19]
	s_delay_alu instid0(VALU_DEP_4) | instskip(NEXT) | instid1(VALU_DEP_4)
	v_fma_f64 v[2:3], v[8:9], v[12:13], -v[2:3]
	v_fma_f64 v[34:35], v[10:11], v[12:13], v[14:15]
	ds_load_b128 v[8:11], v171
	ds_load_b128 v[12:15], v172
	v_fma_f64 v[24:25], v[24:25], v[16:17], -v[32:33]
	v_fma_f64 v[16:17], v[26:27], v[16:17], v[18:19]
	s_wait_dscnt 0x1
	v_mul_f64_e32 v[36:37], v[30:31], v[10:11]
	v_mul_f64_e32 v[10:11], v[28:29], v[10:11]
	s_wait_dscnt 0x0
	v_mul_f64_e32 v[26:27], v[22:23], v[14:15]
	v_mul_f64_e32 v[14:15], v[20:21], v[14:15]
	v_add_f64_e32 v[2:3], 0, v[2:3]
	v_add_f64_e32 v[18:19], 0, v[34:35]
	v_fma_f64 v[28:29], v[28:29], v[8:9], -v[36:37]
	v_fma_f64 v[8:9], v[30:31], v[8:9], v[10:11]
	s_delay_alu instid0(VALU_DEP_4) | instskip(NEXT) | instid1(VALU_DEP_4)
	v_add_f64_e32 v[2:3], v[2:3], v[24:25]
	v_add_f64_e32 v[10:11], v[18:19], v[16:17]
	v_fma_f64 v[16:17], v[20:21], v[12:13], -v[26:27]
	v_fma_f64 v[12:13], v[22:23], v[12:13], v[14:15]
	s_delay_alu instid0(VALU_DEP_4) | instskip(NEXT) | instid1(VALU_DEP_4)
	v_add_f64_e32 v[2:3], v[2:3], v[28:29]
	v_add_f64_e32 v[8:9], v[10:11], v[8:9]
	s_delay_alu instid0(VALU_DEP_2) | instskip(NEXT) | instid1(VALU_DEP_2)
	v_add_f64_e32 v[44:45], v[2:3], v[16:17]
	v_add_f64_e32 v[46:47], v[8:9], v[12:13]
	ds_load_b128 v[32:35], v188
	ds_load_b128 v[24:27], v188 offset:16
	ds_load_b128 v[12:15], v188 offset:32
	;; [unrolled: 1-line block ×7, first 2 shown]
	s_wait_loadcnt_dscnt 0x0
	s_barrier_signal -1
	s_barrier_wait -1
	global_inv scope:SCOPE_SE
	ds_store_b128 v183, v[44:47]
	s_wait_loadcnt_dscnt 0x0
	s_barrier_signal -1
	s_barrier_wait -1
	global_inv scope:SCOPE_SE
	s_and_saveexec_b32 s56, s17
	s_cbranch_execz .LBB129_69
; %bb.68:                               ;   in Loop: Header=BB129_4 Depth=1
	ds_load_b128 v[44:47], v179
	ds_load_b128 v[48:51], v179 offset:16
	s_wait_dscnt 0x1
	v_add_f64_e32 v[2:3], v[4:5], v[44:45]
	v_add_f64_e32 v[4:5], v[6:7], v[46:47]
	s_wait_dscnt 0x0
	s_delay_alu instid0(VALU_DEP_2) | instskip(NEXT) | instid1(VALU_DEP_2)
	v_add_f64_e32 v[6:7], v[2:3], v[48:49]
	v_add_f64_e32 v[48:49], v[4:5], v[50:51]
	ds_load_b128 v[2:5], v179 offset:32
	ds_load_b128 v[44:47], v179 offset:48
	s_wait_dscnt 0x1
	v_add_f64_e32 v[2:3], v[6:7], v[2:3]
	v_add_f64_e32 v[4:5], v[48:49], v[4:5]
	s_wait_dscnt 0x0
	s_delay_alu instid0(VALU_DEP_2) | instskip(NEXT) | instid1(VALU_DEP_2)
	v_add_f64_e32 v[6:7], v[2:3], v[44:45]
	v_add_f64_e32 v[48:49], v[4:5], v[46:47]
	ds_load_b128 v[2:5], v179 offset:64
	;; [unrolled: 9-line block ×3, first 2 shown]
	ds_load_b128 v[44:47], v179 offset:112
	s_wait_dscnt 0x1
	v_add_f64_e32 v[2:3], v[6:7], v[2:3]
	v_add_f64_e32 v[6:7], v[48:49], v[4:5]
	s_wait_dscnt 0x0
	s_delay_alu instid0(VALU_DEP_2) | instskip(NEXT) | instid1(VALU_DEP_2)
	v_add_f64_e32 v[4:5], v[2:3], v[44:45]
	v_add_f64_e32 v[6:7], v[6:7], v[46:47]
.LBB129_69:                             ;   in Loop: Header=BB129_4 Depth=1
	s_wait_alu 0xfffe
	s_or_b32 exec_lo, exec_lo, s56
	v_mul_f64_e32 v[2:3], v[34:35], v[38:39]
	v_mul_f64_e32 v[38:39], v[32:33], v[38:39]
	;; [unrolled: 1-line block ×4, first 2 shown]
	s_wait_loadcnt 0x0
	s_barrier_signal -1
	s_barrier_wait -1
	global_inv scope:SCOPE_SE
	v_fma_f64 v[2:3], v[32:33], v[36:37], -v[2:3]
	v_fma_f64 v[32:33], v[34:35], v[36:37], v[38:39]
	v_mul_f64_e32 v[34:35], v[14:15], v[22:23]
	v_mul_f64_e32 v[22:23], v[12:13], v[22:23]
	v_fma_f64 v[24:25], v[24:25], v[28:29], -v[44:45]
	v_fma_f64 v[26:27], v[26:27], v[28:29], v[30:31]
	v_mul_f64_e32 v[30:31], v[10:11], v[18:19]
	v_mul_f64_e32 v[18:19], v[8:9], v[18:19]
	v_add_f64_e32 v[2:3], 0, v[2:3]
	v_add_f64_e32 v[28:29], 0, v[32:33]
	v_fma_f64 v[12:13], v[12:13], v[20:21], -v[34:35]
	v_fma_f64 v[14:15], v[14:15], v[20:21], v[22:23]
	v_fma_f64 v[8:9], v[8:9], v[16:17], -v[30:31]
	v_fma_f64 v[10:11], v[10:11], v[16:17], v[18:19]
	v_add_f64_e32 v[2:3], v[2:3], v[24:25]
	v_add_f64_e32 v[20:21], v[28:29], v[26:27]
	s_delay_alu instid0(VALU_DEP_2) | instskip(NEXT) | instid1(VALU_DEP_2)
	v_add_f64_e32 v[2:3], v[2:3], v[12:13]
	v_add_f64_e32 v[12:13], v[20:21], v[14:15]
	s_delay_alu instid0(VALU_DEP_2) | instskip(NEXT) | instid1(VALU_DEP_2)
	v_add_f64_e32 v[8:9], v[2:3], v[8:9]
	v_add_f64_e32 v[10:11], v[12:13], v[10:11]
	ds_store_b128 v183, v[8:11]
	s_wait_loadcnt_dscnt 0x0
	s_barrier_signal -1
	s_barrier_wait -1
	global_inv scope:SCOPE_SE
	s_and_saveexec_b32 s56, s11
	s_cbranch_execz .LBB129_71
; %bb.70:                               ;   in Loop: Header=BB129_4 Depth=1
	ds_load_b128 v[8:11], v179
	ds_load_b128 v[12:15], v179 offset:16
	s_wait_dscnt 0x1
	v_add_f64_e32 v[2:3], v[4:5], v[8:9]
	v_add_f64_e32 v[4:5], v[6:7], v[10:11]
	s_wait_dscnt 0x0
	s_delay_alu instid0(VALU_DEP_2) | instskip(NEXT) | instid1(VALU_DEP_2)
	v_add_f64_e32 v[10:11], v[2:3], v[12:13]
	v_add_f64_e32 v[12:13], v[4:5], v[14:15]
	ds_load_b128 v[2:5], v179 offset:32
	ds_load_b128 v[6:9], v179 offset:48
	s_wait_dscnt 0x1
	v_add_f64_e32 v[2:3], v[10:11], v[2:3]
	v_add_f64_e32 v[4:5], v[12:13], v[4:5]
	s_wait_dscnt 0x0
	s_delay_alu instid0(VALU_DEP_2) | instskip(NEXT) | instid1(VALU_DEP_2)
	v_add_f64_e32 v[10:11], v[2:3], v[6:7]
	v_add_f64_e32 v[12:13], v[4:5], v[8:9]
	ds_load_b128 v[2:5], v179 offset:64
	;; [unrolled: 9-line block ×3, first 2 shown]
	ds_load_b128 v[6:9], v179 offset:112
	s_wait_dscnt 0x1
	v_add_f64_e32 v[2:3], v[10:11], v[2:3]
	v_add_f64_e32 v[10:11], v[12:13], v[4:5]
	s_wait_dscnt 0x0
	s_delay_alu instid0(VALU_DEP_2) | instskip(NEXT) | instid1(VALU_DEP_2)
	v_add_f64_e32 v[4:5], v[2:3], v[6:7]
	v_add_f64_e32 v[6:7], v[10:11], v[8:9]
.LBB129_71:                             ;   in Loop: Header=BB129_4 Depth=1
	s_wait_alu 0xfffe
	s_or_b32 exec_lo, exec_lo, s56
	s_mul_u64 s[56:57], s[22:23], s[24:25]
	s_and_not1_b32 vcc_lo, exec_lo, s60
	s_wait_alu 0xfffe
	s_lshl_b64 s[56:57], s[56:57], 4
	s_wait_loadcnt 0x0
	s_wait_alu 0xfffe
	s_add_nc_u64 s[56:57], s[34:35], s[56:57]
	s_barrier_signal -1
	s_barrier_wait -1
	global_inv scope:SCOPE_SE
	s_cbranch_vccnz .LBB129_78
; %bb.72:                               ;   in Loop: Header=BB129_4 Depth=1
	v_add_co_u32 v0, vcc_lo, v42, s54
	s_wait_alu 0xfffd
	v_add_co_ci_u32_e64 v2, null, s55, v43, vcc_lo
	s_lshl_b64 s[58:59], s[28:29], 4
	v_add_co_u32 v0, vcc_lo, v0, v154
	s_wait_alu 0xfffd
	v_add_co_ci_u32_e64 v2, null, v2, v155, vcc_lo
	s_mov_b32 s64, ttmp9
	v_add_co_u32 v0, vcc_lo, v0, v156
	s_wait_alu 0xfffd
	v_add_co_ci_u32_e64 v2, null, v2, v157, vcc_lo
	s_delay_alu instid0(VALU_DEP_2) | instskip(SKIP_1) | instid1(VALU_DEP_2)
	v_add_co_u32 v3, vcc_lo, v0, v158
	s_wait_alu 0xfffd
	v_add_co_ci_u32_e64 v8, null, v2, v159, vcc_lo
	s_wait_alu 0xfffe
	s_delay_alu instid0(VALU_DEP_2) | instskip(SKIP_1) | instid1(VALU_DEP_2)
	v_add_co_u32 v3, vcc_lo, v3, s58
	s_wait_alu 0xfffd
	v_add_co_ci_u32_e64 v8, null, s59, v8, vcc_lo
	v_add_co_u32 v0, vcc_lo, 0xfffffe00, v0
	s_wait_alu 0xfffd
	v_add_co_ci_u32_e64 v2, null, -1, v2, vcc_lo
	v_add_co_u32 v9, vcc_lo, 0xfffffdf0, v3
	s_wait_alu 0xfffd
	v_add_co_ci_u32_e64 v3, null, -1, v8, vcc_lo
	v_add_co_u32 v201, vcc_lo, v40, s52
	s_wait_alu 0xfffd
	v_add_co_ci_u32_e64 v202, null, s53, v41, vcc_lo
	s_delay_alu instid0(VALU_DEP_3)
	v_cndmask_b32_e64 v3, v2, v3, s1
	v_cndmask_b32_e64 v2, v0, v9, s1
	v_mov_b32_e32 v0, v162
	s_mov_b32 s58, 0
	s_branch .LBB129_74
.LBB129_73:                             ;   in Loop: Header=BB129_74 Depth=2
	s_wait_alu 0xfffe
	s_or_b32 exec_lo, exec_lo, s59
	v_mul_f64_e32 v[88:89], v[18:19], v[26:27]
	v_mul_f64_e32 v[26:27], v[16:17], v[26:27]
	;; [unrolled: 1-line block ×4, first 2 shown]
	v_add_co_u32 v2, vcc_lo, v2, s46
	v_add_nc_u32_e32 v0, 64, v0
	s_wait_alu 0xfffd
	v_add_co_ci_u32_e64 v3, null, s47, v3, vcc_lo
	s_add_co_i32 s64, s64, -1
	s_add_co_i32 s58, s58, s61
	s_cmp_eq_u32 s64, 0
	s_wait_loadcnt 0x0
	s_wait_storecnt 0x0
	s_barrier_signal -1
	s_barrier_wait -1
	global_inv scope:SCOPE_SE
	v_fma_f64 v[16:17], v[16:17], v[24:25], -v[88:89]
	v_fma_f64 v[18:19], v[18:19], v[24:25], v[26:27]
	v_mul_f64_e32 v[24:25], v[14:15], v[38:39]
	v_mul_f64_e32 v[26:27], v[12:13], v[38:39]
	v_fma_f64 v[20:21], v[20:21], v[40:41], -v[90:91]
	v_fma_f64 v[22:23], v[22:23], v[40:41], v[42:43]
	v_add_f64_e32 v[4:5], v[4:5], v[16:17]
	v_add_f64_e32 v[6:7], v[6:7], v[18:19]
	v_mul_f64_e32 v[16:17], v[10:11], v[34:35]
	v_mul_f64_e32 v[18:19], v[8:9], v[34:35]
	v_fma_f64 v[12:13], v[12:13], v[36:37], -v[24:25]
	v_fma_f64 v[14:15], v[14:15], v[36:37], v[26:27]
	v_add_f64_e32 v[4:5], v[4:5], v[20:21]
	v_add_f64_e32 v[6:7], v[6:7], v[22:23]
	;; [unrolled: 6-line block ×14, first 2 shown]
	v_fma_f64 v[8:9], v[132:133], v[140:141], -v[8:9]
	v_fma_f64 v[10:11], v[134:135], v[140:141], v[10:11]
	s_delay_alu instid0(VALU_DEP_4) | instskip(NEXT) | instid1(VALU_DEP_4)
	v_add_f64_e32 v[4:5], v[4:5], v[12:13]
	v_add_f64_e32 v[6:7], v[6:7], v[14:15]
	s_delay_alu instid0(VALU_DEP_2) | instskip(NEXT) | instid1(VALU_DEP_2)
	v_add_f64_e32 v[4:5], v[4:5], v[8:9]
	v_add_f64_e32 v[6:7], v[6:7], v[10:11]
	s_cbranch_scc1 .LBB129_78
.LBB129_74:                             ;   Parent Loop BB129_4 Depth=1
                                        ; =>  This Inner Loop Header: Depth=2
	s_and_saveexec_b32 s65, s0
	s_cbranch_execz .LBB129_76
; %bb.75:                               ;   in Loop: Header=BB129_74 Depth=2
	s_wait_alu 0xfffe
	s_ashr_i32 s59, s58, 31
	s_wait_alu 0xfffe
	s_lshl_b64 s[66:67], s[58:59], 4
	s_wait_alu 0xfffe
	v_add_co_u32 v8, vcc_lo, v201, s66
	s_wait_alu 0xfffd
	v_add_co_ci_u32_e64 v9, null, s67, v202, vcc_lo
	global_load_b128 v[8:11], v[8:9], off
	s_wait_loadcnt 0x0
	ds_store_2addr_b64 v189, v[8:9], v[10:11] offset1:1
.LBB129_76:                             ;   in Loop: Header=BB129_74 Depth=2
	s_or_b32 exec_lo, exec_lo, s65
	v_add_co_u32 v8, vcc_lo, v2, s44
	s_wait_alu 0xfffd
	v_add_co_ci_u32_e64 v9, null, s45, v3, vcc_lo
	s_wait_loadcnt_dscnt 0x0
	s_delay_alu instid0(VALU_DEP_2) | instskip(SKIP_1) | instid1(VALU_DEP_2)
	v_add_co_u32 v10, vcc_lo, v8, s44
	s_wait_alu 0xfffd
	v_add_co_ci_u32_e64 v11, null, s45, v9, vcc_lo
	s_barrier_signal -1
	s_barrier_wait -1
	global_inv scope:SCOPE_SE
	global_load_b128 v[16:19], v[2:3], off
	v_add_co_u32 v2, vcc_lo, v10, s44
	s_wait_alu 0xfffd
	v_add_co_ci_u32_e64 v3, null, s45, v11, vcc_lo
	s_clause 0x2
	global_load_b128 v[20:23], v[8:9], off
	global_load_b128 v[12:15], v[10:11], off
	;; [unrolled: 1-line block ×3, first 2 shown]
	ds_load_b128 v[28:31], v164
	ds_load_b128 v[24:27], v190
	v_add_co_u32 v2, vcc_lo, v2, s46
	s_wait_alu 0xfffd
	v_add_co_ci_u32_e64 v3, null, s47, v3, vcc_lo
	s_delay_alu instid0(VALU_DEP_2) | instskip(SKIP_1) | instid1(VALU_DEP_2)
	v_add_co_u32 v60, vcc_lo, v2, s44
	s_wait_alu 0xfffd
	v_add_co_ci_u32_e64 v61, null, s45, v3, vcc_lo
	s_delay_alu instid0(VALU_DEP_2) | instskip(SKIP_1) | instid1(VALU_DEP_2)
	v_add_co_u32 v62, vcc_lo, v60, s44
	s_wait_alu 0xfffd
	v_add_co_ci_u32_e64 v63, null, s45, v61, vcc_lo
	s_wait_loadcnt_dscnt 0x301
	v_mul_f64_e32 v[32:33], v[18:19], v[30:31]
	v_mul_f64_e32 v[34:35], v[16:17], v[30:31]
	s_wait_loadcnt 0x2
	v_mul_f64_e32 v[36:37], v[22:23], v[30:31]
	v_mul_f64_e32 v[38:39], v[20:21], v[30:31]
	s_wait_loadcnt 0x1
	;; [unrolled: 3-line block ×3, first 2 shown]
	v_mul_f64_e32 v[56:57], v[10:11], v[30:31]
	v_mul_f64_e32 v[30:31], v[8:9], v[30:31]
	v_fma_f64 v[44:45], v[16:17], v[28:29], -v[32:33]
	v_fma_f64 v[46:47], v[18:19], v[28:29], v[34:35]
	v_fma_f64 v[48:49], v[20:21], v[28:29], -v[36:37]
	v_fma_f64 v[50:51], v[22:23], v[28:29], v[38:39]
	;; [unrolled: 2-line block ×4, first 2 shown]
	ds_load_b128 v[40:43], v190 offset:16
	ds_load_b128 v[36:39], v190 offset:32
	;; [unrolled: 1-line block ×3, first 2 shown]
	ds_store_b128 v191, v[44:47]
	ds_store_b128 v191, v[48:51] offset:1072
	ds_store_b128 v191, v[52:55] offset:2144
	;; [unrolled: 1-line block ×3, first 2 shown]
	s_wait_dscnt 0x0
	s_barrier_signal -1
	s_barrier_wait -1
	global_inv scope:SCOPE_SE
	ds_load_b128 v[104:107], v192
	ds_load_b128 v[100:103], v192 offset:16
	ds_load_b128 v[96:99], v192 offset:32
	;; [unrolled: 1-line block ×3, first 2 shown]
	s_wait_loadcnt_dscnt 0x0
	s_barrier_signal -1
	s_barrier_wait -1
	global_inv scope:SCOPE_SE
	global_load_b128 v[28:31], v[2:3], off
	v_add_co_u32 v2, vcc_lo, v62, s44
	s_wait_alu 0xfffd
	v_add_co_ci_u32_e64 v3, null, s45, v63, vcc_lo
	s_clause 0x2
	global_load_b128 v[52:55], v[60:61], off
	global_load_b128 v[48:51], v[62:63], off
	;; [unrolled: 1-line block ×3, first 2 shown]
	ds_load_b128 v[60:63], v164
	ds_load_b128 v[56:59], v190 offset:256
	v_add_co_u32 v2, vcc_lo, v2, s46
	s_wait_alu 0xfffd
	v_add_co_ci_u32_e64 v3, null, s47, v3, vcc_lo
	s_delay_alu instid0(VALU_DEP_2) | instskip(SKIP_1) | instid1(VALU_DEP_2)
	v_add_co_u32 v108, vcc_lo, v2, s44
	s_wait_alu 0xfffd
	v_add_co_ci_u32_e64 v109, null, s45, v3, vcc_lo
	s_delay_alu instid0(VALU_DEP_2) | instskip(SKIP_1) | instid1(VALU_DEP_2)
	v_add_co_u32 v110, vcc_lo, v108, s44
	s_wait_alu 0xfffd
	v_add_co_ci_u32_e64 v111, null, s45, v109, vcc_lo
	s_wait_loadcnt_dscnt 0x301
	v_mul_f64_e32 v[64:65], v[30:31], v[62:63]
	v_mul_f64_e32 v[66:67], v[28:29], v[62:63]
	s_wait_loadcnt 0x2
	v_mul_f64_e32 v[68:69], v[54:55], v[62:63]
	v_mul_f64_e32 v[70:71], v[52:53], v[62:63]
	s_wait_loadcnt 0x1
	;; [unrolled: 3-line block ×3, first 2 shown]
	v_mul_f64_e32 v[92:93], v[46:47], v[62:63]
	v_mul_f64_e32 v[62:63], v[44:45], v[62:63]
	v_fma_f64 v[76:77], v[28:29], v[60:61], -v[64:65]
	v_fma_f64 v[78:79], v[30:31], v[60:61], v[66:67]
	v_fma_f64 v[80:81], v[52:53], v[60:61], -v[68:69]
	v_fma_f64 v[82:83], v[54:55], v[60:61], v[70:71]
	;; [unrolled: 2-line block ×4, first 2 shown]
	ds_load_b128 v[72:75], v190 offset:272
	ds_load_b128 v[68:71], v190 offset:288
	ds_load_b128 v[64:67], v190 offset:304
	ds_store_b128 v191, v[76:79]
	ds_store_b128 v191, v[80:83] offset:1072
	ds_store_b128 v191, v[84:87] offset:2144
	;; [unrolled: 1-line block ×3, first 2 shown]
	s_wait_dscnt 0x0
	s_barrier_signal -1
	s_barrier_wait -1
	global_inv scope:SCOPE_SE
	ds_load_b128 v[203:206], v192
	ds_load_b128 v[207:210], v192 offset:16
	ds_load_b128 v[211:214], v192 offset:32
	;; [unrolled: 1-line block ×3, first 2 shown]
	s_wait_loadcnt_dscnt 0x0
	s_barrier_signal -1
	s_barrier_wait -1
	global_inv scope:SCOPE_SE
	global_load_b128 v[60:63], v[2:3], off
	v_add_co_u32 v2, vcc_lo, v110, s44
	s_wait_alu 0xfffd
	v_add_co_ci_u32_e64 v3, null, s45, v111, vcc_lo
	s_clause 0x1
	global_load_b128 v[84:87], v[108:109], off
	global_load_b128 v[76:79], v[110:111], off
	;; [unrolled: 1-line block ×3, first 2 shown]
	ds_load_b128 v[108:111], v164
	ds_load_b128 v[92:95], v190 offset:512
	v_add_co_u32 v2, vcc_lo, v2, s46
	s_wait_alu 0xfffd
	v_add_co_ci_u32_e64 v3, null, s47, v3, vcc_lo
	v_add_f64_e32 v[203:204], 0, v[203:204]
	s_delay_alu instid0(VALU_DEP_3) | instskip(SKIP_1) | instid1(VALU_DEP_3)
	v_add_co_u32 v140, vcc_lo, v2, s44
	s_wait_alu 0xfffd
	v_add_co_ci_u32_e64 v141, null, s45, v3, vcc_lo
	v_add_f64_e32 v[205:206], 0, v[205:206]
	s_delay_alu instid0(VALU_DEP_3) | instskip(SKIP_1) | instid1(VALU_DEP_3)
	v_add_co_u32 v142, vcc_lo, v140, s44
	s_wait_alu 0xfffd
	v_add_co_ci_u32_e64 v143, null, s45, v141, vcc_lo
	v_add_f64_e32 v[203:204], v[203:204], v[207:208]
	s_delay_alu instid0(VALU_DEP_4) | instskip(NEXT) | instid1(VALU_DEP_2)
	v_add_f64_e32 v[205:206], v[205:206], v[209:210]
	v_add_f64_e32 v[203:204], v[203:204], v[211:212]
	s_delay_alu instid0(VALU_DEP_2)
	v_add_f64_e32 v[205:206], v[205:206], v[213:214]
	s_wait_loadcnt_dscnt 0x301
	v_mul_f64_e32 v[112:113], v[62:63], v[110:111]
	v_mul_f64_e32 v[114:115], v[60:61], v[110:111]
	s_wait_loadcnt 0x2
	v_mul_f64_e32 v[116:117], v[86:87], v[110:111]
	v_mul_f64_e32 v[118:119], v[84:85], v[110:111]
	s_wait_loadcnt 0x1
	;; [unrolled: 3-line block ×3, first 2 shown]
	v_mul_f64_e32 v[136:137], v[82:83], v[110:111]
	v_mul_f64_e32 v[110:111], v[80:81], v[110:111]
	v_fma_f64 v[120:121], v[60:61], v[108:109], -v[112:113]
	v_fma_f64 v[122:123], v[62:63], v[108:109], v[114:115]
	v_fma_f64 v[128:129], v[84:85], v[108:109], -v[116:117]
	v_fma_f64 v[130:131], v[86:87], v[108:109], v[118:119]
	;; [unrolled: 2-line block ×4, first 2 shown]
	ds_load_b128 v[124:127], v190 offset:528
	ds_load_b128 v[116:119], v190 offset:544
	;; [unrolled: 1-line block ×3, first 2 shown]
	ds_store_b128 v191, v[120:123]
	ds_store_b128 v191, v[128:131] offset:1072
	ds_store_b128 v191, v[132:135] offset:2144
	;; [unrolled: 1-line block ×3, first 2 shown]
	s_wait_dscnt 0x0
	s_barrier_signal -1
	s_barrier_wait -1
	global_inv scope:SCOPE_SE
	ds_load_b128 v[219:222], v192
	ds_load_b128 v[223:226], v192 offset:16
	ds_load_b128 v[227:230], v192 offset:32
	;; [unrolled: 1-line block ×3, first 2 shown]
	s_wait_loadcnt_dscnt 0x0
	s_barrier_signal -1
	s_barrier_wait -1
	global_inv scope:SCOPE_SE
	global_load_b128 v[108:111], v[2:3], off
	v_add_co_u32 v2, vcc_lo, v142, s44
	s_wait_alu 0xfffd
	v_add_co_ci_u32_e64 v3, null, s45, v143, vcc_lo
	global_load_b128 v[128:131], v[140:141], off
	global_load_b128 v[120:123], v[142:143], off
	;; [unrolled: 1-line block ×3, first 2 shown]
	ds_load_b128 v[140:143], v164
	ds_load_b128 v[136:139], v190 offset:768
	v_add_f64_e32 v[219:220], 0, v[219:220]
	v_add_f64_e32 v[221:222], 0, v[221:222]
	s_delay_alu instid0(VALU_DEP_2) | instskip(NEXT) | instid1(VALU_DEP_2)
	v_add_f64_e32 v[207:208], v[219:220], v[223:224]
	v_add_f64_e32 v[209:210], v[221:222], v[225:226]
	s_delay_alu instid0(VALU_DEP_2) | instskip(NEXT) | instid1(VALU_DEP_2)
	v_add_f64_e32 v[207:208], v[207:208], v[227:228]
	v_add_f64_e32 v[209:210], v[209:210], v[229:230]
	s_wait_loadcnt_dscnt 0x301
	v_mul_f64_e32 v[144:145], v[110:111], v[142:143]
	v_mul_f64_e32 v[146:147], v[108:109], v[142:143]
	s_wait_loadcnt 0x2
	v_mul_f64_e32 v[148:149], v[130:131], v[142:143]
	v_mul_f64_e32 v[150:151], v[128:129], v[142:143]
	s_wait_loadcnt 0x1
	;; [unrolled: 3-line block ×3, first 2 shown]
	v_mul_f64_e32 v[247:248], v[134:135], v[142:143]
	v_mul_f64_e32 v[142:143], v[132:133], v[142:143]
	v_fma_f64 v[235:236], v[108:109], v[140:141], -v[144:145]
	v_fma_f64 v[237:238], v[110:111], v[140:141], v[146:147]
	v_fma_f64 v[239:240], v[128:129], v[140:141], -v[148:149]
	v_fma_f64 v[241:242], v[130:131], v[140:141], v[150:151]
	;; [unrolled: 2-line block ×4, first 2 shown]
	ds_load_b128 v[148:151], v190 offset:784
	ds_load_b128 v[144:147], v190 offset:800
	;; [unrolled: 1-line block ×3, first 2 shown]
	ds_store_b128 v191, v[235:238]
	ds_store_b128 v191, v[239:242] offset:1072
	ds_store_b128 v191, v[243:246] offset:2144
	;; [unrolled: 1-line block ×3, first 2 shown]
	s_wait_dscnt 0x0
	s_barrier_signal -1
	s_barrier_wait -1
	global_inv scope:SCOPE_SE
	ds_load_b128 v[235:238], v192
	v_add_f64_e32 v[239:240], 0, v[104:105]
	v_add_f64_e32 v[241:242], 0, v[106:107]
	ds_load_b128 v[104:107], v192 offset:16
	s_wait_dscnt 0x1
	v_add_f64_e32 v[235:236], 0, v[235:236]
	v_add_f64_e32 v[237:238], 0, v[237:238]
	v_add_f64_e32 v[239:240], v[239:240], v[100:101]
	v_add_f64_e32 v[241:242], v[241:242], v[102:103]
	ds_load_b128 v[100:103], v192 offset:32
	s_wait_dscnt 0x1
	v_add_f64_e32 v[104:105], v[235:236], v[104:105]
	v_add_f64_e32 v[106:107], v[237:238], v[106:107]
	;; [unrolled: 1-line block ×4, first 2 shown]
	ds_load_b128 v[96:99], v192 offset:48
	s_wait_loadcnt_dscnt 0x0
	s_barrier_signal -1
	s_barrier_wait -1
	global_inv scope:SCOPE_SE
	v_add_f64_e32 v[211:212], v[104:105], v[100:101]
	v_add_f64_e32 v[213:214], v[106:107], v[102:103]
	;; [unrolled: 1-line block ×10, first 2 shown]
	ds_store_b128 v199, v[88:91]
	ds_store_b128 v199, v[100:103] offset:256
	ds_store_b128 v199, v[104:107] offset:512
	;; [unrolled: 1-line block ×3, first 2 shown]
	s_wait_loadcnt_dscnt 0x0
	s_barrier_signal -1
	s_barrier_wait -1
	global_inv scope:SCOPE_SE
	s_and_saveexec_b32 s59, s18
	s_cbranch_execz .LBB129_73
; %bb.77:                               ;   in Loop: Header=BB129_74 Depth=2
	ds_load_b128 v[88:91], v193
	ds_load_b128 v[96:99], v193 offset:16
	s_wait_dscnt 0x0
	v_add_f64_e32 v[100:101], v[96:97], v[88:89]
	v_add_f64_e32 v[102:103], v[98:99], v[90:91]
	ds_load_b128 v[88:91], v193 offset:32
	ds_load_b128 v[96:99], v193 offset:48
	s_wait_dscnt 0x1
	v_add_f64_e32 v[88:89], v[100:101], v[88:89]
	v_add_f64_e32 v[90:91], v[102:103], v[90:91]
	s_wait_dscnt 0x0
	s_delay_alu instid0(VALU_DEP_2) | instskip(NEXT) | instid1(VALU_DEP_2)
	v_add_f64_e32 v[100:101], v[88:89], v[96:97]
	v_add_f64_e32 v[102:103], v[90:91], v[98:99]
	ds_load_b128 v[88:91], v193 offset:64
	ds_load_b128 v[96:99], v193 offset:80
	s_wait_dscnt 0x1
	v_add_f64_e32 v[88:89], v[100:101], v[88:89]
	v_add_f64_e32 v[90:91], v[102:103], v[90:91]
	s_wait_dscnt 0x0
	s_delay_alu instid0(VALU_DEP_2) | instskip(NEXT) | instid1(VALU_DEP_2)
	;; [unrolled: 9-line block ×6, first 2 shown]
	v_add_f64_e32 v[100:101], v[88:89], v[96:97]
	v_add_f64_e32 v[102:103], v[90:91], v[98:99]
	ds_load_b128 v[88:91], v193 offset:224
	ds_load_b128 v[96:99], v194
	s_wait_dscnt 0x1
	v_add_f64_e32 v[88:89], v[100:101], v[88:89]
	v_add_f64_e32 v[90:91], v[102:103], v[90:91]
	s_wait_dscnt 0x0
	s_delay_alu instid0(VALU_DEP_2) | instskip(NEXT) | instid1(VALU_DEP_2)
	v_add_f64_e32 v[88:89], v[88:89], v[96:97]
	v_add_f64_e32 v[90:91], v[90:91], v[98:99]
	v_lshlrev_b64_e32 v[96:97], 4, v[0:1]
	s_delay_alu instid0(VALU_DEP_1) | instskip(SKIP_1) | instid1(VALU_DEP_2)
	v_add_co_u32 v96, vcc_lo, s56, v96
	s_wait_alu 0xfffd
	v_add_co_ci_u32_e64 v97, null, s57, v97, vcc_lo
	global_store_b128 v[96:97], v[88:91], off
	s_branch .LBB129_73
.LBB129_78:                             ;   in Loop: Header=BB129_4 Depth=1
	ds_store_b128 v195, v[4:7]
	s_wait_loadcnt_dscnt 0x0
	s_barrier_signal -1
	s_barrier_wait -1
	global_inv scope:SCOPE_SE
	s_and_saveexec_b32 s58, s62
	s_cbranch_execz .LBB129_2
; %bb.79:                               ;   in Loop: Header=BB129_4 Depth=1
	ds_load_b128 v[2:5], v163 offset:1072
	ds_load_b128 v[6:9], v163
	s_wait_dscnt 0x0
	v_add_f64_e32 v[10:11], v[2:3], v[6:7]
	v_add_f64_e32 v[12:13], v[4:5], v[8:9]
	ds_load_b128 v[2:5], v163 offset:2144
	ds_load_b128 v[6:9], v163 offset:3216
	s_wait_dscnt 0x1
	v_add_f64_e32 v[2:3], v[10:11], v[2:3]
	v_add_f64_e32 v[4:5], v[12:13], v[4:5]
	s_wait_dscnt 0x0
	s_delay_alu instid0(VALU_DEP_2) | instskip(NEXT) | instid1(VALU_DEP_2)
	v_add_f64_e32 v[2:3], v[2:3], v[6:7]
	v_add_f64_e32 v[4:5], v[4:5], v[8:9]
	s_wait_alu 0xfffe
	v_add_co_u32 v6, vcc_lo, s56, v160
	s_wait_alu 0xfffd
	v_add_co_ci_u32_e64 v7, null, s57, v161, vcc_lo
	global_store_b128 v[6:7], v[2:5], off
	s_branch .LBB129_2
.LBB129_80:                             ;   in Loop: Header=BB129_4 Depth=1
	ds_load_b128 v[2:5], v174
	s_wait_dscnt 0x0
	ds_store_b128 v173, v[2:5]
	s_wait_alu 0xfffe
	s_or_b32 exec_lo, exec_lo, s56
	s_and_saveexec_b32 s56, s8
	s_cbranch_execz .LBB129_27
.LBB129_81:                             ;   in Loop: Header=BB129_4 Depth=1
	ds_load_b128 v[2:5], v176
	s_wait_dscnt 0x0
	ds_store_b128 v175, v[2:5]
	s_wait_alu 0xfffe
	s_or_b32 exec_lo, exec_lo, s56
	s_and_saveexec_b32 s56, s9
	s_cbranch_execz .LBB129_28
.LBB129_82:                             ;   in Loop: Header=BB129_4 Depth=1
	ds_load_b128 v[2:5], v178
	s_wait_dscnt 0x0
	ds_store_b128 v177, v[2:5]
	s_wait_alu 0xfffe
	s_or_b32 exec_lo, exec_lo, s56
	s_and_saveexec_b32 s56, s10
	s_cbranch_execnz .LBB129_29
	s_branch .LBB129_30
.LBB129_83:                             ;   in Loop: Header=BB129_4 Depth=1
	ds_load_b128 v[10:13], v174
	s_wait_dscnt 0x0
	ds_store_b128 v184, v[10:13]
	s_wait_alu 0xfffe
	s_or_b32 exec_lo, exec_lo, s56
	s_and_saveexec_b32 s56, s8
	s_cbranch_execz .LBB129_48
.LBB129_84:                             ;   in Loop: Header=BB129_4 Depth=1
	ds_load_b128 v[10:13], v176
	s_wait_dscnt 0x0
	ds_store_b128 v185, v[10:13]
	s_wait_alu 0xfffe
	s_or_b32 exec_lo, exec_lo, s56
	s_and_saveexec_b32 s56, s9
	s_cbranch_execz .LBB129_49
.LBB129_85:                             ;   in Loop: Header=BB129_4 Depth=1
	ds_load_b128 v[10:13], v178
	s_wait_dscnt 0x0
	ds_store_b128 v186, v[10:13]
	s_wait_alu 0xfffe
	s_or_b32 exec_lo, exec_lo, s56
	s_and_saveexec_b32 s56, s10
	s_cbranch_execnz .LBB129_50
	s_branch .LBB129_51
.LBB129_86:                             ;   in Loop: Header=BB129_4 Depth=1
	global_load_b128 v[10:13], v[4:5], off
	s_wait_loadcnt 0x0
	ds_store_2addr_b64 v165, v[10:11], v[12:13] offset1:1
	s_or_b32 exec_lo, exec_lo, s56
	s_and_saveexec_b32 s56, s4
	s_wait_alu 0xfffe
	s_xor_b32 s56, exec_lo, s56
	s_cbranch_execz .LBB129_18
.LBB129_87:                             ;   in Loop: Header=BB129_4 Depth=1
	v_dual_mov_b32 v0, v1 :: v_dual_mov_b32 v3, v1
	v_mov_b32_e32 v2, v1
	ds_store_b128 v170, v[0:3]
	s_wait_alu 0xfffe
	s_and_not1_saveexec_b32 s56, s56
	s_cbranch_execz .LBB129_19
.LBB129_88:                             ;   in Loop: Header=BB129_4 Depth=1
	s_lshl_b64 s[58:59], s[30:31], 4
	s_wait_alu 0xfffe
	v_add_co_u32 v2, vcc_lo, v4, s58
	s_wait_alu 0xfffd
	v_add_co_ci_u32_e64 v3, null, s59, v5, vcc_lo
	global_load_b128 v[10:13], v[2:3], off
	s_wait_loadcnt 0x0
	ds_store_2addr_b64 v170, v[10:11], v[12:13] offset1:1
	s_or_b32 exec_lo, exec_lo, s56
	s_and_saveexec_b32 s56, s5
	s_wait_alu 0xfffe
	s_xor_b32 s56, exec_lo, s56
	s_cbranch_execz .LBB129_20
.LBB129_89:                             ;   in Loop: Header=BB129_4 Depth=1
	v_dual_mov_b32 v0, v1 :: v_dual_mov_b32 v3, v1
	v_mov_b32_e32 v2, v1
	ds_store_b128 v171, v[0:3]
	s_wait_alu 0xfffe
	s_and_not1_saveexec_b32 s56, s56
	s_cbranch_execz .LBB129_21
.LBB129_90:                             ;   in Loop: Header=BB129_4 Depth=1
	s_lshl_b64 s[58:59], s[36:37], 4
	s_wait_alu 0xfffe
	v_add_co_u32 v2, vcc_lo, v4, s58
	s_wait_alu 0xfffd
	v_add_co_ci_u32_e64 v3, null, s59, v5, vcc_lo
	global_load_b128 v[10:13], v[2:3], off
	s_wait_loadcnt 0x0
	ds_store_2addr_b64 v171, v[10:11], v[12:13] offset1:1
	s_or_b32 exec_lo, exec_lo, s56
	s_and_saveexec_b32 s56, s6
	s_wait_alu 0xfffe
	s_xor_b32 s56, exec_lo, s56
	s_cbranch_execz .LBB129_22
.LBB129_91:                             ;   in Loop: Header=BB129_4 Depth=1
	v_dual_mov_b32 v0, v1 :: v_dual_mov_b32 v3, v1
	v_mov_b32_e32 v2, v1
	ds_store_b128 v172, v[0:3]
	s_wait_alu 0xfffe
	s_and_not1_saveexec_b32 s56, s56
	s_cbranch_execnz .LBB129_23
	s_branch .LBB129_24
.LBB129_92:                             ;   in Loop: Header=BB129_4 Depth=1
	global_load_b128 v[12:15], v[10:11], off
	s_wait_loadcnt 0x0
	ds_store_2addr_b64 v165, v[12:13], v[14:15] offset1:1
	s_or_b32 exec_lo, exec_lo, s56
	s_and_saveexec_b32 s56, s14
	s_wait_alu 0xfffe
	s_xor_b32 s56, exec_lo, s56
	s_cbranch_execz .LBB129_39
.LBB129_93:                             ;   in Loop: Header=BB129_4 Depth=1
	v_dual_mov_b32 v0, v1 :: v_dual_mov_b32 v3, v1
	v_mov_b32_e32 v2, v1
	ds_store_b128 v170, v[0:3]
	s_wait_alu 0xfffe
	s_and_not1_saveexec_b32 s56, s56
	s_cbranch_execz .LBB129_40
.LBB129_94:                             ;   in Loop: Header=BB129_4 Depth=1
	s_lshl_b64 s[58:59], s[30:31], 4
	s_wait_alu 0xfffe
	v_add_co_u32 v2, vcc_lo, v10, s58
	s_wait_alu 0xfffd
	v_add_co_ci_u32_e64 v3, null, s59, v11, vcc_lo
	global_load_b128 v[12:15], v[2:3], off
	s_wait_loadcnt 0x0
	ds_store_2addr_b64 v170, v[12:13], v[14:15] offset1:1
	s_or_b32 exec_lo, exec_lo, s56
	s_and_saveexec_b32 s56, s15
	s_wait_alu 0xfffe
	s_xor_b32 s56, exec_lo, s56
	s_cbranch_execz .LBB129_41
.LBB129_95:                             ;   in Loop: Header=BB129_4 Depth=1
	v_dual_mov_b32 v0, v1 :: v_dual_mov_b32 v3, v1
	v_mov_b32_e32 v2, v1
	ds_store_b128 v171, v[0:3]
	s_wait_alu 0xfffe
	s_and_not1_saveexec_b32 s56, s56
	s_cbranch_execz .LBB129_42
.LBB129_96:                             ;   in Loop: Header=BB129_4 Depth=1
	s_lshl_b64 s[58:59], s[36:37], 4
	s_wait_alu 0xfffe
	v_add_co_u32 v2, vcc_lo, v10, s58
	s_wait_alu 0xfffd
	v_add_co_ci_u32_e64 v3, null, s59, v11, vcc_lo
	global_load_b128 v[12:15], v[2:3], off
	s_wait_loadcnt 0x0
	ds_store_2addr_b64 v171, v[12:13], v[14:15] offset1:1
	s_or_b32 exec_lo, exec_lo, s56
	s_and_saveexec_b32 s56, s16
	s_wait_alu 0xfffe
	s_xor_b32 s56, exec_lo, s56
	s_cbranch_execz .LBB129_43
.LBB129_97:                             ;   in Loop: Header=BB129_4 Depth=1
	v_dual_mov_b32 v0, v1 :: v_dual_mov_b32 v3, v1
	v_mov_b32_e32 v2, v1
	ds_store_b128 v172, v[0:3]
	s_wait_alu 0xfffe
	s_and_not1_saveexec_b32 s56, s56
	s_cbranch_execnz .LBB129_44
	s_branch .LBB129_45
.LBB129_98:                             ;   in Loop: Header=BB129_4 Depth=1
	global_load_b128 v[10:13], v[8:9], off
	s_wait_loadcnt 0x0
	ds_store_2addr_b64 v165, v[10:11], v[12:13] offset1:1
	s_or_b32 exec_lo, exec_lo, s56
	s_and_saveexec_b32 s56, s4
	s_wait_alu 0xfffe
	s_xor_b32 s56, exec_lo, s56
	s_cbranch_execz .LBB129_60
.LBB129_99:                             ;   in Loop: Header=BB129_4 Depth=1
	v_dual_mov_b32 v0, v1 :: v_dual_mov_b32 v3, v1
	v_mov_b32_e32 v2, v1
	ds_store_b128 v170, v[0:3]
	s_wait_alu 0xfffe
	s_and_not1_saveexec_b32 s56, s56
	s_cbranch_execz .LBB129_61
.LBB129_100:                            ;   in Loop: Header=BB129_4 Depth=1
	s_lshl_b64 s[58:59], s[30:31], 4
	s_wait_alu 0xfffe
	v_add_co_u32 v2, vcc_lo, v8, s58
	s_wait_alu 0xfffd
	v_add_co_ci_u32_e64 v3, null, s59, v9, vcc_lo
	global_load_b128 v[10:13], v[2:3], off
	s_wait_loadcnt 0x0
	ds_store_2addr_b64 v170, v[10:11], v[12:13] offset1:1
	s_or_b32 exec_lo, exec_lo, s56
	s_and_saveexec_b32 s56, s5
	s_wait_alu 0xfffe
	s_xor_b32 s56, exec_lo, s56
	s_cbranch_execz .LBB129_62
.LBB129_101:                            ;   in Loop: Header=BB129_4 Depth=1
	v_dual_mov_b32 v0, v1 :: v_dual_mov_b32 v3, v1
	v_mov_b32_e32 v2, v1
	ds_store_b128 v171, v[0:3]
	s_wait_alu 0xfffe
	s_and_not1_saveexec_b32 s56, s56
	s_cbranch_execz .LBB129_63
.LBB129_102:                            ;   in Loop: Header=BB129_4 Depth=1
	s_lshl_b64 s[58:59], s[36:37], 4
	s_wait_alu 0xfffe
	v_add_co_u32 v2, vcc_lo, v8, s58
	s_wait_alu 0xfffd
	v_add_co_ci_u32_e64 v3, null, s59, v9, vcc_lo
	global_load_b128 v[10:13], v[2:3], off
	s_wait_loadcnt 0x0
	ds_store_2addr_b64 v171, v[10:11], v[12:13] offset1:1
	s_or_b32 exec_lo, exec_lo, s56
	s_and_saveexec_b32 s56, s6
	s_wait_alu 0xfffe
	s_xor_b32 s56, exec_lo, s56
	s_cbranch_execz .LBB129_64
.LBB129_103:                            ;   in Loop: Header=BB129_4 Depth=1
	v_dual_mov_b32 v0, v1 :: v_dual_mov_b32 v3, v1
	v_mov_b32_e32 v2, v1
	ds_store_b128 v172, v[0:3]
	s_wait_alu 0xfffe
	s_and_not1_saveexec_b32 s56, s56
	s_cbranch_execnz .LBB129_65
	s_branch .LBB129_66
.LBB129_104:
	s_nop 0
	s_sendmsg sendmsg(MSG_DEALLOC_VGPRS)
	s_endpgm
	.section	.rodata,"a",@progbits
	.p2align	6, 0x0
	.amdhsa_kernel _ZL26rocblas_hemvn_kernel_lowerILb0ELi64ELi4ELi33ELi32ELi16Ei19rocblas_complex_numIdEPKS1_PS1_EviT6_lT7_lT5_lS6_lS7_lS5_lT8_i
		.amdhsa_group_segment_fixed_size 19200
		.amdhsa_private_segment_fixed_size 0
		.amdhsa_kernarg_size 392
		.amdhsa_user_sgpr_count 2
		.amdhsa_user_sgpr_dispatch_ptr 0
		.amdhsa_user_sgpr_queue_ptr 0
		.amdhsa_user_sgpr_kernarg_segment_ptr 1
		.amdhsa_user_sgpr_dispatch_id 0
		.amdhsa_user_sgpr_private_segment_size 0
		.amdhsa_wavefront_size32 1
		.amdhsa_uses_dynamic_stack 0
		.amdhsa_enable_private_segment 0
		.amdhsa_system_sgpr_workgroup_id_x 1
		.amdhsa_system_sgpr_workgroup_id_y 0
		.amdhsa_system_sgpr_workgroup_id_z 1
		.amdhsa_system_sgpr_workgroup_info 0
		.amdhsa_system_vgpr_workitem_id 1
		.amdhsa_next_free_vgpr 251
		.amdhsa_next_free_sgpr 68
		.amdhsa_reserve_vcc 1
		.amdhsa_float_round_mode_32 0
		.amdhsa_float_round_mode_16_64 0
		.amdhsa_float_denorm_mode_32 3
		.amdhsa_float_denorm_mode_16_64 3
		.amdhsa_fp16_overflow 0
		.amdhsa_workgroup_processor_mode 1
		.amdhsa_memory_ordered 1
		.amdhsa_forward_progress 1
		.amdhsa_inst_pref_size 78
		.amdhsa_round_robin_scheduling 0
		.amdhsa_exception_fp_ieee_invalid_op 0
		.amdhsa_exception_fp_denorm_src 0
		.amdhsa_exception_fp_ieee_div_zero 0
		.amdhsa_exception_fp_ieee_overflow 0
		.amdhsa_exception_fp_ieee_underflow 0
		.amdhsa_exception_fp_ieee_inexact 0
		.amdhsa_exception_int_div_zero 0
	.end_amdhsa_kernel
	.section	.text._ZL26rocblas_hemvn_kernel_lowerILb0ELi64ELi4ELi33ELi32ELi16Ei19rocblas_complex_numIdEPKS1_PS1_EviT6_lT7_lT5_lS6_lS7_lS5_lT8_i,"axG",@progbits,_ZL26rocblas_hemvn_kernel_lowerILb0ELi64ELi4ELi33ELi32ELi16Ei19rocblas_complex_numIdEPKS1_PS1_EviT6_lT7_lT5_lS6_lS7_lS5_lT8_i,comdat
.Lfunc_end129:
	.size	_ZL26rocblas_hemvn_kernel_lowerILb0ELi64ELi4ELi33ELi32ELi16Ei19rocblas_complex_numIdEPKS1_PS1_EviT6_lT7_lT5_lS6_lS7_lS5_lT8_i, .Lfunc_end129-_ZL26rocblas_hemvn_kernel_lowerILb0ELi64ELi4ELi33ELi32ELi16Ei19rocblas_complex_numIdEPKS1_PS1_EviT6_lT7_lT5_lS6_lS7_lS5_lT8_i
                                        ; -- End function
	.set _ZL26rocblas_hemvn_kernel_lowerILb0ELi64ELi4ELi33ELi32ELi16Ei19rocblas_complex_numIdEPKS1_PS1_EviT6_lT7_lT5_lS6_lS7_lS5_lT8_i.num_vgpr, 251
	.set _ZL26rocblas_hemvn_kernel_lowerILb0ELi64ELi4ELi33ELi32ELi16Ei19rocblas_complex_numIdEPKS1_PS1_EviT6_lT7_lT5_lS6_lS7_lS5_lT8_i.num_agpr, 0
	.set _ZL26rocblas_hemvn_kernel_lowerILb0ELi64ELi4ELi33ELi32ELi16Ei19rocblas_complex_numIdEPKS1_PS1_EviT6_lT7_lT5_lS6_lS7_lS5_lT8_i.numbered_sgpr, 68
	.set _ZL26rocblas_hemvn_kernel_lowerILb0ELi64ELi4ELi33ELi32ELi16Ei19rocblas_complex_numIdEPKS1_PS1_EviT6_lT7_lT5_lS6_lS7_lS5_lT8_i.num_named_barrier, 0
	.set _ZL26rocblas_hemvn_kernel_lowerILb0ELi64ELi4ELi33ELi32ELi16Ei19rocblas_complex_numIdEPKS1_PS1_EviT6_lT7_lT5_lS6_lS7_lS5_lT8_i.private_seg_size, 0
	.set _ZL26rocblas_hemvn_kernel_lowerILb0ELi64ELi4ELi33ELi32ELi16Ei19rocblas_complex_numIdEPKS1_PS1_EviT6_lT7_lT5_lS6_lS7_lS5_lT8_i.uses_vcc, 1
	.set _ZL26rocblas_hemvn_kernel_lowerILb0ELi64ELi4ELi33ELi32ELi16Ei19rocblas_complex_numIdEPKS1_PS1_EviT6_lT7_lT5_lS6_lS7_lS5_lT8_i.uses_flat_scratch, 0
	.set _ZL26rocblas_hemvn_kernel_lowerILb0ELi64ELi4ELi33ELi32ELi16Ei19rocblas_complex_numIdEPKS1_PS1_EviT6_lT7_lT5_lS6_lS7_lS5_lT8_i.has_dyn_sized_stack, 0
	.set _ZL26rocblas_hemvn_kernel_lowerILb0ELi64ELi4ELi33ELi32ELi16Ei19rocblas_complex_numIdEPKS1_PS1_EviT6_lT7_lT5_lS6_lS7_lS5_lT8_i.has_recursion, 0
	.set _ZL26rocblas_hemvn_kernel_lowerILb0ELi64ELi4ELi33ELi32ELi16Ei19rocblas_complex_numIdEPKS1_PS1_EviT6_lT7_lT5_lS6_lS7_lS5_lT8_i.has_indirect_call, 0
	.section	.AMDGPU.csdata,"",@progbits
; Kernel info:
; codeLenInByte = 9904
; TotalNumSgprs: 70
; NumVgprs: 251
; ScratchSize: 0
; MemoryBound: 0
; FloatMode: 240
; IeeeMode: 1
; LDSByteSize: 19200 bytes/workgroup (compile time only)
; SGPRBlocks: 0
; VGPRBlocks: 31
; NumSGPRsForWavesPerEU: 70
; NumVGPRsForWavesPerEU: 251
; Occupancy: 5
; WaveLimiterHint : 1
; COMPUTE_PGM_RSRC2:SCRATCH_EN: 0
; COMPUTE_PGM_RSRC2:USER_SGPR: 2
; COMPUTE_PGM_RSRC2:TRAP_HANDLER: 0
; COMPUTE_PGM_RSRC2:TGID_X_EN: 1
; COMPUTE_PGM_RSRC2:TGID_Y_EN: 0
; COMPUTE_PGM_RSRC2:TGID_Z_EN: 1
; COMPUTE_PGM_RSRC2:TIDIG_COMP_CNT: 1
	.section	.text._ZL50rocblas_symv_kernel_upper_double_buffered_diagonalILi32ELi4E24rocblas_internal_val_ptrIfEPKPKfPKPfEvbiT1_lT2_lllSA_lllS9_lT3_llli,"axG",@progbits,_ZL50rocblas_symv_kernel_upper_double_buffered_diagonalILi32ELi4E24rocblas_internal_val_ptrIfEPKPKfPKPfEvbiT1_lT2_lllSA_lllS9_lT3_llli,comdat
	.globl	_ZL50rocblas_symv_kernel_upper_double_buffered_diagonalILi32ELi4E24rocblas_internal_val_ptrIfEPKPKfPKPfEvbiT1_lT2_lllSA_lllS9_lT3_llli ; -- Begin function _ZL50rocblas_symv_kernel_upper_double_buffered_diagonalILi32ELi4E24rocblas_internal_val_ptrIfEPKPKfPKPfEvbiT1_lT2_lllSA_lllS9_lT3_llli
	.p2align	8
	.type	_ZL50rocblas_symv_kernel_upper_double_buffered_diagonalILi32ELi4E24rocblas_internal_val_ptrIfEPKPKfPKPfEvbiT1_lT2_lllSA_lllS9_lT3_llli,@function
_ZL50rocblas_symv_kernel_upper_double_buffered_diagonalILi32ELi4E24rocblas_internal_val_ptrIfEPKPKfPKPfEvbiT1_lT2_lllSA_lllS9_lT3_llli: ; @_ZL50rocblas_symv_kernel_upper_double_buffered_diagonalILi32ELi4E24rocblas_internal_val_ptrIfEPKPKfPKPfEvbiT1_lT2_lllSA_lllS9_lT3_llli
; %bb.0:
	s_load_b64 s[0:1], s[0:1], 0x4
	s_clause 0x1
	s_load_b256 s[12:19], s[2:3], 0x8
	s_load_b128 s[20:23], s[2:3], 0x58
	v_bfe_u32 v1, v0, 10, 10
	s_load_b32 s11, s[2:3], 0x88
	v_and_b32_e32 v6, 0x3ff, v0
	v_bfe_u32 v0, v0, 20, 10
	s_wait_kmcnt 0x0
	v_mul_u32_u24_e32 v2, s1, v1
	s_lshr_b32 s0, s0, 16
	v_mov_b32_e32 v3, s13
	s_wait_alu 0xfffe
	s_mul_i32 s0, s0, s1
	v_mov_b32_e32 v5, s21
	s_wait_alu 0xfffe
	v_mad_u32_u24 v2, s0, v6, v2
	s_delay_alu instid0(VALU_DEP_1)
	v_add_lshl_u32 v0, v2, v0, 3
	v_mov_b32_e32 v2, s12
	v_mov_b32_e32 v4, s20
	s_lshr_b32 s12, ttmp7, 16
	s_wait_alu 0xfffe
	s_cmp_ge_u32 s12, s11
	v_add_nc_u32_e32 v7, 0x80, v0
	ds_store_2addr_stride64_b64 v7, v[4:5], v[2:3] offset0:10 offset1:12
	s_cbranch_scc1 .LBB130_48
; %bb.1:
	s_clause 0x5
	s_load_b128 s[28:31], s[2:3], 0x70
	s_load_b64 s[36:37], s[2:3], 0x28
	s_load_b64 s[4:5], s[2:3], 0x48
	s_load_b32 s1, s[2:3], 0x0
	s_load_b64 s[20:21], s[2:3], 0x68
	s_load_b128 s[24:27], s[2:3], 0x38
	v_dual_mov_b32 v14, 0 :: v_dual_add_nc_u32 v13, 0x1480, v0
	v_sub_co_u32 v16, s8, v6, v1
	v_lshl_add_u32 v19, v1, 5, v6
	v_cmp_eq_u32_e64 s0, 0, v1
	v_lshlrev_b32_e32 v21, 2, v6
	s_mov_b32 s13, 0
	v_lshl_add_u32 v19, v19, 2, 0x1000
	s_wait_kmcnt 0x0
	v_mad_co_u64_u32 v[2:3], null, s30, v6, 0
	v_mad_co_u64_u32 v[4:5], null, s36, v1, 0
	;; [unrolled: 1-line block ×3, first 2 shown]
	v_add_nc_u32_e32 v12, 0x1880, v0
	v_lshlrev_b32_e32 v28, 2, v6
	v_mov_b32_e32 v0, v3
	s_bitcmp1_b32 s1, 0
	v_mov_b32_e32 v3, v5
	s_cselect_b32 s1, -1, 0
	v_mov_b32_e32 v5, v8
	v_mad_co_u64_u32 v[8:9], null, s31, v6, v[0:1]
	s_delay_alu instid0(VALU_DEP_3) | instskip(NEXT) | instid1(VALU_DEP_3)
	v_mad_co_u64_u32 v[9:10], null, s37, v1, v[3:4]
	v_mad_co_u64_u32 v[10:11], null, s5, v6, v[5:6]
	v_lshlrev_b32_e32 v0, 7, v1
	s_lshl_b32 s6, ttmp9, 5
	s_add_nc_u64 s[2:3], s[36:37], 1
	s_ashr_i32 s7, s6, 31
	s_delay_alu instid0(VALU_DEP_3) | instskip(SKIP_1) | instid1(VALU_DEP_4)
	v_mov_b32_e32 v5, v9
	v_sub_nc_u32_e32 v9, 0, v16
	v_dual_mov_b32 v3, v8 :: v_dual_mov_b32 v8, v10
	v_lshlrev_b32_e32 v1, 2, v1
	s_mul_u64 s[38:39], s[30:31], s[6:7]
	s_delay_alu instid0(VALU_DEP_3)
	v_max_i32_e32 v9, v16, v9
	v_mul_u32_u24_e32 v16, 0x7c, v6
	s_mul_u64 s[42:43], s[2:3], s[6:7]
	s_mul_u64 s[40:41], s[4:5], s[6:7]
	v_add_nc_u32_e32 v10, 0x800, v0
	v_add_nc_u32_e32 v11, 0xa00, v0
	;; [unrolled: 1-line block ×4, first 2 shown]
	s_xor_b32 s44, s8, -1
	v_cmp_lt_u32_e64 s2, 16, v9
	v_cmp_lt_u32_e64 s3, 20, v9
	;; [unrolled: 1-line block ×5, first 2 shown]
	v_add_nc_u32_e32 v26, 0x200, v0
	v_cmp_lt_u32_e64 s7, 8, v9
	v_add_nc_u32_e32 v27, 0x400, v0
	v_cmp_lt_u32_e64 s8, 12, v9
	v_add_nc_u32_e32 v9, 0x600, v0
	v_add3_u32 v16, v28, v16, v1
	v_add_nc_u32_e32 v17, v28, v0
	v_add_nc_u32_e32 v18, 0x1400, v1
	v_lshlrev_b64_e32 v[0:1], 2, v[2:3]
	v_lshlrev_b64_e32 v[2:3], 2, v[7:8]
	;; [unrolled: 1-line block ×3, first 2 shown]
	s_wait_alu 0xfffe
	s_xor_b32 s33, s1, -1
	v_add_nc_u32_e32 v15, 0x1400, v28
	v_cmp_gt_u32_e64 s1, 16, v6
	v_or_b32_e32 v20, 0x1000, v28
	v_add_nc_u32_e32 v22, v28, v10
	v_add_nc_u32_e32 v23, v28, v11
	;; [unrolled: 1-line block ×7, first 2 shown]
	s_lshl_b64 s[30:31], s[36:37], 2
	s_lshl_b64 s[34:35], s[36:37], 6
	;; [unrolled: 1-line block ×9, first 2 shown]
	s_branch .LBB130_4
.LBB130_2:                              ;   in Loop: Header=BB130_4 Depth=1
	s_wait_alu 0xfffe
	s_or_b32 exec_lo, exec_lo, s9
.LBB130_3:                              ;   in Loop: Header=BB130_4 Depth=1
	s_delay_alu instid0(SALU_CYCLE_1)
	s_or_b32 exec_lo, exec_lo, s45
	s_add_co_i32 s12, s12, 0x10000
	s_wait_alu 0xfffe
	s_cmp_lt_u32 s12, s11
	s_cbranch_scc0 .LBB130_48
.LBB130_4:                              ; =>This Inner Loop Header: Depth=1
	s_and_b32 vcc_lo, exec_lo, s33
	s_mov_b32 s9, -1
                                        ; implicit-def: $vgpr29
	s_wait_alu 0xfffe
	s_cbranch_vccnz .LBB130_38
; %bb.5:                                ;   in Loop: Header=BB130_4 Depth=1
	s_and_not1_b32 vcc_lo, exec_lo, s9
	s_wait_alu 0xfffe
	s_cbranch_vccz .LBB130_39
.LBB130_6:                              ;   in Loop: Header=BB130_4 Depth=1
	s_and_b32 vcc_lo, exec_lo, s33
	s_mov_b32 s9, -1
                                        ; implicit-def: $vgpr30
	s_wait_alu 0xfffe
	s_cbranch_vccnz .LBB130_40
.LBB130_7:                              ;   in Loop: Header=BB130_4 Depth=1
	s_and_not1_b32 vcc_lo, exec_lo, s9
	s_wait_alu 0xfffe
	s_cbranch_vccnz .LBB130_9
.LBB130_8:                              ;   in Loop: Header=BB130_4 Depth=1
	s_wait_loadcnt_dscnt 0x0
	ds_load_b32 v30, v13
.LBB130_9:                              ;   in Loop: Header=BB130_4 Depth=1
	s_wait_loadcnt_dscnt 0x0
	v_cmp_neq_f32_e32 vcc_lo, 0, v29
	v_cmp_neq_f32_e64 s9, 1.0, v30
	s_or_b32 s9, vcc_lo, s9
	s_wait_alu 0xfffe
	s_and_saveexec_b32 s45, s9
	s_cbranch_execz .LBB130_3
; %bb.10:                               ;   in Loop: Header=BB130_4 Depth=1
	v_cmp_neq_f32_e64 s9, 0, v29
	v_cmp_eq_f32_e32 vcc_lo, 0, v29
	v_dual_mov_b32 v10, s12 :: v_dual_mov_b32 v11, s13
	s_and_saveexec_b32 s10, vcc_lo
	s_wait_alu 0xfffe
	s_xor_b32 s10, exec_lo, s10
; %bb.11:                               ;   in Loop: Header=BB130_4 Depth=1
	v_dual_mov_b32 v10, s12 :: v_dual_mov_b32 v11, s13
; %bb.12:                               ;   in Loop: Header=BB130_4 Depth=1
	s_wait_alu 0xfffe
	s_or_saveexec_b32 s46, s10
	v_mov_b32_e32 v8, 0
	v_dual_mov_b32 v9, 0 :: v_dual_mov_b32 v6, 0
	v_mov_b32_e32 v7, 0
	s_wait_alu 0xfffe
	s_xor_b32 exec_lo, exec_lo, s46
	s_cbranch_execz .LBB130_14
; %bb.13:                               ;   in Loop: Header=BB130_4 Depth=1
	s_lshl_b64 s[48:49], s[12:13], 3
	s_delay_alu instid0(SALU_CYCLE_1)
	s_add_nc_u64 s[48:49], s[16:17], s[48:49]
	global_load_b64 v[6:7], v14, s[48:49]
	s_wait_loadcnt 0x0
	v_add_co_u32 v6, s10, v6, s18
	s_wait_alu 0xf1ff
	v_add_co_ci_u32_e64 v7, null, s19, v7, s10
.LBB130_14:                             ;   in Loop: Header=BB130_4 Depth=1
	s_or_b32 exec_lo, exec_lo, s46
	v_lshlrev_b64_e32 v[10:11], 3, v[10:11]
	s_and_saveexec_b32 s10, s9
	s_cbranch_execz .LBB130_16
; %bb.15:                               ;   in Loop: Header=BB130_4 Depth=1
	s_delay_alu instid0(VALU_DEP_1) | instskip(SKIP_1) | instid1(VALU_DEP_2)
	v_add_co_u32 v8, s9, s24, v10
	s_wait_alu 0xf1ff
	v_add_co_ci_u32_e64 v9, null, s25, v11, s9
	global_load_b64 v[8:9], v[8:9], off
	s_wait_loadcnt 0x0
	v_add_co_u32 v8, s9, v8, s26
	s_wait_alu 0xf1ff
	v_add_co_ci_u32_e64 v9, null, s27, v9, s9
.LBB130_16:                             ;   in Loop: Header=BB130_4 Depth=1
	s_wait_alu 0xfffe
	s_or_b32 exec_lo, exec_lo, s10
	s_delay_alu instid0(VALU_DEP_1)
	v_add_co_u32 v10, s9, s20, v10
	s_wait_alu 0xf1ff
	v_add_co_ci_u32_e64 v11, null, s21, v11, s9
	global_load_b64 v[10:11], v[10:11], off
	s_wait_loadcnt 0x0
	v_add_co_u32 v10, s9, v10, s28
	s_wait_alu 0xf1ff
	v_add_co_ci_u32_e64 v11, null, s29, v11, s9
	s_delay_alu instid0(VALU_DEP_2) | instskip(SKIP_1) | instid1(VALU_DEP_2)
	v_add_co_u32 v10, s9, v10, s38
	s_wait_alu 0xf1ff
	v_add_co_ci_u32_e64 v11, null, s39, v11, s9
	s_and_saveexec_b32 s9, vcc_lo
	s_wait_alu 0xfffe
	s_xor_b32 s9, exec_lo, s9
	s_cbranch_execz .LBB130_20
; %bb.17:                               ;   in Loop: Header=BB130_4 Depth=1
	s_and_saveexec_b32 s10, s0
	s_cbranch_execz .LBB130_19
; %bb.18:                               ;   in Loop: Header=BB130_4 Depth=1
	v_add_co_u32 v6, vcc_lo, v10, v0
	s_wait_alu 0xfffd
	v_add_co_ci_u32_e64 v7, null, v11, v1, vcc_lo
	flat_load_b32 v8, v[6:7]
	s_wait_loadcnt_dscnt 0x0
	v_mul_f32_e32 v8, v30, v8
	flat_store_b32 v[6:7], v8
.LBB130_19:                             ;   in Loop: Header=BB130_4 Depth=1
	s_wait_alu 0xfffe
	s_or_b32 exec_lo, exec_lo, s10
                                        ; implicit-def: $vgpr29
                                        ; implicit-def: $vgpr30
                                        ; implicit-def: $vgpr10
                                        ; implicit-def: $vgpr11
                                        ; implicit-def: $vgpr6_vgpr7
                                        ; implicit-def: $vgpr8_vgpr9
.LBB130_20:                             ;   in Loop: Header=BB130_4 Depth=1
	s_wait_alu 0xfffe
	s_and_not1_saveexec_b32 s9, s9
	s_cbranch_execz .LBB130_3
; %bb.21:                               ;   in Loop: Header=BB130_4 Depth=1
	v_mov_b32_e32 v31, 0
	s_and_saveexec_b32 s9, s0
	s_cbranch_execz .LBB130_25
; %bb.22:                               ;   in Loop: Header=BB130_4 Depth=1
	v_mov_b32_e32 v31, 0
	s_mov_b32 s10, exec_lo
	v_cmpx_neq_f32_e32 0, v30
	s_cbranch_execz .LBB130_24
; %bb.23:                               ;   in Loop: Header=BB130_4 Depth=1
	v_add_co_u32 v31, vcc_lo, v10, v0
	s_wait_alu 0xfffd
	v_add_co_ci_u32_e64 v32, null, v11, v1, vcc_lo
	flat_load_b32 v31, v[31:32]
	s_wait_loadcnt_dscnt 0x0
	v_mul_f32_e32 v31, v30, v31
.LBB130_24:                             ;   in Loop: Header=BB130_4 Depth=1
	s_wait_alu 0xfffe
	s_or_b32 exec_lo, exec_lo, s10
	v_add_co_u32 v8, vcc_lo, v8, s40
	s_wait_alu 0xfffd
	v_add_co_ci_u32_e64 v9, null, s41, v9, vcc_lo
	s_delay_alu instid0(VALU_DEP_2) | instskip(SKIP_1) | instid1(VALU_DEP_2)
	v_add_co_u32 v8, vcc_lo, v8, v2
	s_wait_alu 0xfffd
	v_add_co_ci_u32_e64 v9, null, v9, v3, vcc_lo
	flat_load_b32 v8, v[8:9]
	s_wait_loadcnt_dscnt 0x0
	ds_store_b32 v15, v8
.LBB130_25:                             ;   in Loop: Header=BB130_4 Depth=1
	s_wait_alu 0xfffe
	s_or_b32 exec_lo, exec_lo, s9
	v_add_co_u32 v6, vcc_lo, v6, s42
	s_wait_alu 0xfffd
	v_add_co_ci_u32_e64 v7, null, s43, v7, vcc_lo
	s_delay_alu instid0(VALU_DEP_2) | instskip(SKIP_1) | instid1(VALU_DEP_2)
	v_add_co_u32 v6, vcc_lo, v6, v4
	s_wait_alu 0xfffd
	v_add_co_ci_u32_e64 v7, null, v7, v5, vcc_lo
	s_delay_alu instid0(VALU_DEP_2) | instskip(SKIP_1) | instid1(VALU_DEP_2)
	v_add_co_u32 v6, vcc_lo, v6, v21
	s_wait_alu 0xfffd
	v_add_co_ci_u32_e64 v7, null, 0, v7, vcc_lo
	s_and_saveexec_b32 s9, s1
	s_cbranch_execz .LBB130_27
; %bb.26:                               ;   in Loop: Header=BB130_4 Depth=1
	s_lshl_b64 s[46:47], s[30:31], 2
	s_wait_alu 0xfffe
	v_add_co_u32 v8, vcc_lo, v6, s46
	s_wait_alu 0xfffd
	v_add_co_ci_u32_e64 v9, null, s47, v7, vcc_lo
	s_delay_alu instid0(VALU_DEP_2) | instskip(SKIP_1) | instid1(VALU_DEP_2)
	v_add_co_u32 v32, vcc_lo, v8, s36
	s_wait_alu 0xfffd
	v_add_co_ci_u32_e64 v33, null, s37, v9, vcc_lo
	s_delay_alu instid0(VALU_DEP_2) | instskip(SKIP_1) | instid1(VALU_DEP_2)
	v_add_co_u32 v34, vcc_lo, v32, s36
	s_wait_alu 0xfffd
	v_add_co_ci_u32_e64 v35, null, s37, v33, vcc_lo
	s_clause 0x3
	flat_load_b32 v36, v[6:7]
	flat_load_b32 v8, v[8:9]
	;; [unrolled: 1-line block ×4, first 2 shown]
	s_wait_loadcnt_dscnt 0x202
	ds_store_2addr_stride64_b32 v17, v36, v8 offset1:2
	s_wait_loadcnt_dscnt 0x1
	ds_store_2addr_stride64_b32 v17, v9, v32 offset0:4 offset1:6
.LBB130_27:                             ;   in Loop: Header=BB130_4 Depth=1
	s_wait_alu 0xfffe
	s_or_b32 exec_lo, exec_lo, s9
	v_add_co_u32 v6, vcc_lo, v6, s34
	s_wait_alu 0xfffd
	v_add_co_ci_u32_e64 v7, null, s35, v7, vcc_lo
	s_lshl_b64 s[46:47], s[30:31], 2
	s_wait_alu 0xfffe
	v_add_co_u32 v8, vcc_lo, v6, s46
	s_wait_alu 0xfffd
	v_add_co_ci_u32_e64 v9, null, s47, v7, vcc_lo
	s_delay_alu instid0(VALU_DEP_2) | instskip(SKIP_1) | instid1(VALU_DEP_2)
	v_add_co_u32 v32, vcc_lo, v8, s36
	s_wait_alu 0xfffd
	v_add_co_ci_u32_e64 v33, null, s37, v9, vcc_lo
	s_delay_alu instid0(VALU_DEP_2) | instskip(SKIP_1) | instid1(VALU_DEP_2)
	v_add_co_u32 v34, vcc_lo, v32, s36
	s_wait_alu 0xfffd
	v_add_co_ci_u32_e64 v35, null, s37, v33, vcc_lo
	s_clause 0x3
	flat_load_b32 v6, v[6:7]
	flat_load_b32 v7, v[8:9]
	;; [unrolled: 1-line block ×4, first 2 shown]
	s_wait_loadcnt_dscnt 0x303
	ds_store_b32 v22, v6
	s_wait_loadcnt_dscnt 0x203
	ds_store_b32 v23, v7
	;; [unrolled: 2-line block ×4, first 2 shown]
	s_wait_storecnt_dscnt 0x0
	s_barrier_signal -1
	s_barrier_wait -1
	global_inv scope:SCOPE_SE
	s_and_saveexec_b32 s9, s2
	s_cbranch_execnz .LBB130_41
; %bb.28:                               ;   in Loop: Header=BB130_4 Depth=1
	s_wait_alu 0xfffe
	s_or_b32 exec_lo, exec_lo, s9
	s_and_saveexec_b32 s9, s3
	s_cbranch_execnz .LBB130_42
.LBB130_29:                             ;   in Loop: Header=BB130_4 Depth=1
	s_wait_alu 0xfffe
	s_or_b32 exec_lo, exec_lo, s9
	s_and_saveexec_b32 s9, s4
	s_cbranch_execnz .LBB130_43
.LBB130_30:                             ;   in Loop: Header=BB130_4 Depth=1
	s_wait_alu 0xfffe
	s_or_b32 exec_lo, exec_lo, s9
	s_and_saveexec_b32 s9, s5
	s_cbranch_execnz .LBB130_44
.LBB130_31:                             ;   in Loop: Header=BB130_4 Depth=1
	s_wait_alu 0xfffe
	s_or_b32 exec_lo, exec_lo, s9
	s_and_saveexec_b32 s9, s44
	s_cbranch_execnz .LBB130_45
.LBB130_32:                             ;   in Loop: Header=BB130_4 Depth=1
	s_wait_alu 0xfffe
	s_or_b32 exec_lo, exec_lo, s9
	s_and_saveexec_b32 s9, s6
	s_cbranch_execnz .LBB130_46
.LBB130_33:                             ;   in Loop: Header=BB130_4 Depth=1
	s_wait_alu 0xfffe
	s_or_b32 exec_lo, exec_lo, s9
	s_and_saveexec_b32 s9, s7
	s_cbranch_execnz .LBB130_47
.LBB130_34:                             ;   in Loop: Header=BB130_4 Depth=1
	s_wait_alu 0xfffe
	s_or_b32 exec_lo, exec_lo, s9
	s_and_saveexec_b32 s9, s8
	s_cbranch_execz .LBB130_36
.LBB130_35:                             ;   in Loop: Header=BB130_4 Depth=1
	ds_load_b32 v6, v16 offset:48
	s_wait_dscnt 0x0
	ds_store_b32 v28, v6
.LBB130_36:                             ;   in Loop: Header=BB130_4 Depth=1
	s_wait_alu 0xfffe
	s_or_b32 exec_lo, exec_lo, s9
	s_wait_loadcnt_dscnt 0x0
	s_barrier_signal -1
	s_barrier_wait -1
	global_inv scope:SCOPE_SE
	ds_load_2addr_b32 v[6:7], v18 offset1:4
	ds_load_b32 v34, v17
	ds_load_b32 v35, v26
	ds_load_2addr_b32 v[8:9], v18 offset0:8 offset1:12
	ds_load_b32 v36, v27
	ds_load_2addr_b32 v[32:33], v18 offset0:16 offset1:20
	ds_load_b32 v37, v28
	ds_load_b32 v38, v22
	;; [unrolled: 1-line block ×5, first 2 shown]
	s_wait_dscnt 0x9
	v_fma_f32 v34, v34, v6, 0
	s_wait_dscnt 0x8
	s_delay_alu instid0(VALU_DEP_1) | instskip(SKIP_4) | instid1(VALU_DEP_1)
	v_fmac_f32_e32 v34, v35, v7
	ds_load_2addr_b32 v[6:7], v18 offset0:24 offset1:28
	s_wait_dscnt 0x7
	v_fmac_f32_e32 v34, v36, v8
	s_wait_dscnt 0x5
	v_fmac_f32_e32 v34, v37, v9
	s_wait_dscnt 0x4
	s_delay_alu instid0(VALU_DEP_1) | instskip(SKIP_1) | instid1(VALU_DEP_1)
	v_fmac_f32_e32 v34, v38, v32
	s_wait_dscnt 0x3
	v_fmac_f32_e32 v34, v39, v33
	s_wait_dscnt 0x0
	s_delay_alu instid0(VALU_DEP_1) | instskip(NEXT) | instid1(VALU_DEP_1)
	v_fmac_f32_e32 v34, v40, v6
	v_fmac_f32_e32 v34, v41, v7
	ds_store_b32 v19, v34
	s_wait_loadcnt_dscnt 0x0
	s_barrier_signal -1
	s_barrier_wait -1
	global_inv scope:SCOPE_SE
	s_and_saveexec_b32 s9, s0
	s_cbranch_execz .LBB130_2
; %bb.37:                               ;   in Loop: Header=BB130_4 Depth=1
	ds_load_2addr_b32 v[6:7], v20 offset1:32
	ds_load_2addr_b32 v[8:9], v20 offset0:64 offset1:96
	v_cmp_neq_f32_e32 vcc_lo, 0, v30
	s_wait_dscnt 0x1
	v_add_f32_e32 v6, 0, v6
	s_delay_alu instid0(VALU_DEP_1) | instskip(SKIP_1) | instid1(VALU_DEP_1)
	v_add_f32_e32 v6, v6, v7
	s_wait_dscnt 0x0
	v_add_f32_e32 v6, v6, v8
	s_delay_alu instid0(VALU_DEP_1) | instskip(NEXT) | instid1(VALU_DEP_1)
	v_add_f32_e32 v6, v6, v9
	v_mul_f32_e32 v7, v29, v6
	v_fmac_f32_e32 v31, v29, v6
	s_wait_alu 0xfffd
	s_delay_alu instid0(VALU_DEP_1)
	v_cndmask_b32_e32 v8, v7, v31, vcc_lo
	v_add_co_u32 v6, vcc_lo, v10, v0
	s_wait_alu 0xfffd
	v_add_co_ci_u32_e64 v7, null, v11, v1, vcc_lo
	flat_store_b32 v[6:7], v8
	s_branch .LBB130_2
.LBB130_38:                             ;   in Loop: Header=BB130_4 Depth=1
	ds_load_b64 v[6:7], v12
	s_mul_u64 s[46:47], s[14:15], s[12:13]
	s_wait_alu 0xfffe
	s_lshl_b64 s[46:47], s[46:47], 2
	s_wait_dscnt 0x0
	s_wait_alu 0xfffe
	v_add_co_u32 v6, vcc_lo, v6, s46
	s_wait_alu 0xfffd
	v_add_co_ci_u32_e64 v7, null, s47, v7, vcc_lo
	flat_load_b32 v29, v[6:7]
	s_cbranch_execnz .LBB130_6
.LBB130_39:                             ;   in Loop: Header=BB130_4 Depth=1
	s_wait_loadcnt_dscnt 0x0
	ds_load_b32 v29, v12
	s_and_b32 vcc_lo, exec_lo, s33
	s_mov_b32 s9, -1
                                        ; implicit-def: $vgpr30
	s_wait_alu 0xfffe
	s_cbranch_vccz .LBB130_7
.LBB130_40:                             ;   in Loop: Header=BB130_4 Depth=1
	ds_load_b64 v[6:7], v13
	s_mul_u64 s[46:47], s[22:23], s[12:13]
	s_wait_alu 0xfffe
	s_lshl_b64 s[46:47], s[46:47], 2
	s_wait_dscnt 0x0
	s_wait_alu 0xfffe
	v_add_co_u32 v6, vcc_lo, v6, s46
	s_wait_alu 0xfffd
	v_add_co_ci_u32_e64 v7, null, s47, v7, vcc_lo
	flat_load_b32 v30, v[6:7]
	s_cbranch_execz .LBB130_8
	s_branch .LBB130_9
.LBB130_41:                             ;   in Loop: Header=BB130_4 Depth=1
	ds_load_b32 v6, v16 offset:64
	s_wait_dscnt 0x0
	ds_store_b32 v22, v6
	s_wait_alu 0xfffe
	s_or_b32 exec_lo, exec_lo, s9
	s_and_saveexec_b32 s9, s3
	s_cbranch_execz .LBB130_29
.LBB130_42:                             ;   in Loop: Header=BB130_4 Depth=1
	ds_load_b32 v6, v16 offset:80
	s_wait_dscnt 0x0
	ds_store_b32 v23, v6
	s_wait_alu 0xfffe
	s_or_b32 exec_lo, exec_lo, s9
	s_and_saveexec_b32 s9, s4
	s_cbranch_execz .LBB130_30
.LBB130_43:                             ;   in Loop: Header=BB130_4 Depth=1
	ds_load_b32 v6, v16 offset:96
	s_wait_dscnt 0x0
	ds_store_b32 v24, v6
	s_wait_alu 0xfffe
	s_or_b32 exec_lo, exec_lo, s9
	s_and_saveexec_b32 s9, s5
	s_cbranch_execz .LBB130_31
.LBB130_44:                             ;   in Loop: Header=BB130_4 Depth=1
	ds_load_b32 v6, v16 offset:112
	s_wait_dscnt 0x0
	ds_store_b32 v25, v6
	s_wait_alu 0xfffe
	s_or_b32 exec_lo, exec_lo, s9
	s_and_saveexec_b32 s9, s44
	s_cbranch_execz .LBB130_32
.LBB130_45:                             ;   in Loop: Header=BB130_4 Depth=1
	ds_load_b32 v6, v16
	s_wait_dscnt 0x0
	ds_store_b32 v17, v6
	s_wait_alu 0xfffe
	s_or_b32 exec_lo, exec_lo, s9
	s_and_saveexec_b32 s9, s6
	s_cbranch_execz .LBB130_33
.LBB130_46:                             ;   in Loop: Header=BB130_4 Depth=1
	ds_load_b32 v6, v16 offset:16
	s_wait_dscnt 0x0
	ds_store_b32 v26, v6
	s_wait_alu 0xfffe
	s_or_b32 exec_lo, exec_lo, s9
	s_and_saveexec_b32 s9, s7
	s_cbranch_execz .LBB130_34
.LBB130_47:                             ;   in Loop: Header=BB130_4 Depth=1
	ds_load_b32 v6, v16 offset:32
	s_wait_dscnt 0x0
	ds_store_b32 v27, v6
	s_wait_alu 0xfffe
	s_or_b32 exec_lo, exec_lo, s9
	s_and_saveexec_b32 s9, s8
	s_cbranch_execnz .LBB130_35
	s_branch .LBB130_36
.LBB130_48:
	s_endpgm
	.section	.rodata,"a",@progbits
	.p2align	6, 0x0
	.amdhsa_kernel _ZL50rocblas_symv_kernel_upper_double_buffered_diagonalILi32ELi4E24rocblas_internal_val_ptrIfEPKPKfPKPfEvbiT1_lT2_lllSA_lllS9_lT3_llli
		.amdhsa_group_segment_fixed_size 7296
		.amdhsa_private_segment_fixed_size 0
		.amdhsa_kernarg_size 140
		.amdhsa_user_sgpr_count 4
		.amdhsa_user_sgpr_dispatch_ptr 1
		.amdhsa_user_sgpr_queue_ptr 0
		.amdhsa_user_sgpr_kernarg_segment_ptr 1
		.amdhsa_user_sgpr_dispatch_id 0
		.amdhsa_user_sgpr_private_segment_size 0
		.amdhsa_wavefront_size32 1
		.amdhsa_uses_dynamic_stack 0
		.amdhsa_enable_private_segment 0
		.amdhsa_system_sgpr_workgroup_id_x 1
		.amdhsa_system_sgpr_workgroup_id_y 0
		.amdhsa_system_sgpr_workgroup_id_z 1
		.amdhsa_system_sgpr_workgroup_info 0
		.amdhsa_system_vgpr_workitem_id 2
		.amdhsa_next_free_vgpr 42
		.amdhsa_next_free_sgpr 50
		.amdhsa_reserve_vcc 1
		.amdhsa_float_round_mode_32 0
		.amdhsa_float_round_mode_16_64 0
		.amdhsa_float_denorm_mode_32 3
		.amdhsa_float_denorm_mode_16_64 3
		.amdhsa_fp16_overflow 0
		.amdhsa_workgroup_processor_mode 1
		.amdhsa_memory_ordered 1
		.amdhsa_forward_progress 1
		.amdhsa_inst_pref_size 22
		.amdhsa_round_robin_scheduling 0
		.amdhsa_exception_fp_ieee_invalid_op 0
		.amdhsa_exception_fp_denorm_src 0
		.amdhsa_exception_fp_ieee_div_zero 0
		.amdhsa_exception_fp_ieee_overflow 0
		.amdhsa_exception_fp_ieee_underflow 0
		.amdhsa_exception_fp_ieee_inexact 0
		.amdhsa_exception_int_div_zero 0
	.end_amdhsa_kernel
	.section	.text._ZL50rocblas_symv_kernel_upper_double_buffered_diagonalILi32ELi4E24rocblas_internal_val_ptrIfEPKPKfPKPfEvbiT1_lT2_lllSA_lllS9_lT3_llli,"axG",@progbits,_ZL50rocblas_symv_kernel_upper_double_buffered_diagonalILi32ELi4E24rocblas_internal_val_ptrIfEPKPKfPKPfEvbiT1_lT2_lllSA_lllS9_lT3_llli,comdat
.Lfunc_end130:
	.size	_ZL50rocblas_symv_kernel_upper_double_buffered_diagonalILi32ELi4E24rocblas_internal_val_ptrIfEPKPKfPKPfEvbiT1_lT2_lllSA_lllS9_lT3_llli, .Lfunc_end130-_ZL50rocblas_symv_kernel_upper_double_buffered_diagonalILi32ELi4E24rocblas_internal_val_ptrIfEPKPKfPKPfEvbiT1_lT2_lllSA_lllS9_lT3_llli
                                        ; -- End function
	.set _ZL50rocblas_symv_kernel_upper_double_buffered_diagonalILi32ELi4E24rocblas_internal_val_ptrIfEPKPKfPKPfEvbiT1_lT2_lllSA_lllS9_lT3_llli.num_vgpr, 42
	.set _ZL50rocblas_symv_kernel_upper_double_buffered_diagonalILi32ELi4E24rocblas_internal_val_ptrIfEPKPKfPKPfEvbiT1_lT2_lllSA_lllS9_lT3_llli.num_agpr, 0
	.set _ZL50rocblas_symv_kernel_upper_double_buffered_diagonalILi32ELi4E24rocblas_internal_val_ptrIfEPKPKfPKPfEvbiT1_lT2_lllSA_lllS9_lT3_llli.numbered_sgpr, 50
	.set _ZL50rocblas_symv_kernel_upper_double_buffered_diagonalILi32ELi4E24rocblas_internal_val_ptrIfEPKPKfPKPfEvbiT1_lT2_lllSA_lllS9_lT3_llli.num_named_barrier, 0
	.set _ZL50rocblas_symv_kernel_upper_double_buffered_diagonalILi32ELi4E24rocblas_internal_val_ptrIfEPKPKfPKPfEvbiT1_lT2_lllSA_lllS9_lT3_llli.private_seg_size, 0
	.set _ZL50rocblas_symv_kernel_upper_double_buffered_diagonalILi32ELi4E24rocblas_internal_val_ptrIfEPKPKfPKPfEvbiT1_lT2_lllSA_lllS9_lT3_llli.uses_vcc, 1
	.set _ZL50rocblas_symv_kernel_upper_double_buffered_diagonalILi32ELi4E24rocblas_internal_val_ptrIfEPKPKfPKPfEvbiT1_lT2_lllSA_lllS9_lT3_llli.uses_flat_scratch, 1
	.set _ZL50rocblas_symv_kernel_upper_double_buffered_diagonalILi32ELi4E24rocblas_internal_val_ptrIfEPKPKfPKPfEvbiT1_lT2_lllSA_lllS9_lT3_llli.has_dyn_sized_stack, 0
	.set _ZL50rocblas_symv_kernel_upper_double_buffered_diagonalILi32ELi4E24rocblas_internal_val_ptrIfEPKPKfPKPfEvbiT1_lT2_lllSA_lllS9_lT3_llli.has_recursion, 0
	.set _ZL50rocblas_symv_kernel_upper_double_buffered_diagonalILi32ELi4E24rocblas_internal_val_ptrIfEPKPKfPKPfEvbiT1_lT2_lllSA_lllS9_lT3_llli.has_indirect_call, 0
	.section	.AMDGPU.csdata,"",@progbits
; Kernel info:
; codeLenInByte = 2708
; TotalNumSgprs: 52
; NumVgprs: 42
; ScratchSize: 0
; MemoryBound: 0
; FloatMode: 240
; IeeeMode: 1
; LDSByteSize: 7296 bytes/workgroup (compile time only)
; SGPRBlocks: 0
; VGPRBlocks: 5
; NumSGPRsForWavesPerEU: 52
; NumVGPRsForWavesPerEU: 42
; Occupancy: 16
; WaveLimiterHint : 1
; COMPUTE_PGM_RSRC2:SCRATCH_EN: 0
; COMPUTE_PGM_RSRC2:USER_SGPR: 4
; COMPUTE_PGM_RSRC2:TRAP_HANDLER: 0
; COMPUTE_PGM_RSRC2:TGID_X_EN: 1
; COMPUTE_PGM_RSRC2:TGID_Y_EN: 0
; COMPUTE_PGM_RSRC2:TGID_Z_EN: 1
; COMPUTE_PGM_RSRC2:TIDIG_COMP_CNT: 2
	.section	.text._ZL54rocblas_symv_kernel_upper_double_buffered_non_diagonalILi32ELi4ELi4E24rocblas_internal_val_ptrIfEPKPKfPKPfEvbiT2_lT3_lllSA_lllT4_llli,"axG",@progbits,_ZL54rocblas_symv_kernel_upper_double_buffered_non_diagonalILi32ELi4ELi4E24rocblas_internal_val_ptrIfEPKPKfPKPfEvbiT2_lT3_lllSA_lllT4_llli,comdat
	.globl	_ZL54rocblas_symv_kernel_upper_double_buffered_non_diagonalILi32ELi4ELi4E24rocblas_internal_val_ptrIfEPKPKfPKPfEvbiT2_lT3_lllSA_lllT4_llli ; -- Begin function _ZL54rocblas_symv_kernel_upper_double_buffered_non_diagonalILi32ELi4ELi4E24rocblas_internal_val_ptrIfEPKPKfPKPfEvbiT2_lT3_lllSA_lllT4_llli
	.p2align	8
	.type	_ZL54rocblas_symv_kernel_upper_double_buffered_non_diagonalILi32ELi4ELi4E24rocblas_internal_val_ptrIfEPKPKfPKPfEvbiT2_lT3_lllSA_lllT4_llli,@function
_ZL54rocblas_symv_kernel_upper_double_buffered_non_diagonalILi32ELi4ELi4E24rocblas_internal_val_ptrIfEPKPKfPKPfEvbiT2_lT3_lllSA_lllT4_llli: ; @_ZL54rocblas_symv_kernel_upper_double_buffered_non_diagonalILi32ELi4ELi4E24rocblas_internal_val_ptrIfEPKPKfPKPfEvbiT2_lT3_lllSA_lllT4_llli
; %bb.0:
	s_load_b64 s[12:13], s[0:1], 0x4
	s_clause 0x1
	s_load_b256 s[4:11], s[2:3], 0x8
	s_load_b32 s1, s[2:3], 0x78
	v_bfe_u32 v1, v0, 10, 10
	v_and_b32_e32 v2, 0x3ff, v0
	v_bfe_u32 v0, v0, 20, 10
	s_wait_kmcnt 0x0
	s_delay_alu instid0(VALU_DEP_3)
	v_mul_u32_u24_e32 v3, s13, v1
	s_lshr_b32 s0, s12, 16
	v_mov_b32_e32 v4, s5
	s_mul_i32 s0, s0, s13
	s_delay_alu instid0(VALU_DEP_2) | instid1(SALU_CYCLE_1)
	v_mad_u32_u24 v5, s0, v2, v3
	v_mov_b32_e32 v3, s4
	s_lshr_b32 s4, ttmp7, 16
	s_wait_alu 0xfffe
	s_cmp_ge_u32 s4, s1
	v_add_lshl_u32 v0, v5, v0, 3
	ds_store_b64 v0, v[3:4] offset:3200
	s_cbranch_scc1 .LBB131_29
; %bb.1:
	s_clause 0x3
	s_load_b32 s5, s[2:3], 0x0
	s_load_b64 s[22:23], s[2:3], 0x48
	s_load_b64 s[36:37], s[2:3], 0x28
	s_load_b128 s[12:15], s[2:3], 0x38
	v_lshl_add_u32 v17, v1, 5, v2
	v_add_nc_u32_e32 v22, 0xc80, v0
	v_and_b32_e32 v0, 15, v2
	v_cmp_eq_u32_e64 s0, 0, v1
	v_mov_b32_e32 v1, 0
	v_lshrrev_b32_e32 v18, 4, v17
	s_clause 0x1
	s_load_b64 s[24:25], s[2:3], 0x58
	s_load_b128 s[16:19], s[2:3], 0x60
	v_or_b32_e32 v15, 16, v0
	v_lshlrev_b32_e32 v20, 2, v0
	s_mov_b32 s27, 0
	v_lshlrev_b32_e32 v13, 2, v18
	v_lshlrev_b32_e32 v52, 8, v18
	s_mov_b32 s20, ttmp9
	v_or_b32_e32 v21, 0x800, v20
	v_or_b32_e32 v49, 0x80, v20
	v_or_b32_e32 v50, 64, v20
	s_wait_kmcnt 0x0
	s_bitcmp1_b32 s5, 0
	v_mad_co_u64_u32 v[3:4], null, s22, v2, 0
	v_mad_co_u64_u32 v[5:6], null, s36, v13, v[0:1]
	;; [unrolled: 1-line block ×4, first 2 shown]
	v_lshlrev_b32_e32 v19, 2, v2
	s_cselect_b32 s5, -1, 0
	s_delay_alu instid0(VALU_DEP_4)
	v_mad_co_u64_u32 v[11:12], null, s23, v2, v[4:5]
	s_and_b32 s33, ttmp7, 0xffff
	s_lshl_b32 s34, ttmp9, 5
	s_wait_alu 0xfffe
	s_xor_b32 s52, s5, -1
	s_ashr_i32 s35, s34, 31
	s_lshl_b32 s53, s33, 5
	s_cmp_lg_u32 ttmp9, 0
	v_mov_b32_e32 v4, v11
	v_mad_co_u64_u32 v[11:12], null, s37, v13, v[6:7]
	v_mad_co_u64_u32 v[12:13], null, s23, v0, v[8:9]
	;; [unrolled: 1-line block ×3, first 2 shown]
	v_dual_mov_b32 v6, v10 :: v_dual_add_nc_u32 v23, 0xc00, v19
	v_lshlrev_b32_e32 v51, 7, v18
	s_delay_alu instid0(VALU_DEP_4) | instskip(NEXT) | instid1(VALU_DEP_3)
	v_dual_mov_b32 v8, v12 :: v_dual_add_nc_u32 v25, 0x800, v19
	v_mad_co_u64_u32 v[15:16], null, s23, v15, v[6:7]
	v_mov_b32_e32 v10, v14
	v_mov_b32_e32 v6, v11
	v_and_b32_e32 v16, 0xfff0, v17
	v_add_nc_u32_e32 v18, 6, v2
	v_add_nc_u32_e32 v19, 7, v2
	v_mad_co_u64_u32 v[11:12], null, s19, v2, v[10:11]
	v_dual_mov_b32 v10, v15 :: v_dual_add_nc_u32 v15, 2, v2
	v_add_nc_u32_e32 v12, 1, v2
	v_lshlrev_b32_e32 v17, 6, v2
	s_mul_u64 s[40:41], s[36:37], s[34:35]
	s_mul_u64 s[38:39], s[22:23], s[34:35]
	s_delay_alu instid0(VALU_DEP_2)
	v_dual_mov_b32 v14, v11 :: v_dual_and_b32 v11, 15, v12
	v_and_b32_e32 v12, 15, v15
	v_add_nc_u32_e32 v15, 3, v2
	s_cselect_b32 s54, -1, 0
	s_mul_u64 s[42:43], s[18:19], s[34:35]
	v_lshl_or_b32 v27, v11, 2, v17
	v_lshl_or_b32 v28, v12, 2, v17
	v_and_b32_e32 v11, 15, v15
	v_add_nc_u32_e32 v12, 4, v2
	v_add_nc_u32_e32 v15, 5, v2
	s_lshl_b64 s[34:35], s[34:35], 2
	s_lshl_b64 s[10:11], s[10:11], 2
	v_lshl_or_b32 v29, v11, 2, v17
	v_and_b32_e32 v11, 15, v12
	v_and_b32_e32 v12, 15, v15
	;; [unrolled: 1-line block ×4, first 2 shown]
	v_xor_b32_e32 v19, 8, v0
	v_lshl_or_b32 v0, v11, 2, v17
	v_add_nc_u32_e32 v11, 9, v2
	v_lshl_or_b32 v30, v12, 2, v17
	v_lshl_or_b32 v32, v18, 2, v17
	v_add_nc_u32_e32 v18, 12, v2
	v_lshl_or_b32 v31, v15, 2, v17
	v_add_nc_u32_e32 v12, 10, v2
	v_add_nc_u32_e32 v15, 11, v2
	v_and_b32_e32 v11, 15, v11
	v_and_b32_e32 v18, 15, v18
	v_lshl_or_b32 v33, v19, 2, v17
	v_and_b32_e32 v12, 15, v12
	v_and_b32_e32 v15, 15, v15
	v_add_nc_u32_e32 v19, 13, v2
	v_lshl_or_b32 v37, v18, 2, v17
	v_add_co_u32 v18, s5, v16, s34
	v_lshl_or_b32 v34, v11, 2, v17
	v_add_nc_u32_e32 v11, 14, v2
	v_add_nc_u32_e32 v2, -1, v2
	v_lshl_or_b32 v35, v12, 2, v17
	v_lshl_or_b32 v36, v15, 2, v17
	s_wait_alu 0xf1ff
	v_add_co_ci_u32_e64 v12, null, 0, s35, s5
	v_or_b32_e32 v15, 8, v18
	v_and_b32_e32 v19, 15, v19
	v_and_b32_e32 v2, 15, v2
	v_add_nc_u32_e32 v24, 0xc00, v16
	v_mul_lo_u32 v45, s36, v12
	v_mul_lo_u32 v42, s37, v15
	v_mad_co_u64_u32 v[15:16], null, s36, v15, s[10:11]
	v_lshl_or_b32 v38, v19, 2, v17
	v_and_b32_e32 v19, 15, v11
	v_lshl_or_b32 v40, v2, 2, v17
	v_or_b32_e32 v2, 12, v18
	v_mul_lo_u32 v41, s37, v18
	v_mad_co_u64_u32 v[11:12], null, s36, v18, s[10:11]
	v_or_b32_e32 v18, 4, v18
	v_or_b32_e32 v26, v17, v20
	v_lshl_or_b32 v39, v19, 2, v17
	v_add3_u32 v44, v42, v16, v45
	v_mul_lo_u32 v46, s37, v2
	v_mad_co_u64_u32 v[16:17], null, s36, v2, s[10:11]
	v_mul_lo_u32 v2, s37, v18
	v_mad_co_u64_u32 v[18:19], null, s36, v18, s[10:11]
	v_add3_u32 v12, v41, v12, v45
	v_add_co_u32 v41, vcc_lo, v11, v20
	v_add3_u32 v11, v46, v17, v45
	v_add_nc_u32_e32 v51, v21, v51
	s_delay_alu instid0(VALU_DEP_4)
	v_add_co_ci_u32_e64 v42, null, 0, v12, vcc_lo
	v_add_co_u32 v43, vcc_lo, v15, v20
	v_add3_u32 v2, v2, v19, v45
	s_wait_alu 0xfffd
	v_add_co_ci_u32_e64 v44, null, 0, v44, vcc_lo
	v_add_co_u32 v45, vcc_lo, v16, v20
	s_wait_alu 0xfffd
	v_add_co_ci_u32_e64 v46, null, 0, v11, vcc_lo
	v_add_co_u32 v47, vcc_lo, v18, v20
	s_wait_alu 0xfffd
	v_add_co_ci_u32_e64 v48, null, 0, v2, vcc_lo
	v_lshlrev_b64_e32 v[2:3], 2, v[3:4]
	v_lshlrev_b64_e32 v[4:5], 2, v[5:6]
	;; [unrolled: 1-line block ×5, first 2 shown]
	v_add_nc_u32_e32 v52, v20, v52
	s_add_nc_u64 s[2:3], s[2:3], 0x80
	s_lshl_b64 s[28:29], s[22:23], 7
	s_lshl_b64 s[30:31], s[18:19], 7
	s_mov_b32 s21, s27
	s_lshl_b64 s[34:35], s[36:37], 2
	s_lshl_b64 s[14:15], s[14:15], 2
	;; [unrolled: 1-line block ×7, first 2 shown]
	s_branch .LBB131_3
.LBB131_2:                              ;   in Loop: Header=BB131_3 Depth=1
	s_or_b32 exec_lo, exec_lo, s55
	s_add_co_i32 s4, s4, 0x10000
	s_wait_alu 0xfffe
	s_cmp_lt_u32 s4, s1
	s_cbranch_scc0 .LBB131_29
.LBB131_3:                              ; =>This Loop Header: Depth=1
                                        ;     Child Loop BB131_17 Depth 2
	s_and_b32 vcc_lo, exec_lo, s52
	s_mov_b32 s5, -1
                                        ; implicit-def: $vgpr53
	s_wait_alu 0xfffe
	s_cbranch_vccz .LBB131_5
; %bb.4:                                ;   in Loop: Header=BB131_3 Depth=1
	ds_load_b64 v[12:13], v22
	s_mov_b32 s5, s27
	s_wait_alu 0xfffe
	s_mul_u64 s[44:45], s[6:7], s[4:5]
	s_mov_b32 s5, 0
	s_wait_alu 0xfffe
	s_lshl_b64 s[44:45], s[44:45], 2
	s_wait_dscnt 0x0
	s_wait_alu 0xfffe
	v_add_co_u32 v12, vcc_lo, v12, s44
	s_wait_alu 0xfffd
	v_add_co_ci_u32_e64 v13, null, s45, v13, vcc_lo
	flat_load_b32 v53, v[12:13]
.LBB131_5:                              ;   in Loop: Header=BB131_3 Depth=1
	s_wait_alu 0xfffe
	s_and_not1_b32 vcc_lo, exec_lo, s5
	s_wait_alu 0xfffe
	s_cbranch_vccnz .LBB131_7
; %bb.6:                                ;   in Loop: Header=BB131_3 Depth=1
	s_wait_loadcnt_dscnt 0x0
	ds_load_b32 v53, v22
.LBB131_7:                              ;   in Loop: Header=BB131_3 Depth=1
	s_mov_b32 s55, exec_lo
	s_wait_loadcnt_dscnt 0x0
	v_cmpx_neq_f32_e32 0, v53
	s_cbranch_execz .LBB131_2
; %bb.8:                                ;   in Loop: Header=BB131_3 Depth=1
	s_and_not1_b32 vcc_lo, exec_lo, s54
	s_wait_alu 0xfffe
	s_cbranch_vccnz .LBB131_2
; %bb.9:                                ;   in Loop: Header=BB131_3 Depth=1
	s_mov_b32 s5, s27
	s_wait_alu 0xfffe
	s_lshl_b64 s[44:45], s[4:5], 3
	s_wait_alu 0xfffe
	s_add_nc_u64 s[46:47], s[12:13], s[44:45]
	global_load_b64 v[18:19], v1, s[46:47]
	s_add_nc_u64 s[46:47], s[8:9], s[44:45]
	global_load_b64 v[20:21], v1, s[46:47]
	s_wait_loadcnt 0x1
	v_add_co_u32 v12, vcc_lo, v18, s14
	s_wait_alu 0xfffd
	v_add_co_ci_u32_e64 v13, null, s15, v19, vcc_lo
	s_and_saveexec_b32 s5, s0
	s_cbranch_execz .LBB131_11
; %bb.10:                               ;   in Loop: Header=BB131_3 Depth=1
	v_add_co_u32 v14, vcc_lo, v12, s38
	s_wait_alu 0xfffd
	v_add_co_ci_u32_e64 v15, null, s39, v13, vcc_lo
	s_delay_alu instid0(VALU_DEP_2) | instskip(SKIP_1) | instid1(VALU_DEP_2)
	v_add_co_u32 v14, vcc_lo, v14, v2
	s_wait_alu 0xfffd
	v_add_co_ci_u32_e64 v15, null, v15, v3, vcc_lo
	flat_load_b32 v14, v[14:15]
	s_wait_loadcnt_dscnt 0x0
	ds_store_b32 v23, v14
.LBB131_11:                             ;   in Loop: Header=BB131_3 Depth=1
	s_wait_alu 0xfffe
	s_or_b32 exec_lo, exec_lo, s5
	s_load_b32 s46, s[2:3], 0x4
	s_add_nc_u64 s[44:45], s[24:25], s[44:45]
	s_load_b64 s[44:45], s[44:45], 0x0
	s_wait_kmcnt 0x0
	s_cvt_f32_u32 s5, s46
	s_sub_co_i32 s26, 0, s46
	s_wait_alu 0xfffe
	s_delay_alu instid0(SALU_CYCLE_1) | instskip(NEXT) | instid1(TRANS32_DEP_1)
	v_rcp_iflag_f32_e32 v14, s5
	v_readfirstlane_b32 s5, v14
	s_mul_f32 s5, s5, 0x4f7ffffe
	s_wait_alu 0xfffe
	s_delay_alu instid0(SALU_CYCLE_2) | instskip(SKIP_1) | instid1(SALU_CYCLE_2)
	s_cvt_u32_f32 s5, s5
	s_wait_alu 0xfffe
	s_mul_i32 s26, s26, s5
	s_wait_alu 0xfffe
	s_mul_hi_u32 s26, s5, s26
	s_wait_alu 0xfffe
	s_add_co_i32 s26, s5, s26
	s_wait_alu 0xfffe
	s_mul_u64 s[48:49], s[20:21], s[26:27]
	s_wait_alu 0xfffe
	s_mul_i32 s5, s49, s46
	s_add_co_i32 s26, s49, 1
	s_wait_alu 0xfffe
	s_sub_co_i32 s5, s20, s5
	s_wait_alu 0xfffe
	s_sub_co_i32 s47, s5, s46
	s_cmp_ge_u32 s5, s46
	s_cselect_b32 s26, s26, s49
	s_wait_alu 0xfffe
	s_cselect_b32 s5, s47, s5
	s_add_co_i32 s47, s26, 1
	s_wait_alu 0xfffe
	s_cmp_ge_u32 s5, s46
	s_cselect_b32 s26, s47, s26
	s_add_co_i32 s5, s46, -1
	s_wait_alu 0xfffe
	s_cmp_lg_u32 s33, s5
	s_mov_b32 s5, s26
	s_cbranch_scc1 .LBB131_13
; %bb.12:                               ;   in Loop: Header=BB131_3 Depth=1
	s_mul_i32 s5, s26, s46
	s_wait_alu 0xfffe
	s_sub_co_i32 s5, s20, s5
	s_wait_alu 0xfffe
	s_add_co_i32 s5, s5, s26
.LBB131_13:                             ;   in Loop: Header=BB131_3 Depth=1
	s_wait_alu 0xfffe
	s_cmp_eq_u32 s5, 0
	s_cbranch_scc1 .LBB131_2
; %bb.14:                               ;   in Loop: Header=BB131_3 Depth=1
	s_add_nc_u64 s[44:45], s[44:45], s[16:17]
	s_cmp_lt_i32 s5, 1
	s_wait_loadcnt_dscnt 0x0
	s_barrier_signal -1
	s_barrier_wait -1
	global_inv scope:SCOPE_SE
	s_cbranch_scc1 .LBB131_21
; %bb.15:                               ;   in Loop: Header=BB131_3 Depth=1
	v_add_co_u32 v14, vcc_lo, v20, s10
	s_wait_alu 0xfffd
	v_add_co_ci_u32_e64 v15, null, s11, v21, vcc_lo
	s_mul_i32 s48, s53, s26
	v_add_co_u32 v55, vcc_lo, v14, s40
	s_wait_alu 0xfffe
	s_ashr_i32 s49, s48, 31
	s_wait_alu 0xfffd
	v_add_co_ci_u32_e64 v56, null, s41, v15, vcc_lo
	s_wait_alu 0xfffe
	s_lshl_b64 s[46:47], s[48:49], 2
	s_mul_u64 s[50:51], s[22:23], s[48:49]
	s_wait_alu 0xfffe
	v_add_co_u32 v14, vcc_lo, v55, s46
	s_wait_alu 0xfffd
	v_add_co_ci_u32_e64 v15, null, s47, v56, vcc_lo
	s_lshl_b64 s[50:51], s[50:51], 2
	v_add_co_u32 v57, vcc_lo, v14, v4
	s_wait_alu 0xfffd
	v_add_co_ci_u32_e64 v58, null, v15, v5, vcc_lo
	v_mov_b32_e32 v54, 0
	s_delay_alu instid0(VALU_DEP_3) | instskip(SKIP_1) | instid1(VALU_DEP_3)
	v_add_co_u32 v59, vcc_lo, v57, s34
	s_wait_alu 0xfffd
	v_add_co_ci_u32_e64 v60, null, s35, v58, vcc_lo
	s_delay_alu instid0(VALU_DEP_2) | instskip(SKIP_1) | instid1(VALU_DEP_2)
	v_add_co_u32 v61, vcc_lo, v59, s34
	s_wait_alu 0xfffd
	v_add_co_ci_u32_e64 v62, null, s35, v60, vcc_lo
	s_wait_alu 0xfffe
	v_add_co_u32 v16, vcc_lo, v12, s50
	s_wait_alu 0xfffd
	v_add_co_ci_u32_e64 v17, null, s51, v13, vcc_lo
	v_add_co_u32 v12, vcc_lo, v61, s34
	s_wait_alu 0xfffd
	v_add_co_ci_u32_e64 v13, null, s35, v62, vcc_lo
	;; [unrolled: 3-line block ×3, first 2 shown]
	s_clause 0x3
	flat_load_b32 v72, v[57:58]
	flat_load_b32 v73, v[59:60]
	flat_load_b32 v74, v[61:62]
	flat_load_b32 v75, v[12:13]
	flat_load_b32 v67, v[63:64]
	s_mul_u64 s[50:51], s[18:19], s[48:49]
	s_wait_alu 0xfffe
	s_lshl_b64 s[50:51], s[50:51], 2
	s_cmp_eq_u32 s5, 1
	s_wait_alu 0xfffe
	s_add_nc_u64 s[50:51], s[44:45], s[50:51]
	s_cbranch_scc1 .LBB131_22
; %bb.16:                               ;   in Loop: Header=BB131_3 Depth=1
	v_add_co_u32 v12, s26, v49, s46
	s_wait_alu 0xf1ff
	v_add_co_ci_u32_e64 v13, null, 0, s47, s26
	v_add_co_u32 v16, s26, v50, s46
	s_wait_alu 0xf1ff
	v_add_co_ci_u32_e64 v17, null, 0, s47, s26
	v_add_co_u32 v60, vcc_lo, v20, v41
	v_mul_lo_u32 v13, s22, v13
	v_mul_lo_u32 v54, s23, v12
	v_mad_co_u64_u32 v[14:15], null, s22, v12, v[18:19]
	v_mul_lo_u32 v12, s22, v17
	v_mul_lo_u32 v57, s23, v16
	v_mad_co_u64_u32 v[16:17], null, s22, v16, v[18:19]
	s_wait_alu 0xfffd
	v_add_co_ci_u32_e64 v61, null, v21, v42, vcc_lo
	v_add_co_u32 v62, vcc_lo, v20, v43
	s_wait_alu 0xfffd
	v_add_co_ci_u32_e64 v63, null, v21, v44, vcc_lo
	v_add_co_u32 v64, vcc_lo, v20, v45
	;; [unrolled: 3-line block ×3, first 2 shown]
	s_mul_u64 s[48:49], s[36:37], s[48:49]
	s_wait_alu 0xfffd
	v_add_co_ci_u32_e64 v69, null, v21, v48, vcc_lo
	s_wait_alu 0xfffe
	v_add_co_u32 v70, vcc_lo, v18, s48
	v_add3_u32 v15, v54, v15, v13
	v_add3_u32 v17, v57, v17, v12
	v_mov_b32_e32 v12, s50
	s_wait_alu 0xfffd
	v_add_co_ci_u32_e64 v71, null, s49, v19, vcc_lo
	v_dual_mov_b32 v18, 0 :: v_dual_mov_b32 v13, s51
	v_dual_mov_b32 v20, 0 :: v_dual_mov_b32 v19, 0
	v_mov_b32_e32 v54, 0
	s_add_co_i32 s5, s5, -1
.LBB131_17:                             ;   Parent Loop BB131_3 Depth=1
                                        ; =>  This Inner Loop Header: Depth=2
	v_add_co_u32 v57, vcc_lo, v60, s46
	s_wait_alu 0xfffd
	v_add_co_ci_u32_e64 v58, null, s47, v61, vcc_lo
	v_add_co_u32 v81, vcc_lo, v68, s46
	s_wait_alu 0xfffd
	v_add_co_ci_u32_e64 v82, null, s47, v69, vcc_lo
	v_add_co_u32 v83, vcc_lo, v62, s46
	s_wait_alu 0xfffd
	v_add_co_ci_u32_e64 v84, null, s47, v63, vcc_lo
	flat_load_b32 v77, v[57:58] offset:64
	flat_load_b32 v76, v[81:82] offset:64
	;; [unrolled: 1-line block ×3, first 2 shown]
	v_add_co_u32 v85, vcc_lo, v64, s46
	s_wait_alu 0xfffd
	v_add_co_ci_u32_e64 v86, null, s47, v65, vcc_lo
	v_add_co_u32 v87, vcc_lo, v16, s14
	s_wait_alu 0xfffd
	v_add_co_ci_u32_e64 v88, null, s15, v17, vcc_lo
	flat_load_b32 v79, v[85:86] offset:64
	flat_load_b32 v80, v[87:88]
	v_add_co_u32 v87, vcc_lo, v14, s14
	s_wait_alu 0xfffd
	v_add_co_ci_u32_e64 v88, null, s15, v15, vcc_lo
	flat_load_b32 v59, v[57:58] offset:128
	flat_load_b32 v58, v[81:82] offset:128
	flat_load_b32 v57, v[83:84] offset:128
	flat_load_b32 v21, v[85:86] offset:128
	flat_load_b32 v66, v[87:88]
	ds_load_b128 v[81:84], v24
	s_wait_loadcnt_dscnt 0x0
	s_barrier_signal -1
	s_barrier_wait -1
	global_inv scope:SCOPE_SE
	v_fma_f32 v85, v72, v81, 0
	s_delay_alu instid0(VALU_DEP_1) | instskip(NEXT) | instid1(VALU_DEP_1)
	v_fmac_f32_e32 v85, v73, v82
	v_fmac_f32_e32 v85, v74, v83
	s_delay_alu instid0(VALU_DEP_1) | instskip(SKIP_1) | instid1(VALU_DEP_1)
	v_fmac_f32_e32 v85, v75, v84
	v_fma_f32 v81, v77, v81, 0
	v_fmac_f32_e32 v81, v76, v82
	s_delay_alu instid0(VALU_DEP_1) | instskip(NEXT) | instid1(VALU_DEP_1)
	v_fmac_f32_e32 v81, v78, v83
	v_fmac_f32_e32 v81, v79, v84
	ds_store_2addr_b32 v51, v85, v81 offset1:16
	s_wait_loadcnt_dscnt 0x0
	s_barrier_signal -1
	s_barrier_wait -1
	global_inv scope:SCOPE_SE
	s_and_saveexec_b32 s26, s0
	s_cbranch_execz .LBB131_19
; %bb.18:                               ;   in Loop: Header=BB131_17 Depth=2
	ds_load_2addr_b32 v[81:82], v25 offset1:32
	ds_load_2addr_b32 v[83:84], v25 offset0:64 offset1:96
	ds_load_2addr_b32 v[85:86], v25 offset0:128 offset1:160
	s_wait_dscnt 0x2
	v_add_f32_e32 v81, 0, v81
	s_delay_alu instid0(VALU_DEP_1) | instskip(SKIP_1) | instid1(VALU_DEP_1)
	v_add_f32_e32 v81, v81, v82
	s_wait_dscnt 0x1
	v_add_f32_e32 v83, v81, v83
	ds_load_2addr_b32 v[81:82], v25 offset0:192 offset1:224
	v_add_f32_e32 v83, v83, v84
	s_wait_dscnt 0x1
	s_delay_alu instid0(VALU_DEP_1) | instskip(NEXT) | instid1(VALU_DEP_1)
	v_add_f32_e32 v83, v83, v85
	v_add_f32_e32 v83, v83, v86
	s_wait_dscnt 0x0
	s_delay_alu instid0(VALU_DEP_1) | instskip(NEXT) | instid1(VALU_DEP_1)
	v_add_f32_e32 v81, v83, v81
	v_add_f32_e32 v83, v81, v82
	v_add_co_u32 v81, vcc_lo, v12, v10
	s_wait_alu 0xfffd
	v_add_co_ci_u32_e64 v82, null, v13, v11, vcc_lo
	s_delay_alu instid0(VALU_DEP_3)
	v_mul_f32_e32 v83, v53, v83
	v_add_co_u32 v12, vcc_lo, v12, s30
	s_wait_alu 0xfffd
	v_add_co_ci_u32_e64 v13, null, s31, v13, vcc_lo
	flat_atomic_add_f32 v[81:82], v83 scope:SCOPE_DEV
.LBB131_19:                             ;   in Loop: Header=BB131_17 Depth=2
	s_wait_alu 0xfffe
	s_or_b32 exec_lo, exec_lo, s26
	v_add_co_u32 v55, vcc_lo, 0x80, v55
	s_wait_alu 0xfffd
	v_add_co_ci_u32_e64 v56, null, 0, v56, vcc_lo
	v_add_co_u32 v60, vcc_lo, 0x80, v60
	s_wait_alu 0xfffd
	v_add_co_ci_u32_e64 v61, null, 0, v61, vcc_lo
	;; [unrolled: 3-line block ×5, first 2 shown]
	v_add_co_u32 v70, vcc_lo, v70, s28
	v_fmac_f32_e32 v20, v67, v73
	v_fmac_f32_e32 v19, v67, v74
	;; [unrolled: 1-line block ×4, first 2 shown]
	s_wait_alu 0xfffd
	v_add_co_ci_u32_e64 v71, null, s29, v71, vcc_lo
	v_add_co_u32 v14, vcc_lo, v14, s28
	s_wait_alu 0xfffd
	v_add_co_ci_u32_e64 v15, null, s29, v15, vcc_lo
	v_add_co_u32 v16, vcc_lo, v16, s28
	v_fmac_f32_e32 v20, v80, v76
	v_fmac_f32_e32 v19, v80, v78
	;; [unrolled: 1-line block ×4, first 2 shown]
	s_wait_alu 0xfffd
	v_add_co_ci_u32_e64 v17, null, s29, v17, vcc_lo
	s_add_co_i32 s5, s5, -1
	s_wait_alu 0xfffe
	s_cmp_eq_u32 s5, 0
	s_cbranch_scc1 .LBB131_23
; %bb.20:                               ;   in Loop: Header=BB131_17 Depth=2
	v_dual_mov_b32 v67, v66 :: v_dual_mov_b32 v72, v59
	v_dual_mov_b32 v73, v58 :: v_dual_mov_b32 v74, v57
	v_mov_b32_e32 v75, v21
	s_branch .LBB131_17
.LBB131_21:                             ;   in Loop: Header=BB131_3 Depth=1
	v_dual_mov_b32 v54, 0 :: v_dual_mov_b32 v19, 0
	v_mov_b32_e32 v20, 0
	v_mov_b32_e32 v18, 0
	s_branch .LBB131_27
.LBB131_22:                             ;   in Loop: Header=BB131_3 Depth=1
	s_wait_alu 0xfffe
	v_dual_mov_b32 v12, s50 :: v_dual_mov_b32 v13, s51
	s_wait_loadcnt_dscnt 0x101
	v_dual_mov_b32 v21, v75 :: v_dual_mov_b32 v58, v73
	v_dual_mov_b32 v57, v74 :: v_dual_mov_b32 v20, 0
	;; [unrolled: 1-line block ×3, first 2 shown]
	s_wait_loadcnt_dscnt 0x0
	v_dual_mov_b32 v19, 0 :: v_dual_mov_b32 v66, v67
	s_branch .LBB131_24
.LBB131_23:                             ;   in Loop: Header=BB131_3 Depth=1
	v_add_co_u32 v16, vcc_lo, v70, s14
	s_wait_alu 0xfffd
	v_add_co_ci_u32_e64 v17, null, s15, v71, vcc_lo
	v_add_co_u32 v14, vcc_lo, v55, s46
	s_wait_alu 0xfffd
	v_add_co_ci_u32_e64 v15, null, s47, v56, vcc_lo
.LBB131_24:                             ;   in Loop: Header=BB131_3 Depth=1
	s_delay_alu instid0(VALU_DEP_2) | instskip(SKIP_1) | instid1(VALU_DEP_2)
	v_add_co_u32 v14, vcc_lo, v14, v4
	s_wait_alu 0xfffd
	v_add_co_ci_u32_e64 v15, null, v15, v5, vcc_lo
	s_delay_alu instid0(VALU_DEP_2) | instskip(SKIP_1) | instid1(VALU_DEP_2)
	v_add_co_u32 v55, vcc_lo, v14, s34
	s_wait_alu 0xfffd
	v_add_co_ci_u32_e64 v56, null, s35, v15, vcc_lo
	flat_load_b32 v14, v[14:15] offset:64
	v_add_co_u32 v60, vcc_lo, v55, s34
	s_wait_alu 0xfffd
	v_add_co_ci_u32_e64 v61, null, s35, v56, vcc_lo
	flat_load_b32 v15, v[55:56] offset:64
	v_add_co_u32 v62, vcc_lo, v60, s34
	s_wait_alu 0xfffd
	v_add_co_ci_u32_e64 v63, null, s35, v61, vcc_lo
	v_add_co_u32 v16, vcc_lo, v16, v8
	s_clause 0x1
	flat_load_b32 v55, v[60:61] offset:64
	flat_load_b32 v56, v[62:63] offset:64
	s_wait_alu 0xfffd
	v_add_co_ci_u32_e64 v17, null, v17, v9, vcc_lo
	ds_load_b128 v[60:63], v24
	flat_load_b32 v16, v[16:17]
	s_wait_storecnt 0x0
	s_wait_loadcnt_dscnt 0x0
	s_barrier_signal -1
	s_barrier_wait -1
	global_inv scope:SCOPE_SE
	v_fma_f32 v17, v59, v60, 0
	v_fma_f32 v60, v14, v60, 0
	s_delay_alu instid0(VALU_DEP_1) | instskip(NEXT) | instid1(VALU_DEP_1)
	v_fmac_f32_e32 v60, v15, v61
	v_dual_fmac_f32 v17, v58, v61 :: v_dual_fmac_f32 v60, v55, v62
	s_delay_alu instid0(VALU_DEP_1) | instskip(NEXT) | instid1(VALU_DEP_1)
	v_dual_fmac_f32 v17, v57, v62 :: v_dual_fmac_f32 v60, v56, v63
	v_fmac_f32_e32 v17, v21, v63
	ds_store_2addr_b32 v51, v17, v60 offset1:16
	s_wait_loadcnt_dscnt 0x0
	s_barrier_signal -1
	s_barrier_wait -1
	global_inv scope:SCOPE_SE
	s_and_saveexec_b32 s5, s0
	s_cbranch_execz .LBB131_26
; %bb.25:                               ;   in Loop: Header=BB131_3 Depth=1
	ds_load_2addr_b32 v[60:61], v25 offset1:32
	ds_load_2addr_b32 v[62:63], v25 offset0:64 offset1:96
	ds_load_2addr_b32 v[64:65], v25 offset0:128 offset1:160
	v_add_co_u32 v12, vcc_lo, v12, v10
	s_wait_alu 0xfffd
	v_add_co_ci_u32_e64 v13, null, v13, v11, vcc_lo
	s_wait_dscnt 0x2
	v_add_f32_e32 v17, 0, v60
	s_delay_alu instid0(VALU_DEP_1) | instskip(SKIP_3) | instid1(VALU_DEP_1)
	v_add_f32_e32 v17, v17, v61
	ds_load_2addr_b32 v[60:61], v25 offset0:192 offset1:224
	s_wait_dscnt 0x2
	v_add_f32_e32 v17, v17, v62
	v_add_f32_e32 v17, v17, v63
	s_wait_dscnt 0x1
	s_delay_alu instid0(VALU_DEP_1) | instskip(NEXT) | instid1(VALU_DEP_1)
	v_add_f32_e32 v17, v17, v64
	v_add_f32_e32 v17, v17, v65
	s_wait_dscnt 0x0
	s_delay_alu instid0(VALU_DEP_1) | instskip(NEXT) | instid1(VALU_DEP_1)
	v_add_f32_e32 v17, v17, v60
	v_add_f32_e32 v17, v17, v61
	s_delay_alu instid0(VALU_DEP_1)
	v_mul_f32_e32 v17, v53, v17
	flat_atomic_add_f32 v[12:13], v17 scope:SCOPE_DEV
.LBB131_26:                             ;   in Loop: Header=BB131_3 Depth=1
	s_wait_alu 0xfffe
	s_or_b32 exec_lo, exec_lo, s5
	v_fmac_f32_e32 v18, v66, v59
	v_fmac_f32_e32 v19, v66, v57
	;; [unrolled: 1-line block ×3, first 2 shown]
	s_delay_alu instid0(VALU_DEP_3) | instskip(NEXT) | instid1(VALU_DEP_3)
	v_fmac_f32_e32 v18, v16, v14
	v_dual_fmac_f32 v20, v66, v58 :: v_dual_fmac_f32 v19, v16, v55
	s_delay_alu instid0(VALU_DEP_3) | instskip(NEXT) | instid1(VALU_DEP_2)
	v_fmac_f32_e32 v54, v16, v56
	v_fmac_f32_e32 v20, v16, v15
.LBB131_27:                             ;   in Loop: Header=BB131_3 Depth=1
	ds_store_2addr_b32 v52, v18, v20 offset1:16
	ds_store_2addr_b32 v52, v19, v54 offset0:32 offset1:48
	s_wait_storecnt 0x0
	s_wait_loadcnt_dscnt 0x0
	s_barrier_signal -1
	s_barrier_wait -1
	global_inv scope:SCOPE_SE
	s_and_b32 exec_lo, exec_lo, s0
	s_cbranch_execz .LBB131_2
; %bb.28:                               ;   in Loop: Header=BB131_3 Depth=1
	ds_load_b32 v12, v26
	ds_load_b32 v13, v27
	ds_load_b32 v14, v28
	ds_load_b32 v15, v29
	ds_load_b32 v16, v0
	ds_load_b32 v17, v30
	ds_load_b32 v18, v31
	ds_load_b32 v19, v32
	s_wait_alu 0xfffe
	s_add_nc_u64 s[44:45], s[44:45], s[42:43]
	s_wait_dscnt 0x7
	v_add_f32_e32 v12, 0, v12
	s_wait_dscnt 0x6
	s_delay_alu instid0(VALU_DEP_1)
	v_add_f32_e32 v12, v12, v13
	ds_load_b32 v13, v33
	s_wait_dscnt 0x6
	v_add_f32_e32 v12, v12, v14
	ds_load_b32 v14, v34
	s_wait_dscnt 0x6
	;; [unrolled: 3-line block ×3, first 2 shown]
	v_add_f32_e32 v12, v12, v16
	s_wait_dscnt 0x5
	s_delay_alu instid0(VALU_DEP_1) | instskip(SKIP_1) | instid1(VALU_DEP_1)
	v_add_f32_e32 v12, v12, v17
	s_wait_dscnt 0x4
	v_add_f32_e32 v12, v12, v18
	s_wait_dscnt 0x3
	s_delay_alu instid0(VALU_DEP_1)
	v_add_f32_e32 v12, v12, v19
	ds_load_b32 v16, v36
	ds_load_b32 v17, v37
	;; [unrolled: 1-line block ×5, first 2 shown]
	s_wait_dscnt 0x7
	v_add_f32_e32 v12, v12, v13
	s_wait_dscnt 0x6
	s_delay_alu instid0(VALU_DEP_1) | instskip(SKIP_1) | instid1(VALU_DEP_1)
	v_add_f32_e32 v12, v12, v14
	s_wait_dscnt 0x5
	v_add_f32_e32 v12, v12, v15
	s_wait_dscnt 0x4
	s_delay_alu instid0(VALU_DEP_1) | instskip(SKIP_1) | instid1(VALU_DEP_1)
	v_add_f32_e32 v12, v12, v16
	;; [unrolled: 5-line block ×3, first 2 shown]
	s_wait_dscnt 0x1
	v_add_f32_e32 v12, v12, v19
	s_wait_dscnt 0x0
	s_delay_alu instid0(VALU_DEP_1)
	v_add_f32_e32 v14, v12, v20
	s_wait_alu 0xfffe
	v_add_co_u32 v12, vcc_lo, s44, v10
	s_wait_alu 0xfffd
	v_add_co_ci_u32_e64 v13, null, s45, v11, vcc_lo
	v_mul_f32_e32 v14, v53, v14
	flat_atomic_add_f32 v[12:13], v14 scope:SCOPE_DEV
	s_branch .LBB131_2
.LBB131_29:
	s_endpgm
	.section	.rodata,"a",@progbits
	.p2align	6, 0x0
	.amdhsa_kernel _ZL54rocblas_symv_kernel_upper_double_buffered_non_diagonalILi32ELi4ELi4E24rocblas_internal_val_ptrIfEPKPKfPKPfEvbiT2_lT3_lllSA_lllT4_llli
		.amdhsa_group_segment_fixed_size 4224
		.amdhsa_private_segment_fixed_size 0
		.amdhsa_kernarg_size 384
		.amdhsa_user_sgpr_count 4
		.amdhsa_user_sgpr_dispatch_ptr 1
		.amdhsa_user_sgpr_queue_ptr 0
		.amdhsa_user_sgpr_kernarg_segment_ptr 1
		.amdhsa_user_sgpr_dispatch_id 0
		.amdhsa_user_sgpr_private_segment_size 0
		.amdhsa_wavefront_size32 1
		.amdhsa_uses_dynamic_stack 0
		.amdhsa_enable_private_segment 0
		.amdhsa_system_sgpr_workgroup_id_x 1
		.amdhsa_system_sgpr_workgroup_id_y 1
		.amdhsa_system_sgpr_workgroup_id_z 1
		.amdhsa_system_sgpr_workgroup_info 0
		.amdhsa_system_vgpr_workitem_id 2
		.amdhsa_next_free_vgpr 89
		.amdhsa_next_free_sgpr 56
		.amdhsa_reserve_vcc 1
		.amdhsa_float_round_mode_32 0
		.amdhsa_float_round_mode_16_64 0
		.amdhsa_float_denorm_mode_32 3
		.amdhsa_float_denorm_mode_16_64 3
		.amdhsa_fp16_overflow 0
		.amdhsa_workgroup_processor_mode 1
		.amdhsa_memory_ordered 1
		.amdhsa_forward_progress 1
		.amdhsa_inst_pref_size 31
		.amdhsa_round_robin_scheduling 0
		.amdhsa_exception_fp_ieee_invalid_op 0
		.amdhsa_exception_fp_denorm_src 0
		.amdhsa_exception_fp_ieee_div_zero 0
		.amdhsa_exception_fp_ieee_overflow 0
		.amdhsa_exception_fp_ieee_underflow 0
		.amdhsa_exception_fp_ieee_inexact 0
		.amdhsa_exception_int_div_zero 0
	.end_amdhsa_kernel
	.section	.text._ZL54rocblas_symv_kernel_upper_double_buffered_non_diagonalILi32ELi4ELi4E24rocblas_internal_val_ptrIfEPKPKfPKPfEvbiT2_lT3_lllSA_lllT4_llli,"axG",@progbits,_ZL54rocblas_symv_kernel_upper_double_buffered_non_diagonalILi32ELi4ELi4E24rocblas_internal_val_ptrIfEPKPKfPKPfEvbiT2_lT3_lllSA_lllT4_llli,comdat
.Lfunc_end131:
	.size	_ZL54rocblas_symv_kernel_upper_double_buffered_non_diagonalILi32ELi4ELi4E24rocblas_internal_val_ptrIfEPKPKfPKPfEvbiT2_lT3_lllSA_lllT4_llli, .Lfunc_end131-_ZL54rocblas_symv_kernel_upper_double_buffered_non_diagonalILi32ELi4ELi4E24rocblas_internal_val_ptrIfEPKPKfPKPfEvbiT2_lT3_lllSA_lllT4_llli
                                        ; -- End function
	.set _ZL54rocblas_symv_kernel_upper_double_buffered_non_diagonalILi32ELi4ELi4E24rocblas_internal_val_ptrIfEPKPKfPKPfEvbiT2_lT3_lllSA_lllT4_llli.num_vgpr, 89
	.set _ZL54rocblas_symv_kernel_upper_double_buffered_non_diagonalILi32ELi4ELi4E24rocblas_internal_val_ptrIfEPKPKfPKPfEvbiT2_lT3_lllSA_lllT4_llli.num_agpr, 0
	.set _ZL54rocblas_symv_kernel_upper_double_buffered_non_diagonalILi32ELi4ELi4E24rocblas_internal_val_ptrIfEPKPKfPKPfEvbiT2_lT3_lllSA_lllT4_llli.numbered_sgpr, 56
	.set _ZL54rocblas_symv_kernel_upper_double_buffered_non_diagonalILi32ELi4ELi4E24rocblas_internal_val_ptrIfEPKPKfPKPfEvbiT2_lT3_lllSA_lllT4_llli.num_named_barrier, 0
	.set _ZL54rocblas_symv_kernel_upper_double_buffered_non_diagonalILi32ELi4ELi4E24rocblas_internal_val_ptrIfEPKPKfPKPfEvbiT2_lT3_lllSA_lllT4_llli.private_seg_size, 0
	.set _ZL54rocblas_symv_kernel_upper_double_buffered_non_diagonalILi32ELi4ELi4E24rocblas_internal_val_ptrIfEPKPKfPKPfEvbiT2_lT3_lllSA_lllT4_llli.uses_vcc, 1
	.set _ZL54rocblas_symv_kernel_upper_double_buffered_non_diagonalILi32ELi4ELi4E24rocblas_internal_val_ptrIfEPKPKfPKPfEvbiT2_lT3_lllSA_lllT4_llli.uses_flat_scratch, 1
	.set _ZL54rocblas_symv_kernel_upper_double_buffered_non_diagonalILi32ELi4ELi4E24rocblas_internal_val_ptrIfEPKPKfPKPfEvbiT2_lT3_lllSA_lllT4_llli.has_dyn_sized_stack, 0
	.set _ZL54rocblas_symv_kernel_upper_double_buffered_non_diagonalILi32ELi4ELi4E24rocblas_internal_val_ptrIfEPKPKfPKPfEvbiT2_lT3_lllSA_lllT4_llli.has_recursion, 0
	.set _ZL54rocblas_symv_kernel_upper_double_buffered_non_diagonalILi32ELi4ELi4E24rocblas_internal_val_ptrIfEPKPKfPKPfEvbiT2_lT3_lllSA_lllT4_llli.has_indirect_call, 0
	.section	.AMDGPU.csdata,"",@progbits
; Kernel info:
; codeLenInByte = 3920
; TotalNumSgprs: 58
; NumVgprs: 89
; ScratchSize: 0
; MemoryBound: 0
; FloatMode: 240
; IeeeMode: 1
; LDSByteSize: 4224 bytes/workgroup (compile time only)
; SGPRBlocks: 0
; VGPRBlocks: 11
; NumSGPRsForWavesPerEU: 58
; NumVGPRsForWavesPerEU: 89
; Occupancy: 16
; WaveLimiterHint : 1
; COMPUTE_PGM_RSRC2:SCRATCH_EN: 0
; COMPUTE_PGM_RSRC2:USER_SGPR: 4
; COMPUTE_PGM_RSRC2:TRAP_HANDLER: 0
; COMPUTE_PGM_RSRC2:TGID_X_EN: 1
; COMPUTE_PGM_RSRC2:TGID_Y_EN: 1
; COMPUTE_PGM_RSRC2:TGID_Z_EN: 1
; COMPUTE_PGM_RSRC2:TIDIG_COMP_CNT: 2
	.section	.text._ZL58rocblas_symv_kernel_upper_double_buffered_diagonal_genericILi32ELi8E24rocblas_internal_val_ptrIfEPKPKfPKPfEvbiT1_lT2_lllSA_lllS9_lT3_lllii,"axG",@progbits,_ZL58rocblas_symv_kernel_upper_double_buffered_diagonal_genericILi32ELi8E24rocblas_internal_val_ptrIfEPKPKfPKPfEvbiT1_lT2_lllSA_lllS9_lT3_lllii,comdat
	.globl	_ZL58rocblas_symv_kernel_upper_double_buffered_diagonal_genericILi32ELi8E24rocblas_internal_val_ptrIfEPKPKfPKPfEvbiT1_lT2_lllSA_lllS9_lT3_lllii ; -- Begin function _ZL58rocblas_symv_kernel_upper_double_buffered_diagonal_genericILi32ELi8E24rocblas_internal_val_ptrIfEPKPKfPKPfEvbiT1_lT2_lllSA_lllS9_lT3_lllii
	.p2align	8
	.type	_ZL58rocblas_symv_kernel_upper_double_buffered_diagonal_genericILi32ELi8E24rocblas_internal_val_ptrIfEPKPKfPKPfEvbiT1_lT2_lllSA_lllS9_lT3_lllii,@function
_ZL58rocblas_symv_kernel_upper_double_buffered_diagonal_genericILi32ELi8E24rocblas_internal_val_ptrIfEPKPKfPKPfEvbiT1_lT2_lllSA_lllS9_lT3_lllii: ; @_ZL58rocblas_symv_kernel_upper_double_buffered_diagonal_genericILi32ELi8E24rocblas_internal_val_ptrIfEPKPKfPKPfEvbiT1_lT2_lllSA_lllS9_lT3_lllii
; %bb.0:
	s_load_b64 s[0:1], s[0:1], 0x4
	s_load_b256 s[8:15], s[2:3], 0x8
	v_and_b32_e32 v6, 0x3ff, v0
	s_clause 0x1
	s_load_b128 s[16:19], s[2:3], 0x58
	s_load_b64 s[28:29], s[2:3], 0x88
	v_bfe_u32 v1, v0, 10, 10
	v_bfe_u32 v0, v0, 20, 10
	s_wait_kmcnt 0x0
	s_lshr_b32 s0, s0, 16
	v_mov_b32_e32 v3, s9
	s_mul_i32 s0, s0, s1
	v_mov_b32_e32 v5, s17
	v_mul_lo_u32 v2, s0, v6
	s_delay_alu instid0(VALU_DEP_1) | instskip(NEXT) | instid1(VALU_DEP_1)
	v_mad_u32_u24 v2, v1, s1, v2
	v_add_lshl_u32 v0, v2, v0, 3
	v_mov_b32_e32 v2, s8
	v_mov_b32_e32 v4, s16
	s_lshr_b32 s16, ttmp7, 16
	s_wait_alu 0xfffe
	s_cmp_ge_u32 s16, s29
	v_add_nc_u32_e32 v7, 0x80, v0
	ds_store_2addr_stride64_b64 v7, v[4:5], v[2:3] offset0:12 offset1:16
	s_cbranch_scc1 .LBB132_57
; %bb.1:
	s_clause 0x5
	s_load_b128 s[24:27], s[2:3], 0x70
	s_load_b64 s[30:31], s[2:3], 0x28
	s_load_b64 s[4:5], s[2:3], 0x48
	s_load_b32 s6, s[2:3], 0x0
	s_load_b64 s[34:35], s[2:3], 0x68
	s_load_b128 s[20:23], s[2:3], 0x38
	v_dual_mov_b32 v14, 0 :: v_dual_add_nc_u32 v13, 0x1880, v0
	s_add_nc_u64 s[36:37], s[2:3], 0x90
	v_cmp_gt_i32_e64 s9, s28, v6
	v_lshl_add_u32 v19, v1, 5, v6
	v_cmp_eq_u32_e64 s0, 0, v1
	v_cmp_le_i32_e64 s1, s28, v6
	v_lshlrev_b32_e32 v23, 2, v6
	s_mov_b32 s17, 0
	v_lshl_add_u32 v19, v19, 2, 0x1000
	s_wait_kmcnt 0x0
	v_mad_co_u64_u32 v[2:3], null, s26, v6, 0
	v_mad_co_u64_u32 v[4:5], null, s30, v1, 0
	;; [unrolled: 1-line block ×3, first 2 shown]
	v_add_nc_u32_e32 v12, 0x2080, v0
	s_bitcmp1_b32 s6, 0
	s_delay_alu instid0(VALU_DEP_4) | instskip(NEXT) | instid1(VALU_DEP_4)
	v_mov_b32_e32 v0, v3
	v_dual_mov_b32 v3, v5 :: v_dual_lshlrev_b32 v26, 2, v6
	s_cselect_b32 s8, -1, 0
	s_lshl_b32 s6, ttmp9, 5
	s_delay_alu instid0(VALU_DEP_4)
	v_mov_b32_e32 v5, v8
	v_mad_co_u64_u32 v[8:9], null, s27, v6, v[0:1]
	v_mad_co_u64_u32 v[9:10], null, s31, v1, v[3:4]
	s_ashr_i32 s7, s6, 31
	s_add_nc_u64 s[2:3], s[30:31], 1
	s_mul_u64 s[42:43], s[4:5], s[6:7]
	v_sub_co_u32 v0, s4, v6, v1
	v_mad_co_u64_u32 v[10:11], null, s5, v6, v[5:6]
	s_mul_u64 s[38:39], s[2:3], s[6:7]
	v_mov_b32_e32 v5, v9
	v_cmp_ne_u32_e64 s2, 0, v1
	v_sub_nc_u32_e32 v9, 0, v0
	s_wait_alu 0xfffe
	s_xor_b32 s33, s8, -1
	s_mul_u64 s[40:41], s[26:27], s[6:7]
	s_lshl_b64 s[26:27], s[30:31], 5
	s_nor_b32 s44, s2, s9
	s_lshr_b32 s45, s28, 3
	v_max_i32_e32 v0, v0, v9
	s_cmp_gt_u32 s28, 7
	v_mov_b32_e32 v3, v8
	s_cselect_b32 s46, -1, 0
	s_and_b32 s3, s28, 7
	v_mov_b32_e32 v8, v10
	v_lshlrev_b32_e32 v10, 7, v1
	v_lshlrev_b32_e32 v11, 2, v1
	v_cmp_gt_u32_e64 s3, s3, v1
	s_xor_b32 s28, s4, -1
	v_cmp_lt_u32_e64 s4, 16, v0
	v_cmp_lt_u32_e64 s5, 24, v0
	;; [unrolled: 1-line block ×3, first 2 shown]
	v_lshlrev_b64_e32 v[0:1], 2, v[4:5]
	v_mul_u32_u24_e32 v9, 0x7c, v6
	s_lshl_b64 s[38:39], s[38:39], 2
	v_add_nc_u32_e32 v16, v26, v10
	v_add_nc_u32_e32 v18, 0x1800, v11
	v_lshlrev_b64_e32 v[2:3], 2, v[2:3]
	v_add_co_u32 v4, vcc_lo, s38, v0
	s_delay_alu instid0(VALU_DEP_1)
	v_add_co_ci_u32_e64 v5, null, s39, v1, vcc_lo
	v_add3_u32 v17, v26, v9, v11
	v_add_nc_u32_e32 v9, 0x400, v10
	v_add_nc_u32_e32 v11, 0x800, v10
	;; [unrolled: 1-line block ×3, first 2 shown]
	v_add_co_u32 v21, vcc_lo, v4, v26
	s_wait_alu 0xfffd
	v_add_co_ci_u32_e64 v22, null, 0, v5, vcc_lo
	v_lshlrev_b64_e32 v[4:5], 2, v[7:8]
	v_add_nc_u32_e32 v15, 0x1800, v26
	v_or_b32_e32 v20, 0x1000, v26
	v_add_nc_u32_e32 v24, v26, v9
	v_add_nc_u32_e32 v25, v26, v11
	;; [unrolled: 1-line block ×3, first 2 shown]
	s_lshl_b64 s[14:15], s[14:15], 2
	s_lshl_b64 s[22:23], s[22:23], 2
	;; [unrolled: 1-line block ×5, first 2 shown]
	s_branch .LBB132_4
.LBB132_2:                              ;   in Loop: Header=BB132_4 Depth=1
	s_wait_alu 0xfffe
	s_or_b32 exec_lo, exec_lo, s7
.LBB132_3:                              ;   in Loop: Header=BB132_4 Depth=1
	s_delay_alu instid0(SALU_CYCLE_1)
	s_or_b32 exec_lo, exec_lo, s47
	s_add_co_i32 s16, s16, 0x10000
	s_wait_alu 0xfffe
	s_cmp_lt_u32 s16, s29
	s_cbranch_scc0 .LBB132_57
.LBB132_4:                              ; =>This Loop Header: Depth=1
                                        ;     Child Loop BB132_40 Depth 2
	s_and_b32 vcc_lo, exec_lo, s33
	s_mov_b32 s7, -1
                                        ; implicit-def: $vgpr27
	s_wait_alu 0xfffe
	s_cbranch_vccnz .LBB132_51
; %bb.5:                                ;   in Loop: Header=BB132_4 Depth=1
	s_and_not1_b32 vcc_lo, exec_lo, s7
	s_wait_alu 0xfffe
	s_cbranch_vccz .LBB132_52
.LBB132_6:                              ;   in Loop: Header=BB132_4 Depth=1
	s_and_b32 vcc_lo, exec_lo, s33
	s_mov_b32 s7, -1
                                        ; implicit-def: $vgpr28
	s_wait_alu 0xfffe
	s_cbranch_vccnz .LBB132_53
.LBB132_7:                              ;   in Loop: Header=BB132_4 Depth=1
	s_and_not1_b32 vcc_lo, exec_lo, s7
	s_wait_alu 0xfffe
	s_cbranch_vccnz .LBB132_9
.LBB132_8:                              ;   in Loop: Header=BB132_4 Depth=1
	s_wait_loadcnt_dscnt 0x0
	ds_load_b32 v28, v13
.LBB132_9:                              ;   in Loop: Header=BB132_4 Depth=1
	s_wait_loadcnt_dscnt 0x0
	v_cmp_neq_f32_e32 vcc_lo, 0, v27
	v_cmp_neq_f32_e64 s7, 1.0, v28
	s_or_b32 s7, vcc_lo, s7
	s_wait_alu 0xfffe
	s_and_saveexec_b32 s47, s7
	s_cbranch_execz .LBB132_3
; %bb.10:                               ;   in Loop: Header=BB132_4 Depth=1
	v_cmp_neq_f32_e64 s7, 0, v27
	v_cmp_eq_f32_e32 vcc_lo, 0, v27
	v_dual_mov_b32 v10, s16 :: v_dual_mov_b32 v11, s17
	s_and_saveexec_b32 s8, vcc_lo
	s_wait_alu 0xfffe
	s_xor_b32 s8, exec_lo, s8
; %bb.11:                               ;   in Loop: Header=BB132_4 Depth=1
	v_dual_mov_b32 v10, s16 :: v_dual_mov_b32 v11, s17
; %bb.12:                               ;   in Loop: Header=BB132_4 Depth=1
	s_wait_alu 0xfffe
	s_or_saveexec_b32 s48, s8
	v_mov_b32_e32 v8, 0
	v_dual_mov_b32 v9, 0 :: v_dual_mov_b32 v6, 0
	v_mov_b32_e32 v7, 0
	s_wait_alu 0xfffe
	s_xor_b32 exec_lo, exec_lo, s48
	s_cbranch_execz .LBB132_14
; %bb.13:                               ;   in Loop: Header=BB132_4 Depth=1
	s_lshl_b64 s[50:51], s[16:17], 3
	s_wait_alu 0xfffe
	s_add_nc_u64 s[50:51], s[12:13], s[50:51]
	global_load_b64 v[6:7], v14, s[50:51]
	s_wait_loadcnt 0x0
	v_add_co_u32 v6, s8, v6, s14
	s_wait_alu 0xf1ff
	v_add_co_ci_u32_e64 v7, null, s15, v7, s8
.LBB132_14:                             ;   in Loop: Header=BB132_4 Depth=1
	s_or_b32 exec_lo, exec_lo, s48
	v_lshlrev_b64_e32 v[10:11], 3, v[10:11]
	s_and_saveexec_b32 s8, s7
	s_cbranch_execz .LBB132_16
; %bb.15:                               ;   in Loop: Header=BB132_4 Depth=1
	s_delay_alu instid0(VALU_DEP_1) | instskip(SKIP_1) | instid1(VALU_DEP_2)
	v_add_co_u32 v8, s7, s20, v10
	s_wait_alu 0xf1ff
	v_add_co_ci_u32_e64 v9, null, s21, v11, s7
	global_load_b64 v[8:9], v[8:9], off
	s_wait_loadcnt 0x0
	v_add_co_u32 v8, s7, v8, s22
	s_wait_alu 0xf1ff
	v_add_co_ci_u32_e64 v9, null, s23, v9, s7
.LBB132_16:                             ;   in Loop: Header=BB132_4 Depth=1
	s_wait_alu 0xfffe
	s_or_b32 exec_lo, exec_lo, s8
	s_delay_alu instid0(VALU_DEP_1)
	v_add_co_u32 v10, s7, s34, v10
	s_wait_alu 0xf1ff
	v_add_co_ci_u32_e64 v11, null, s35, v11, s7
	global_load_b64 v[10:11], v[10:11], off
	s_wait_loadcnt 0x0
	v_add_co_u32 v10, s7, v10, s24
	s_wait_alu 0xf1ff
	v_add_co_ci_u32_e64 v11, null, s25, v11, s7
	s_delay_alu instid0(VALU_DEP_2) | instskip(SKIP_1) | instid1(VALU_DEP_2)
	v_add_co_u32 v10, s7, v10, s40
	s_wait_alu 0xf1ff
	v_add_co_ci_u32_e64 v11, null, s41, v11, s7
	s_and_saveexec_b32 s7, vcc_lo
	s_wait_alu 0xfffe
	s_xor_b32 s7, exec_lo, s7
	s_cbranch_execz .LBB132_23
; %bb.17:                               ;   in Loop: Header=BB132_4 Depth=1
	s_and_saveexec_b32 s8, s0
	s_cbranch_execz .LBB132_22
; %bb.18:                               ;   in Loop: Header=BB132_4 Depth=1
	s_mov_b32 s49, s9
	s_and_saveexec_b32 s48, s1
	s_cbranch_execz .LBB132_20
; %bb.19:                               ;   in Loop: Header=BB132_4 Depth=1
	s_load_b32 s49, s[36:37], 0x0
	s_wait_kmcnt 0x0
	s_add_co_i32 s49, s49, -1
	s_wait_alu 0xfffe
	s_cmp_lt_u32 ttmp9, s49
	s_cselect_b32 s49, -1, 0
	s_and_not1_b32 s50, s9, exec_lo
	s_wait_alu 0xfffe
	s_and_b32 s49, s49, exec_lo
	s_wait_alu 0xfffe
	s_or_b32 s49, s50, s49
.LBB132_20:                             ;   in Loop: Header=BB132_4 Depth=1
	s_wait_alu 0xfffe
	s_or_b32 exec_lo, exec_lo, s48
	s_delay_alu instid0(SALU_CYCLE_1)
	s_and_b32 exec_lo, exec_lo, s49
	s_cbranch_execz .LBB132_22
; %bb.21:                               ;   in Loop: Header=BB132_4 Depth=1
	v_add_co_u32 v6, vcc_lo, v10, v2
	s_wait_alu 0xfffd
	v_add_co_ci_u32_e64 v7, null, v11, v3, vcc_lo
	flat_load_b32 v8, v[6:7]
	s_wait_loadcnt_dscnt 0x0
	v_mul_f32_e32 v8, v28, v8
	flat_store_b32 v[6:7], v8
.LBB132_22:                             ;   in Loop: Header=BB132_4 Depth=1
	s_wait_alu 0xfffe
	s_or_b32 exec_lo, exec_lo, s8
                                        ; implicit-def: $vgpr28
                                        ; implicit-def: $vgpr27
                                        ; implicit-def: $vgpr10
                                        ; implicit-def: $vgpr11
                                        ; implicit-def: $vgpr6_vgpr7
                                        ; implicit-def: $vgpr8_vgpr9
.LBB132_23:                             ;   in Loop: Header=BB132_4 Depth=1
	s_wait_alu 0xfffe
	s_and_not1_saveexec_b32 s7, s7
	s_cbranch_execz .LBB132_3
; %bb.24:                               ;   in Loop: Header=BB132_4 Depth=1
	v_mov_b32_e32 v29, 0
	s_and_saveexec_b32 s7, s0
	s_cbranch_execz .LBB132_32
; %bb.25:                               ;   in Loop: Header=BB132_4 Depth=1
	s_mov_b32 s48, s9
	s_and_saveexec_b32 s8, s1
	s_cbranch_execz .LBB132_27
; %bb.26:                               ;   in Loop: Header=BB132_4 Depth=1
	s_load_b32 s48, s[36:37], 0x0
	s_wait_kmcnt 0x0
	s_add_co_i32 s48, s48, -1
	s_wait_alu 0xfffe
	s_cmp_lt_u32 ttmp9, s48
	s_cselect_b32 s48, -1, 0
	s_and_not1_b32 s49, s9, exec_lo
	s_wait_alu 0xfffe
	s_and_b32 s48, s48, exec_lo
	s_wait_alu 0xfffe
	s_or_b32 s48, s49, s48
.LBB132_27:                             ;   in Loop: Header=BB132_4 Depth=1
	s_wait_alu 0xfffe
	s_or_b32 exec_lo, exec_lo, s8
	v_mov_b32_e32 v29, 0
	s_and_saveexec_b32 s8, s48
	s_cbranch_execz .LBB132_31
; %bb.28:                               ;   in Loop: Header=BB132_4 Depth=1
	v_add_co_u32 v8, vcc_lo, v8, s42
	s_wait_alu 0xfffd
	v_add_co_ci_u32_e64 v9, null, s43, v9, vcc_lo
	v_mov_b32_e32 v29, 0
	s_delay_alu instid0(VALU_DEP_3) | instskip(SKIP_1) | instid1(VALU_DEP_3)
	v_add_co_u32 v8, vcc_lo, v8, v4
	s_wait_alu 0xfffd
	v_add_co_ci_u32_e64 v9, null, v9, v5, vcc_lo
	s_mov_b32 s48, exec_lo
	flat_load_b32 v8, v[8:9]
	s_wait_loadcnt_dscnt 0x0
	ds_store_b32 v15, v8
	v_cmpx_neq_f32_e32 0, v28
	s_cbranch_execz .LBB132_30
; %bb.29:                               ;   in Loop: Header=BB132_4 Depth=1
	v_add_co_u32 v8, vcc_lo, v10, v2
	s_wait_alu 0xfffd
	v_add_co_ci_u32_e64 v9, null, v11, v3, vcc_lo
	flat_load_b32 v8, v[8:9]
	s_wait_loadcnt_dscnt 0x0
	v_mul_f32_e32 v29, v28, v8
.LBB132_30:                             ;   in Loop: Header=BB132_4 Depth=1
	s_wait_alu 0xfffe
	s_or_b32 exec_lo, exec_lo, s48
.LBB132_31:                             ;   in Loop: Header=BB132_4 Depth=1
	s_wait_alu 0xfffe
	s_or_b32 exec_lo, exec_lo, s8
.LBB132_32:                             ;   in Loop: Header=BB132_4 Depth=1
	s_wait_alu 0xfffe
	s_or_b32 exec_lo, exec_lo, s7
	s_load_b32 s7, s[36:37], 0x0
	v_add_co_u32 v8, vcc_lo, v6, s38
	s_wait_alu 0xfffd
	v_add_co_ci_u32_e64 v9, null, s39, v7, vcc_lo
	s_mov_b32 s8, -1
	v_add_co_u32 v8, vcc_lo, v8, v0
	s_wait_alu 0xfffd
	v_add_co_ci_u32_e64 v9, null, v9, v1, vcc_lo
	s_delay_alu instid0(VALU_DEP_2) | instskip(SKIP_1) | instid1(VALU_DEP_2)
	v_add_co_u32 v8, vcc_lo, v8, v23
	s_wait_alu 0xfffd
	v_add_co_ci_u32_e64 v9, null, 0, v9, vcc_lo
	s_wait_kmcnt 0x0
	s_add_co_i32 s7, s7, -1
	s_wait_alu 0xfffe
	s_cmp_eq_u32 ttmp9, s7
	s_cbranch_scc1 .LBB132_34
; %bb.33:                               ;   in Loop: Header=BB132_4 Depth=1
	v_add_co_u32 v30, vcc_lo, v8, s26
	s_wait_alu 0xfffd
	v_add_co_ci_u32_e64 v31, null, s27, v9, vcc_lo
	s_mov_b32 s8, 0
	v_add_co_u32 v32, vcc_lo, v30, s26
	s_wait_alu 0xfffd
	v_add_co_ci_u32_e64 v33, null, s27, v31, vcc_lo
	s_delay_alu instid0(VALU_DEP_2) | instskip(SKIP_1) | instid1(VALU_DEP_2)
	v_add_co_u32 v34, vcc_lo, v32, s26
	s_wait_alu 0xfffd
	v_add_co_ci_u32_e64 v35, null, s27, v33, vcc_lo
	s_clause 0x3
	flat_load_b32 v36, v[8:9]
	flat_load_b32 v30, v[30:31]
	;; [unrolled: 1-line block ×4, first 2 shown]
	s_wait_loadcnt_dscnt 0x202
	ds_store_2addr_stride64_b32 v16, v36, v30 offset1:4
	s_wait_loadcnt_dscnt 0x1
	ds_store_2addr_stride64_b32 v16, v31, v32 offset0:8 offset1:12
.LBB132_34:                             ;   in Loop: Header=BB132_4 Depth=1
	s_wait_alu 0xfffe
	s_and_not1_b32 vcc_lo, exec_lo, s8
	s_wait_alu 0xfffe
	s_cbranch_vccnz .LBB132_44
; %bb.35:                               ;   in Loop: Header=BB132_4 Depth=1
	ds_store_2addr_stride64_b32 v16, v14, v14 offset1:4
	ds_store_2addr_stride64_b32 v16, v14, v14 offset0:8 offset1:12
	s_and_saveexec_b32 s8, s44
; %bb.36:                               ;   in Loop: Header=BB132_4 Depth=1
	ds_store_b32 v15, v14
; %bb.37:                               ;   in Loop: Header=BB132_4 Depth=1
	s_wait_alu 0xfffe
	s_or_b32 exec_lo, exec_lo, s8
	s_and_saveexec_b32 s8, s9
	s_cbranch_execz .LBB132_43
; %bb.38:                               ;   in Loop: Header=BB132_4 Depth=1
	s_and_not1_b32 vcc_lo, exec_lo, s46
	s_mov_b32 s48, 0
	s_wait_alu 0xfffe
	s_cbranch_vccnz .LBB132_41
; %bb.39:                               ;   in Loop: Header=BB132_4 Depth=1
	v_add_co_u32 v6, vcc_lo, v6, v21
	s_wait_alu 0xfffd
	v_add_co_ci_u32_e64 v7, null, v7, v22, vcc_lo
	v_mov_b32_e32 v30, v16
	s_mov_b32 s49, s45
.LBB132_40:                             ;   Parent Loop BB132_4 Depth=1
                                        ; =>  This Inner Loop Header: Depth=2
	flat_load_b32 v31, v[6:7]
	v_add_co_u32 v6, vcc_lo, v6, s26
	s_wait_alu 0xfffd
	v_add_co_ci_u32_e64 v7, null, s27, v7, vcc_lo
	s_wait_alu 0xfffe
	s_add_co_i32 s49, s49, -1
	s_mov_b32 s48, s45
	s_wait_alu 0xfffe
	s_cmp_lg_u32 s49, 0
	s_wait_loadcnt_dscnt 0x0
	ds_store_b32 v30, v31
	v_add_nc_u32_e32 v30, 0x400, v30
	s_cbranch_scc1 .LBB132_40
.LBB132_41:                             ;   in Loop: Header=BB132_4 Depth=1
	s_and_b32 exec_lo, exec_lo, s3
	s_cbranch_execz .LBB132_43
; %bb.42:                               ;   in Loop: Header=BB132_4 Depth=1
	s_lshl_b32 s50, s48, 3
	s_mov_b32 s51, s17
	s_wait_alu 0xfffe
	s_mul_u64 s[50:51], s[30:31], s[50:51]
	s_wait_alu 0xfffe
	s_lshl_b64 s[50:51], s[50:51], 2
	s_wait_alu 0xfffe
	v_add_co_u32 v6, vcc_lo, v8, s50
	s_wait_alu 0xfffd
	v_add_co_ci_u32_e64 v7, null, s51, v9, vcc_lo
	flat_load_b32 v6, v[6:7]
	v_lshl_add_u32 v7, s48, 10, v16
	s_wait_loadcnt_dscnt 0x0
	ds_store_b32 v7, v6
.LBB132_43:                             ;   in Loop: Header=BB132_4 Depth=1
	s_wait_alu 0xfffe
	s_or_b32 exec_lo, exec_lo, s8
.LBB132_44:                             ;   in Loop: Header=BB132_4 Depth=1
	s_wait_storecnt_dscnt 0x0
	s_barrier_signal -1
	s_barrier_wait -1
	global_inv scope:SCOPE_SE
	s_and_saveexec_b32 s8, s4
	s_cbranch_execnz .LBB132_54
; %bb.45:                               ;   in Loop: Header=BB132_4 Depth=1
	s_wait_alu 0xfffe
	s_or_b32 exec_lo, exec_lo, s8
	s_and_saveexec_b32 s8, s5
	s_cbranch_execnz .LBB132_55
.LBB132_46:                             ;   in Loop: Header=BB132_4 Depth=1
	s_wait_alu 0xfffe
	s_or_b32 exec_lo, exec_lo, s8
	s_and_saveexec_b32 s8, s28
	s_cbranch_execnz .LBB132_56
.LBB132_47:                             ;   in Loop: Header=BB132_4 Depth=1
	s_wait_alu 0xfffe
	s_or_b32 exec_lo, exec_lo, s8
	s_and_saveexec_b32 s8, s6
	s_cbranch_execz .LBB132_49
.LBB132_48:                             ;   in Loop: Header=BB132_4 Depth=1
	ds_load_b32 v6, v17 offset:32
	s_wait_dscnt 0x0
	ds_store_b32 v24, v6
.LBB132_49:                             ;   in Loop: Header=BB132_4 Depth=1
	s_wait_alu 0xfffe
	s_or_b32 exec_lo, exec_lo, s8
	s_wait_loadcnt_dscnt 0x0
	s_barrier_signal -1
	s_barrier_wait -1
	global_inv scope:SCOPE_SE
	ds_load_2addr_b32 v[6:7], v18 offset1:8
	ds_load_b32 v30, v16
	ds_load_b32 v31, v24
	ds_load_2addr_b32 v[8:9], v18 offset0:16 offset1:24
	ds_load_b32 v32, v25
	ds_load_b32 v33, v26
	s_cmp_ge_u32 ttmp9, s7
	s_cselect_b32 s7, -1, 0
	s_wait_alu 0xfffe
	s_and_b32 s7, s1, s7
	s_wait_alu 0xfffe
	s_nor_b32 s8, s7, s2
	s_wait_dscnt 0x4
	v_fma_f32 v6, v30, v6, 0
	s_wait_dscnt 0x3
	s_delay_alu instid0(VALU_DEP_1) | instskip(SKIP_1) | instid1(VALU_DEP_1)
	v_fmac_f32_e32 v6, v31, v7
	s_wait_dscnt 0x1
	v_fmac_f32_e32 v6, v32, v8
	s_wait_dscnt 0x0
	s_delay_alu instid0(VALU_DEP_1)
	v_fmac_f32_e32 v6, v33, v9
	ds_store_b32 v19, v6
	s_wait_loadcnt_dscnt 0x0
	s_barrier_signal -1
	s_barrier_wait -1
	global_inv scope:SCOPE_SE
	s_wait_alu 0xfffe
	s_and_saveexec_b32 s7, s8
	s_cbranch_execz .LBB132_2
; %bb.50:                               ;   in Loop: Header=BB132_4 Depth=1
	ds_load_2addr_b32 v[6:7], v20 offset1:32
	ds_load_2addr_b32 v[8:9], v20 offset0:64 offset1:96
	ds_load_2addr_b32 v[30:31], v20 offset0:128 offset1:160
	v_cmp_neq_f32_e32 vcc_lo, 0, v28
	s_wait_dscnt 0x2
	v_add_f32_e32 v6, 0, v6
	s_delay_alu instid0(VALU_DEP_1) | instskip(SKIP_3) | instid1(VALU_DEP_1)
	v_add_f32_e32 v32, v6, v7
	ds_load_2addr_b32 v[6:7], v20 offset0:192 offset1:224
	s_wait_dscnt 0x2
	v_add_f32_e32 v8, v32, v8
	v_add_f32_e32 v8, v8, v9
	s_wait_dscnt 0x1
	s_delay_alu instid0(VALU_DEP_1) | instskip(NEXT) | instid1(VALU_DEP_1)
	v_add_f32_e32 v8, v8, v30
	v_add_f32_e32 v8, v8, v31
	s_wait_dscnt 0x0
	s_delay_alu instid0(VALU_DEP_1) | instskip(NEXT) | instid1(VALU_DEP_1)
	v_add_f32_e32 v6, v8, v6
	v_add_f32_e32 v6, v6, v7
	s_delay_alu instid0(VALU_DEP_1) | instskip(SKIP_2) | instid1(VALU_DEP_1)
	v_mul_f32_e32 v7, v27, v6
	v_fmac_f32_e32 v29, v27, v6
	s_wait_alu 0xfffd
	v_cndmask_b32_e32 v8, v7, v29, vcc_lo
	v_add_co_u32 v6, vcc_lo, v10, v2
	s_wait_alu 0xfffd
	v_add_co_ci_u32_e64 v7, null, v11, v3, vcc_lo
	flat_store_b32 v[6:7], v8
	s_branch .LBB132_2
.LBB132_51:                             ;   in Loop: Header=BB132_4 Depth=1
	ds_load_b64 v[6:7], v12
	s_mul_u64 s[48:49], s[10:11], s[16:17]
	s_wait_alu 0xfffe
	s_lshl_b64 s[48:49], s[48:49], 2
	s_wait_dscnt 0x0
	s_wait_alu 0xfffe
	v_add_co_u32 v6, vcc_lo, v6, s48
	s_wait_alu 0xfffd
	v_add_co_ci_u32_e64 v7, null, s49, v7, vcc_lo
	flat_load_b32 v27, v[6:7]
	s_cbranch_execnz .LBB132_6
.LBB132_52:                             ;   in Loop: Header=BB132_4 Depth=1
	s_wait_loadcnt_dscnt 0x0
	ds_load_b32 v27, v12
	s_and_b32 vcc_lo, exec_lo, s33
	s_mov_b32 s7, -1
                                        ; implicit-def: $vgpr28
	s_wait_alu 0xfffe
	s_cbranch_vccz .LBB132_7
.LBB132_53:                             ;   in Loop: Header=BB132_4 Depth=1
	ds_load_b64 v[6:7], v13
	s_mul_u64 s[48:49], s[18:19], s[16:17]
	s_wait_alu 0xfffe
	s_lshl_b64 s[48:49], s[48:49], 2
	s_wait_dscnt 0x0
	s_wait_alu 0xfffe
	v_add_co_u32 v6, vcc_lo, v6, s48
	s_wait_alu 0xfffd
	v_add_co_ci_u32_e64 v7, null, s49, v7, vcc_lo
	flat_load_b32 v28, v[6:7]
	s_cbranch_execz .LBB132_8
	s_branch .LBB132_9
.LBB132_54:                             ;   in Loop: Header=BB132_4 Depth=1
	ds_load_b32 v6, v17 offset:64
	s_wait_dscnt 0x0
	ds_store_b32 v16, v6 offset:2048
	s_wait_alu 0xfffe
	s_or_b32 exec_lo, exec_lo, s8
	s_and_saveexec_b32 s8, s5
	s_cbranch_execz .LBB132_46
.LBB132_55:                             ;   in Loop: Header=BB132_4 Depth=1
	ds_load_b32 v6, v17 offset:96
	s_wait_dscnt 0x0
	ds_store_b32 v16, v6 offset:3072
	s_wait_alu 0xfffe
	s_or_b32 exec_lo, exec_lo, s8
	s_and_saveexec_b32 s8, s28
	s_cbranch_execz .LBB132_47
.LBB132_56:                             ;   in Loop: Header=BB132_4 Depth=1
	ds_load_b32 v6, v17
	s_wait_dscnt 0x0
	ds_store_b32 v16, v6
	s_wait_alu 0xfffe
	s_or_b32 exec_lo, exec_lo, s8
	s_and_saveexec_b32 s8, s6
	s_cbranch_execnz .LBB132_48
	s_branch .LBB132_49
.LBB132_57:
	s_endpgm
	.section	.rodata,"a",@progbits
	.p2align	6, 0x0
	.amdhsa_kernel _ZL58rocblas_symv_kernel_upper_double_buffered_diagonal_genericILi32ELi8E24rocblas_internal_val_ptrIfEPKPKfPKPfEvbiT1_lT2_lllSA_lllS9_lT3_lllii
		.amdhsa_group_segment_fixed_size 10368
		.amdhsa_private_segment_fixed_size 0
		.amdhsa_kernarg_size 400
		.amdhsa_user_sgpr_count 4
		.amdhsa_user_sgpr_dispatch_ptr 1
		.amdhsa_user_sgpr_queue_ptr 0
		.amdhsa_user_sgpr_kernarg_segment_ptr 1
		.amdhsa_user_sgpr_dispatch_id 0
		.amdhsa_user_sgpr_private_segment_size 0
		.amdhsa_wavefront_size32 1
		.amdhsa_uses_dynamic_stack 0
		.amdhsa_enable_private_segment 0
		.amdhsa_system_sgpr_workgroup_id_x 1
		.amdhsa_system_sgpr_workgroup_id_y 0
		.amdhsa_system_sgpr_workgroup_id_z 1
		.amdhsa_system_sgpr_workgroup_info 0
		.amdhsa_system_vgpr_workitem_id 2
		.amdhsa_next_free_vgpr 37
		.amdhsa_next_free_sgpr 52
		.amdhsa_reserve_vcc 1
		.amdhsa_float_round_mode_32 0
		.amdhsa_float_round_mode_16_64 0
		.amdhsa_float_denorm_mode_32 3
		.amdhsa_float_denorm_mode_16_64 3
		.amdhsa_fp16_overflow 0
		.amdhsa_workgroup_processor_mode 1
		.amdhsa_memory_ordered 1
		.amdhsa_forward_progress 1
		.amdhsa_inst_pref_size 22
		.amdhsa_round_robin_scheduling 0
		.amdhsa_exception_fp_ieee_invalid_op 0
		.amdhsa_exception_fp_denorm_src 0
		.amdhsa_exception_fp_ieee_div_zero 0
		.amdhsa_exception_fp_ieee_overflow 0
		.amdhsa_exception_fp_ieee_underflow 0
		.amdhsa_exception_fp_ieee_inexact 0
		.amdhsa_exception_int_div_zero 0
	.end_amdhsa_kernel
	.section	.text._ZL58rocblas_symv_kernel_upper_double_buffered_diagonal_genericILi32ELi8E24rocblas_internal_val_ptrIfEPKPKfPKPfEvbiT1_lT2_lllSA_lllS9_lT3_lllii,"axG",@progbits,_ZL58rocblas_symv_kernel_upper_double_buffered_diagonal_genericILi32ELi8E24rocblas_internal_val_ptrIfEPKPKfPKPfEvbiT1_lT2_lllSA_lllS9_lT3_lllii,comdat
.Lfunc_end132:
	.size	_ZL58rocblas_symv_kernel_upper_double_buffered_diagonal_genericILi32ELi8E24rocblas_internal_val_ptrIfEPKPKfPKPfEvbiT1_lT2_lllSA_lllS9_lT3_lllii, .Lfunc_end132-_ZL58rocblas_symv_kernel_upper_double_buffered_diagonal_genericILi32ELi8E24rocblas_internal_val_ptrIfEPKPKfPKPfEvbiT1_lT2_lllSA_lllS9_lT3_lllii
                                        ; -- End function
	.set _ZL58rocblas_symv_kernel_upper_double_buffered_diagonal_genericILi32ELi8E24rocblas_internal_val_ptrIfEPKPKfPKPfEvbiT1_lT2_lllSA_lllS9_lT3_lllii.num_vgpr, 37
	.set _ZL58rocblas_symv_kernel_upper_double_buffered_diagonal_genericILi32ELi8E24rocblas_internal_val_ptrIfEPKPKfPKPfEvbiT1_lT2_lllSA_lllS9_lT3_lllii.num_agpr, 0
	.set _ZL58rocblas_symv_kernel_upper_double_buffered_diagonal_genericILi32ELi8E24rocblas_internal_val_ptrIfEPKPKfPKPfEvbiT1_lT2_lllSA_lllS9_lT3_lllii.numbered_sgpr, 52
	.set _ZL58rocblas_symv_kernel_upper_double_buffered_diagonal_genericILi32ELi8E24rocblas_internal_val_ptrIfEPKPKfPKPfEvbiT1_lT2_lllSA_lllS9_lT3_lllii.num_named_barrier, 0
	.set _ZL58rocblas_symv_kernel_upper_double_buffered_diagonal_genericILi32ELi8E24rocblas_internal_val_ptrIfEPKPKfPKPfEvbiT1_lT2_lllSA_lllS9_lT3_lllii.private_seg_size, 0
	.set _ZL58rocblas_symv_kernel_upper_double_buffered_diagonal_genericILi32ELi8E24rocblas_internal_val_ptrIfEPKPKfPKPfEvbiT1_lT2_lllSA_lllS9_lT3_lllii.uses_vcc, 1
	.set _ZL58rocblas_symv_kernel_upper_double_buffered_diagonal_genericILi32ELi8E24rocblas_internal_val_ptrIfEPKPKfPKPfEvbiT1_lT2_lllSA_lllS9_lT3_lllii.uses_flat_scratch, 1
	.set _ZL58rocblas_symv_kernel_upper_double_buffered_diagonal_genericILi32ELi8E24rocblas_internal_val_ptrIfEPKPKfPKPfEvbiT1_lT2_lllSA_lllS9_lT3_lllii.has_dyn_sized_stack, 0
	.set _ZL58rocblas_symv_kernel_upper_double_buffered_diagonal_genericILi32ELi8E24rocblas_internal_val_ptrIfEPKPKfPKPfEvbiT1_lT2_lllSA_lllS9_lT3_lllii.has_recursion, 0
	.set _ZL58rocblas_symv_kernel_upper_double_buffered_diagonal_genericILi32ELi8E24rocblas_internal_val_ptrIfEPKPKfPKPfEvbiT1_lT2_lllSA_lllS9_lT3_lllii.has_indirect_call, 0
	.section	.AMDGPU.csdata,"",@progbits
; Kernel info:
; codeLenInByte = 2740
; TotalNumSgprs: 54
; NumVgprs: 37
; ScratchSize: 0
; MemoryBound: 0
; FloatMode: 240
; IeeeMode: 1
; LDSByteSize: 10368 bytes/workgroup (compile time only)
; SGPRBlocks: 0
; VGPRBlocks: 4
; NumSGPRsForWavesPerEU: 54
; NumVGPRsForWavesPerEU: 37
; Occupancy: 16
; WaveLimiterHint : 1
; COMPUTE_PGM_RSRC2:SCRATCH_EN: 0
; COMPUTE_PGM_RSRC2:USER_SGPR: 4
; COMPUTE_PGM_RSRC2:TRAP_HANDLER: 0
; COMPUTE_PGM_RSRC2:TGID_X_EN: 1
; COMPUTE_PGM_RSRC2:TGID_Y_EN: 0
; COMPUTE_PGM_RSRC2:TGID_Z_EN: 1
; COMPUTE_PGM_RSRC2:TIDIG_COMP_CNT: 2
	.section	.text._ZL62rocblas_symv_kernel_upper_double_buffered_non_diagonal_genericILi32ELi8ELi2ELi0E24rocblas_internal_val_ptrIfEPKPKfPKPfEvbiT3_lT4_lllSA_lllT5_lllii,"axG",@progbits,_ZL62rocblas_symv_kernel_upper_double_buffered_non_diagonal_genericILi32ELi8ELi2ELi0E24rocblas_internal_val_ptrIfEPKPKfPKPfEvbiT3_lT4_lllSA_lllT5_lllii,comdat
	.globl	_ZL62rocblas_symv_kernel_upper_double_buffered_non_diagonal_genericILi32ELi8ELi2ELi0E24rocblas_internal_val_ptrIfEPKPKfPKPfEvbiT3_lT4_lllSA_lllT5_lllii ; -- Begin function _ZL62rocblas_symv_kernel_upper_double_buffered_non_diagonal_genericILi32ELi8ELi2ELi0E24rocblas_internal_val_ptrIfEPKPKfPKPfEvbiT3_lT4_lllSA_lllT5_lllii
	.p2align	8
	.type	_ZL62rocblas_symv_kernel_upper_double_buffered_non_diagonal_genericILi32ELi8ELi2ELi0E24rocblas_internal_val_ptrIfEPKPKfPKPfEvbiT3_lT4_lllSA_lllT5_lllii,@function
_ZL62rocblas_symv_kernel_upper_double_buffered_non_diagonal_genericILi32ELi8ELi2ELi0E24rocblas_internal_val_ptrIfEPKPKfPKPfEvbiT3_lT4_lllSA_lllT5_lllii: ; @_ZL62rocblas_symv_kernel_upper_double_buffered_non_diagonal_genericILi32ELi8ELi2ELi0E24rocblas_internal_val_ptrIfEPKPKfPKPfEvbiT3_lT4_lllSA_lllT5_lllii
; %bb.0:
	s_load_b64 s[0:1], s[0:1], 0x4
	s_load_b256 s[4:11], s[2:3], 0x8
	v_and_b32_e32 v1, 0x3ff, v0
	s_load_b64 s[20:21], s[2:3], 0x78
	v_bfe_u32 v2, v0, 10, 10
	v_bfe_u32 v0, v0, 20, 10
	s_wait_kmcnt 0x0
	s_lshr_b32 s0, s0, 16
	v_mov_b32_e32 v4, s5
	s_mul_i32 s0, s0, s1
	s_delay_alu instid0(SALU_CYCLE_1) | instskip(NEXT) | instid1(VALU_DEP_1)
	v_mul_lo_u32 v3, s0, v1
	v_mad_u32_u24 v5, v2, s1, v3
	v_mov_b32_e32 v3, s4
	s_lshr_b32 s4, ttmp7, 16
	s_wait_alu 0xfffe
	s_cmp_ge_u32 s4, s21
	v_add_lshl_u32 v0, v5, v0, 3
	ds_store_b64 v0, v[3:4] offset:4224
	s_cbranch_scc1 .LBB133_45
; %bb.1:
	s_clause 0x3
	s_load_b32 s1, s[2:3], 0x0
	s_load_b64 s[24:25], s[2:3], 0x48
	s_load_b64 s[26:27], s[2:3], 0x28
	s_load_b128 s[12:15], s[2:3], 0x38
	v_add_nc_u32_e32 v24, 0x1080, v0
	v_lshl_add_u32 v0, v2, 5, v1
	s_clause 0x1
	s_load_b64 s[28:29], s[2:3], 0x58
	s_load_b128 s[16:19], s[2:3], 0x60
	v_cmp_eq_u32_e64 s0, 0, v2
	s_mov_b32 s5, 0
	s_mov_b32 s22, ttmp9
	v_lshrrev_b32_e32 v19, 4, v0
	v_mov_b32_e32 v0, 0
	s_add_nc_u64 s[2:3], s[2:3], 0x80
	v_lshlrev_b32_e32 v25, 2, v1
	s_delay_alu instid0(VALU_DEP_2) | instskip(NEXT) | instid1(VALU_DEP_2)
	v_dual_mov_b32 v4, v0 :: v_dual_lshlrev_b32 v15, 1, v19
	v_or_b32_e32 v26, 0x1000, v25
	v_add_nc_u32_e32 v53, 0x400, v25
	s_wait_kmcnt 0x0
	s_bitcmp1_b32 s1, 0
	v_mad_co_u64_u32 v[5:6], null, s24, v1, 0
	v_and_b32_e32 v3, 15, v1
	s_cselect_b32 s1, -1, 0
	s_and_b32 s33, ttmp7, 0xffff
	v_mad_co_u64_u32 v[13:14], null, s18, v1, 0
	s_lshl_b32 s36, ttmp9, 5
	v_mov_b32_e32 v2, v6
	v_mad_co_u64_u32 v[9:10], null, s24, v3, 0
	v_or_b32_e32 v18, 16, v3
	v_lshlrev_b32_e32 v20, 2, v3
	s_delay_alu instid0(VALU_DEP_4) | instskip(SKIP_1) | instid1(VALU_DEP_4)
	v_mad_co_u64_u32 v[6:7], null, s25, v1, v[2:3]
	v_mad_co_u64_u32 v[7:8], null, s26, v15, v[3:4]
	;; [unrolled: 1-line block ×3, first 2 shown]
	v_lshlrev_b32_e32 v21, 7, v19
	v_or_b32_e32 v17, 0x800, v20
	v_mov_b32_e32 v4, v10
	s_wait_alu 0xfffe
	s_xor_b32 s52, s1, -1
	v_mov_b32_e32 v2, v8
	s_ashr_i32 s37, s36, 31
	v_add_nc_u32_e32 v28, v17, v21
	s_lshl_b32 s53, s33, 5
	s_cmp_lg_u32 ttmp9, 0
	v_mad_co_u64_u32 v[15:16], null, s27, v15, v[2:3]
	v_mad_co_u64_u32 v[16:17], null, s25, v3, v[4:5]
	v_lshlrev_b32_e32 v4, 3, v19
	v_mov_b32_e32 v2, v12
	s_cselect_b32 s54, -1, 0
	s_lshr_b32 s1, s20, 31
	s_delay_alu instid0(VALU_DEP_2) | instskip(NEXT) | instid1(VALU_DEP_2)
	v_dual_mov_b32 v8, v15 :: v_dual_add_nc_u32 v29, 0x1000, v4
	v_mad_co_u64_u32 v[17:18], null, s25, v18, v[2:3]
	v_mov_b32_e32 v2, v14
	v_add_nc_u32_e32 v18, 4, v1
	s_wait_alu 0xfffe
	s_add_co_i32 s1, s20, s1
	s_mul_u64 s[40:41], s[26:27], s[36:37]
	s_wait_alu 0xfffe
	s_ashr_i32 s23, s1, 1
	v_mad_co_u64_u32 v[14:15], null, s19, v1, v[2:3]
	v_add_nc_u32_e32 v2, 1, v1
	v_dual_mov_b32 v12, v17 :: v_dual_add_nc_u32 v15, 2, v1
	v_dual_mov_b32 v10, v16 :: v_dual_add_nc_u32 v17, 3, v1
	v_lshl_add_u32 v16, v1, 6, 0x800
	s_delay_alu instid0(VALU_DEP_4) | instskip(NEXT) | instid1(VALU_DEP_4)
	v_and_b32_e32 v2, 15, v2
	v_and_b32_e32 v15, 15, v15
	v_cmp_gt_i32_e64 s1, s20, v1
	v_cmp_gt_i32_e64 s20, s23, v19
	v_add_nc_u32_e32 v19, 7, v1
	v_lshl_or_b32 v31, v2, 2, v16
	v_add_nc_u32_e32 v2, 5, v1
	v_lshl_or_b32 v32, v15, 2, v16
	v_and_b32_e32 v15, 15, v17
	v_and_b32_e32 v17, 15, v18
	v_add_nc_u32_e32 v18, 6, v1
	v_and_b32_e32 v2, 15, v2
	v_xor_b32_e32 v3, 8, v3
	v_lshl_or_b32 v33, v15, 2, v16
	v_lshl_or_b32 v34, v17, 2, v16
	v_and_b32_e32 v15, 15, v18
	v_and_b32_e32 v17, 15, v19
	v_lshl_or_b32 v35, v2, 2, v16
	v_add_nc_u32_e32 v2, 9, v1
	v_add_nc_u32_e32 v18, 10, v1
	s_mul_u64 s[38:39], s[24:25], s[36:37]
	s_mul_u64 s[42:43], s[18:19], s[36:37]
	s_lshl_b64 s[36:37], s[36:37], 2
	v_lshl_or_b32 v36, v15, 2, v16
	v_lshl_or_b32 v37, v17, 2, v16
	v_and_b32_e32 v2, 15, v2
	v_and_b32_e32 v15, 15, v18
	v_add_nc_u32_e32 v17, 11, v1
	v_add_nc_u32_e32 v18, 12, v1
	v_lshl_or_b32 v38, v3, 2, v16
	v_add_co_u32 v3, s23, v4, s36
	v_lshl_or_b32 v39, v2, 2, v16
	v_lshl_or_b32 v40, v15, 2, v16
	v_and_b32_e32 v15, 15, v17
	v_and_b32_e32 v17, 15, v18
	v_add_nc_u32_e32 v2, 13, v1
	v_add_nc_u32_e32 v4, 14, v1
	v_add_nc_u32_e32 v1, -1, v1
	s_wait_alu 0xf1ff
	v_add_co_ci_u32_e64 v18, null, 0, s37, s23
	v_or_b32_e32 v19, 4, v3
	s_lshl_b64 s[10:11], s[10:11], 2
	v_and_b32_e32 v22, 15, v2
	v_and_b32_e32 v45, 15, v1
	v_mul_lo_u32 v18, s26, v18
	v_mul_lo_u32 v46, s27, v19
	v_mad_co_u64_u32 v[1:2], null, s26, v19, s[10:11]
	v_and_b32_e32 v23, 15, v4
	v_mul_lo_u32 v19, s27, v3
	v_mad_co_u64_u32 v[3:4], null, s26, v3, s[10:11]
	v_or_b32_e32 v27, v20, v21
	v_or_b32_e32 v30, v16, v20
	v_add3_u32 v2, v46, v2, v18
	v_add_co_u32 v46, vcc_lo, v1, v20
	v_lshl_or_b32 v41, v15, 2, v16
	v_add3_u32 v4, v19, v4, v18
	s_delay_alu instid0(VALU_DEP_4) | instskip(SKIP_2) | instid1(VALU_DEP_3)
	v_add_co_ci_u32_e64 v47, null, 0, v2, vcc_lo
	v_add_co_u32 v48, vcc_lo, v3, v20
	s_wait_alu 0xfffd
	v_add_co_ci_u32_e64 v49, null, 0, v4, vcc_lo
	v_lshlrev_b64_e32 v[2:3], 2, v[5:6]
	v_lshlrev_b64_e32 v[4:5], 2, v[7:8]
	;; [unrolled: 1-line block ×5, first 2 shown]
	v_lshl_or_b32 v42, v17, 2, v16
	v_lshl_or_b32 v43, v22, 2, v16
	;; [unrolled: 1-line block ×4, first 2 shown]
	v_or_b32_e32 v50, 0x80, v20
	v_or_b32_e32 v51, 64, v20
	v_add_nc_u32_e32 v52, v20, v21
	s_lshl_b64 s[30:31], s[24:25], 7
	s_lshl_b64 s[34:35], s[18:19], 7
	s_mov_b32 s23, s5
	s_lshl_b64 s[36:37], s[24:25], 2
	s_lshl_b64 s[14:15], s[14:15], 2
	;; [unrolled: 1-line block ×6, first 2 shown]
	s_branch .LBB133_3
.LBB133_2:                              ;   in Loop: Header=BB133_3 Depth=1
	s_or_b32 exec_lo, exec_lo, s55
	s_add_co_i32 s4, s4, 0x10000
	s_wait_alu 0xfffe
	s_cmp_lt_u32 s4, s21
	s_cbranch_scc0 .LBB133_45
.LBB133_3:                              ; =>This Loop Header: Depth=1
                                        ;     Child Loop BB133_27 Depth 2
	s_and_b32 vcc_lo, exec_lo, s52
	s_mov_b32 s44, -1
                                        ; implicit-def: $vgpr54
	s_wait_alu 0xfffe
	s_cbranch_vccz .LBB133_5
; %bb.4:                                ;   in Loop: Header=BB133_3 Depth=1
	s_wait_loadcnt 0x0
	ds_load_b64 v[12:13], v24
	s_mul_u64 s[44:45], s[6:7], s[4:5]
	s_wait_alu 0xfffe
	s_lshl_b64 s[44:45], s[44:45], 2
	s_wait_dscnt 0x0
	s_wait_alu 0xfffe
	v_add_co_u32 v12, vcc_lo, v12, s44
	s_wait_alu 0xfffd
	v_add_co_ci_u32_e64 v13, null, s45, v13, vcc_lo
	s_mov_b32 s44, 0
	flat_load_b32 v54, v[12:13]
.LBB133_5:                              ;   in Loop: Header=BB133_3 Depth=1
	s_wait_alu 0xfffe
	s_and_not1_b32 vcc_lo, exec_lo, s44
	s_wait_alu 0xfffe
	s_cbranch_vccnz .LBB133_7
; %bb.6:                                ;   in Loop: Header=BB133_3 Depth=1
	s_wait_loadcnt_dscnt 0x0
	ds_load_b32 v54, v24
.LBB133_7:                              ;   in Loop: Header=BB133_3 Depth=1
	s_mov_b32 s55, exec_lo
	s_wait_loadcnt_dscnt 0x0
	v_cmpx_neq_f32_e32 0, v54
	s_cbranch_execz .LBB133_2
; %bb.8:                                ;   in Loop: Header=BB133_3 Depth=1
	s_and_not1_b32 vcc_lo, exec_lo, s54
	s_wait_alu 0xfffe
	s_cbranch_vccnz .LBB133_2
; %bb.9:                                ;   in Loop: Header=BB133_3 Depth=1
	s_lshl_b64 s[44:45], s[4:5], 3
	s_wait_alu 0xfffe
	s_add_nc_u64 s[46:47], s[8:9], s[44:45]
	s_add_nc_u64 s[48:49], s[12:13], s[44:45]
	s_clause 0x1
	global_load_b64 v[14:15], v0, s[46:47]
	global_load_b64 v[12:13], v0, s[48:49]
	s_load_b32 s47, s[2:3], 0x4
	s_mov_b32 s49, s5
	s_wait_kmcnt 0x0
	s_cvt_f32_u32 s46, s47
	s_sub_co_i32 s48, 0, s47
	s_wait_alu 0xfffe
	s_delay_alu instid0(SALU_CYCLE_1) | instskip(NEXT) | instid1(TRANS32_DEP_1)
	v_rcp_iflag_f32_e32 v1, s46
	v_readfirstlane_b32 s46, v1
	s_mul_f32 s46, s46, 0x4f7ffffe
	s_wait_alu 0xfffe
	s_delay_alu instid0(SALU_CYCLE_2) | instskip(SKIP_1) | instid1(SALU_CYCLE_2)
	s_cvt_u32_f32 s46, s46
	s_wait_alu 0xfffe
	s_mul_i32 s48, s48, s46
	s_wait_alu 0xfffe
	s_mul_hi_u32 s48, s46, s48
	s_wait_alu 0xfffe
	s_add_co_i32 s48, s46, s48
	s_wait_alu 0xfffe
	s_mul_u64 s[48:49], s[22:23], s[48:49]
	s_wait_alu 0xfffe
	s_mul_i32 s46, s49, s47
	s_add_co_i32 s48, s49, 1
	s_wait_alu 0xfffe
	s_sub_co_i32 s46, s22, s46
	s_wait_alu 0xfffe
	s_sub_co_i32 s50, s46, s47
	s_cmp_ge_u32 s46, s47
	s_cselect_b32 s48, s48, s49
	s_wait_alu 0xfffe
	s_cselect_b32 s46, s50, s46
	s_add_co_i32 s49, s48, 1
	s_wait_alu 0xfffe
	s_cmp_ge_u32 s46, s47
	s_cselect_b32 s46, s49, s48
	s_add_co_i32 s48, s47, -1
	s_wait_alu 0xfffe
	s_mov_b32 s58, s46
	s_cmp_lg_u32 s33, s48
	s_cbranch_scc1 .LBB133_11
; %bb.10:                               ;   in Loop: Header=BB133_3 Depth=1
	s_mul_i32 s47, s46, s47
	s_wait_alu 0xfffe
	s_sub_co_i32 s47, s22, s47
	s_wait_alu 0xfffe
	s_add_co_i32 s58, s47, s46
.LBB133_11:                             ;   in Loop: Header=BB133_3 Depth=1
	s_wait_alu 0xfffe
	s_cmp_eq_u32 s58, 0
	s_cbranch_scc1 .LBB133_2
; %bb.12:                               ;   in Loop: Header=BB133_3 Depth=1
	s_load_b32 s56, s[2:3], 0x0
	s_add_nc_u64 s[44:45], s[28:29], s[44:45]
	s_wait_loadcnt 0x0
	v_add_co_u32 v55, vcc_lo, v12, s14
	s_load_b64 s[44:45], s[44:45], 0x0
	v_add_co_ci_u32_e64 v56, null, s15, v13, vcc_lo
	v_add_co_u32 v1, vcc_lo, v55, s38
	s_mov_b32 s57, -1
	s_wait_alu 0xfffd
	v_add_co_ci_u32_e64 v12, null, s39, v56, vcc_lo
	s_mov_b32 s47, -1
	s_wait_kmcnt 0x0
	s_add_co_i32 s56, s56, -1
	s_delay_alu instid0(SALU_CYCLE_1)
	s_cmp_lg_u32 s22, s56
	s_cbranch_scc0 .LBB133_16
; %bb.13:                               ;   in Loop: Header=BB133_3 Depth=1
	s_and_saveexec_b32 s47, s0
	s_cbranch_execz .LBB133_15
; %bb.14:                               ;   in Loop: Header=BB133_3 Depth=1
	v_add_co_u32 v16, vcc_lo, v1, v2
	s_wait_alu 0xfffd
	v_add_co_ci_u32_e64 v17, null, v12, v3, vcc_lo
	flat_load_b32 v13, v[16:17]
	s_wait_loadcnt_dscnt 0x0
	ds_store_b32 v26, v13
.LBB133_15:                             ;   in Loop: Header=BB133_3 Depth=1
	s_wait_alu 0xfffe
	s_or_b32 exec_lo, exec_lo, s47
	s_mov_b32 s47, 0
.LBB133_16:                             ;   in Loop: Header=BB133_3 Depth=1
	s_wait_alu 0xfffe
	s_and_not1_b32 vcc_lo, exec_lo, s47
	s_wait_alu 0xfffe
	s_cbranch_vccnz .LBB133_22
; %bb.17:                               ;   in Loop: Header=BB133_3 Depth=1
	s_and_saveexec_b32 s47, s0
	s_cbranch_execz .LBB133_21
; %bb.18:                               ;   in Loop: Header=BB133_3 Depth=1
	v_mov_b32_e32 v13, 0
	s_and_saveexec_b32 s48, s1
	s_cbranch_execz .LBB133_20
; %bb.19:                               ;   in Loop: Header=BB133_3 Depth=1
	v_add_co_u32 v16, vcc_lo, v1, v2
	s_wait_alu 0xfffd
	v_add_co_ci_u32_e64 v17, null, v12, v3, vcc_lo
	flat_load_b32 v13, v[16:17]
.LBB133_20:                             ;   in Loop: Header=BB133_3 Depth=1
	s_wait_alu 0xfffe
	s_or_b32 exec_lo, exec_lo, s48
	s_wait_loadcnt_dscnt 0x0
	ds_store_b32 v26, v13
.LBB133_21:                             ;   in Loop: Header=BB133_3 Depth=1
	s_wait_alu 0xfffe
	s_or_b32 exec_lo, exec_lo, s47
	s_mov_b32 s57, s20
	ds_store_2addr_b32 v27, v0, v0 offset1:16
	ds_store_2addr_b32 v28, v0, v0 offset1:16
.LBB133_22:                             ;   in Loop: Header=BB133_3 Depth=1
	v_add_co_u32 v1, vcc_lo, v14, s10
	s_wait_alu 0xfffd
	v_add_co_ci_u32_e64 v12, null, s11, v15, vcc_lo
	s_mul_i32 s48, s53, s46
	v_add_co_u32 v60, vcc_lo, v1, s40
	s_wait_alu 0xfffe
	s_ashr_i32 s49, s48, 31
	s_wait_alu 0xfffd
	v_add_co_ci_u32_e64 v61, null, s41, v12, vcc_lo
	v_mov_b32_e32 v1, v0
	s_wait_alu 0xfffe
	s_lshl_b64 s[46:47], s[48:49], 2
	s_wait_dscnt 0x0
	s_wait_alu 0xfffe
	v_add_co_u32 v18, vcc_lo, v60, s46
	s_wait_alu 0xfffd
	v_add_co_ci_u32_e64 v19, null, s47, v61, vcc_lo
	v_dual_mov_b32 v17, v1 :: v_dual_mov_b32 v16, v0
	s_barrier_signal -1
	s_barrier_wait -1
	global_inv scope:SCOPE_SE
	s_and_saveexec_b32 s50, s57
	s_cbranch_execz .LBB133_24
; %bb.23:                               ;   in Loop: Header=BB133_3 Depth=1
	v_add_co_u32 v12, vcc_lo, v18, v4
	s_wait_alu 0xfffd
	v_add_co_ci_u32_e64 v13, null, v19, v5, vcc_lo
	s_lshl_b64 s[60:61], s[26:27], 2
	s_wait_alu 0xfffe
	v_add_co_u32 v20, vcc_lo, v12, s60
	s_wait_alu 0xfffd
	v_add_co_ci_u32_e64 v21, null, s61, v13, vcc_lo
	s_clause 0x1
	flat_load_b32 v16, v[12:13]
	flat_load_b32 v17, v[20:21]
.LBB133_24:                             ;   in Loop: Header=BB133_3 Depth=1
	s_wait_alu 0xfffe
	s_or_b32 exec_lo, exec_lo, s50
	s_cmp_lt_i32 s58, 1
	s_add_nc_u64 s[44:45], s[44:45], s[16:17]
	s_cbranch_scc1 .LBB133_35
; %bb.25:                               ;   in Loop: Header=BB133_3 Depth=1
	s_mul_u64 s[50:51], s[24:25], s[48:49]
	v_mov_b32_e32 v58, 0
	s_wait_alu 0xfffe
	s_lshl_b64 s[50:51], s[50:51], 2
	s_wait_alu 0xfffe
	v_add_co_u32 v20, vcc_lo, v55, s50
	s_wait_alu 0xfffd
	v_add_co_ci_u32_e64 v21, null, s51, v56, vcc_lo
	s_mul_u64 s[50:51], s[18:19], s[48:49]
	v_add_co_u32 v12, vcc_lo, v20, v6
	s_wait_alu 0xfffd
	v_add_co_ci_u32_e64 v13, null, v21, v7, vcc_lo
	s_wait_alu 0xfffe
	s_lshl_b64 s[50:51], s[50:51], 2
	s_cmp_eq_u32 s58, 1
	s_wait_alu 0xfffe
	s_add_nc_u64 s[50:51], s[44:45], s[50:51]
	flat_load_b32 v63, v[12:13]
	s_cbranch_scc1 .LBB133_36
; %bb.26:                               ;   in Loop: Header=BB133_3 Depth=1
	v_add_co_u32 v1, s59, v50, s46
	s_wait_alu 0xf1ff
	v_add_co_ci_u32_e64 v12, null, 0, s47, s59
	v_add_co_u32 v20, s59, v51, s46
	s_wait_alu 0xf1ff
	v_add_co_ci_u32_e64 v21, null, 0, s47, s59
	v_mul_lo_u32 v13, s25, v1
	v_mul_lo_u32 v12, s24, v12
	v_mad_co_u64_u32 v[18:19], null, s24, v1, 0
	v_mul_lo_u32 v1, s25, v20
	v_mul_lo_u32 v22, s24, v21
	v_mad_co_u64_u32 v[20:21], null, s24, v20, 0
	v_add_co_u32 v64, vcc_lo, v14, v46
	s_wait_alu 0xfffd
	v_add_co_ci_u32_e64 v65, null, v15, v47, vcc_lo
	v_add_co_u32 v66, vcc_lo, v14, v48
	v_add3_u32 v19, v19, v12, v13
	v_add3_u32 v21, v21, v22, v1
	s_wait_alu 0xfffe
	v_dual_mov_b32 v1, 0 :: v_dual_mov_b32 v12, s50
	s_wait_alu 0xfffd
	v_add_co_ci_u32_e64 v67, null, v15, v49, vcc_lo
	v_dual_mov_b32 v13, s51 :: v_dual_mov_b32 v58, 0
	v_mov_b32_e32 v57, 0
	v_mov_b32_e32 v59, 0
	s_add_co_i32 s50, s58, -1
	s_mul_u64 s[48:49], s[36:37], s[48:49]
.LBB133_27:                             ;   Parent Loop BB133_3 Depth=1
                                        ; =>  This Inner Loop Header: Depth=2
	v_add_co_u32 v14, vcc_lo, v55, v20
	s_wait_alu 0xfffd
	v_add_co_ci_u32_e64 v15, null, v56, v21, vcc_lo
	flat_load_b32 v68, v[14:15]
	s_and_saveexec_b32 s51, s57
	s_cbranch_execz .LBB133_29
; %bb.28:                               ;   in Loop: Header=BB133_27 Depth=2
	v_add_co_u32 v14, vcc_lo, v66, s46
	s_wait_alu 0xfffd
	v_add_co_ci_u32_e64 v15, null, s47, v67, vcc_lo
	v_add_co_u32 v22, vcc_lo, v64, s46
	s_wait_alu 0xfffd
	v_add_co_ci_u32_e64 v23, null, s47, v65, vcc_lo
	flat_load_b32 v59, v[14:15] offset:64
	flat_load_b32 v58, v[22:23] offset:64
.LBB133_29:                             ;   in Loop: Header=BB133_27 Depth=2
	s_wait_alu 0xfffe
	s_or_b32 exec_lo, exec_lo, s51
	ds_load_b64 v[22:23], v29
	s_wait_loadcnt_dscnt 0x203
	v_dual_mov_b32 v14, v16 :: v_dual_mov_b32 v15, v17
	s_and_saveexec_b32 s51, s57
	s_cbranch_execz .LBB133_31
; %bb.30:                               ;   in Loop: Header=BB133_27 Depth=2
	v_add_co_u32 v14, vcc_lo, v66, s46
	s_wait_alu 0xfffd
	v_add_co_ci_u32_e64 v15, null, s47, v67, vcc_lo
	v_add_co_u32 v69, vcc_lo, v64, s46
	s_wait_alu 0xfffd
	v_add_co_ci_u32_e64 v70, null, s47, v65, vcc_lo
	flat_load_b32 v14, v[14:15] offset:128
	flat_load_b32 v15, v[69:70] offset:128
.LBB133_31:                             ;   in Loop: Header=BB133_27 Depth=2
	s_wait_alu 0xfffe
	s_or_b32 exec_lo, exec_lo, s51
	v_add_co_u32 v69, vcc_lo, v55, v18
	s_wait_alu 0xfffd
	v_add_co_ci_u32_e64 v70, null, v56, v19, vcc_lo
	flat_load_b32 v62, v[69:70]
	s_wait_dscnt 0x1
	v_fma_f32 v69, v16, v22, 0
	s_wait_loadcnt 0x2
	v_fma_f32 v22, v59, v22, 0
	s_wait_loadcnt_dscnt 0x0
	s_barrier_signal -1
	s_barrier_wait -1
	v_fmac_f32_e32 v69, v17, v23
	v_fmac_f32_e32 v22, v58, v23
	global_inv scope:SCOPE_SE
	ds_store_2addr_b32 v52, v69, v22 offset1:16
	s_wait_loadcnt_dscnt 0x0
	s_barrier_signal -1
	s_barrier_wait -1
	global_inv scope:SCOPE_SE
	s_and_saveexec_b32 s51, s0
	s_cbranch_execz .LBB133_33
; %bb.32:                               ;   in Loop: Header=BB133_27 Depth=2
	ds_load_2addr_b32 v[22:23], v25 offset1:32
	ds_load_2addr_b32 v[69:70], v25 offset0:64 offset1:96
	ds_load_2addr_b32 v[71:72], v25 offset0:128 offset1:160
	s_wait_dscnt 0x2
	v_add_f32_e32 v22, 0, v22
	s_delay_alu instid0(VALU_DEP_1) | instskip(SKIP_3) | instid1(VALU_DEP_1)
	v_add_f32_e32 v73, v22, v23
	ds_load_2addr_b32 v[22:23], v25 offset0:192 offset1:224
	s_wait_dscnt 0x2
	v_add_f32_e32 v69, v73, v69
	v_add_f32_e32 v73, v69, v70
	ds_load_2addr_b32 v[69:70], v53 offset1:32
	s_wait_dscnt 0x2
	v_add_f32_e32 v71, v73, v71
	s_delay_alu instid0(VALU_DEP_1) | instskip(SKIP_3) | instid1(VALU_DEP_1)
	v_add_f32_e32 v73, v71, v72
	ds_load_2addr_b32 v[71:72], v53 offset0:64 offset1:96
	s_wait_dscnt 0x2
	v_add_f32_e32 v22, v73, v22
	v_add_f32_e32 v22, v22, v23
	s_wait_dscnt 0x1
	s_delay_alu instid0(VALU_DEP_1) | instskip(SKIP_3) | instid1(VALU_DEP_1)
	v_add_f32_e32 v69, v22, v69
	ds_load_2addr_b32 v[22:23], v53 offset0:128 offset1:160
	v_add_f32_e32 v69, v69, v70
	s_wait_dscnt 0x1
	v_add_f32_e32 v71, v69, v71
	ds_load_2addr_b32 v[69:70], v53 offset0:192 offset1:224
	v_add_f32_e32 v71, v71, v72
	s_wait_dscnt 0x1
	s_delay_alu instid0(VALU_DEP_1) | instskip(NEXT) | instid1(VALU_DEP_1)
	v_add_f32_e32 v22, v71, v22
	v_add_f32_e32 v22, v22, v23
	s_wait_dscnt 0x0
	s_delay_alu instid0(VALU_DEP_1) | instskip(NEXT) | instid1(VALU_DEP_1)
	v_add_f32_e32 v22, v22, v69
	v_add_f32_e32 v69, v22, v70
	v_add_co_u32 v22, vcc_lo, v12, v8
	s_wait_alu 0xfffd
	v_add_co_ci_u32_e64 v23, null, v13, v9, vcc_lo
	s_delay_alu instid0(VALU_DEP_3)
	v_mul_f32_e32 v69, v54, v69
	v_add_co_u32 v12, vcc_lo, v12, s34
	s_wait_alu 0xfffd
	v_add_co_ci_u32_e64 v13, null, s35, v13, vcc_lo
	flat_atomic_add_f32 v[22:23], v69 scope:SCOPE_DEV
.LBB133_33:                             ;   in Loop: Header=BB133_27 Depth=2
	s_wait_alu 0xfffe
	s_or_b32 exec_lo, exec_lo, s51
	v_add_co_u32 v64, vcc_lo, 0x80, v64
	s_wait_alu 0xfffd
	v_add_co_ci_u32_e64 v65, null, 0, v65, vcc_lo
	v_add_co_u32 v66, vcc_lo, 0x80, v66
	v_fmac_f32_e32 v1, v63, v16
	v_fmac_f32_e32 v57, v63, v17
	s_wait_alu 0xfffd
	v_add_co_ci_u32_e64 v67, null, 0, v67, vcc_lo
	v_add_co_u32 v60, vcc_lo, 0x80, v60
	s_wait_alu 0xfffd
	v_add_co_ci_u32_e64 v61, null, 0, v61, vcc_lo
	v_add_co_u32 v55, vcc_lo, v55, s30
	v_fmac_f32_e32 v1, v68, v59
	v_fmac_f32_e32 v57, v68, v58
	s_wait_alu 0xfffd
	v_add_co_ci_u32_e64 v56, null, s31, v56, vcc_lo
	s_add_co_i32 s50, s50, -1
	s_wait_alu 0xfffe
	s_cmp_eq_u32 s50, 0
	s_cbranch_scc1 .LBB133_37
; %bb.34:                               ;   in Loop: Header=BB133_27 Depth=2
	v_mov_b32_e32 v17, v15
	v_dual_mov_b32 v63, v62 :: v_dual_mov_b32 v16, v14
	s_branch .LBB133_27
.LBB133_35:                             ;   in Loop: Header=BB133_3 Depth=1
	v_mov_b32_e32 v57, 0
	v_mov_b32_e32 v1, 0
	s_branch .LBB133_43
.LBB133_36:                             ;   in Loop: Header=BB133_3 Depth=1
	s_wait_loadcnt_dscnt 0x101
	v_dual_mov_b32 v59, 0 :: v_dual_mov_b32 v14, v16
	s_wait_alu 0xfffe
	v_dual_mov_b32 v12, s50 :: v_dual_mov_b32 v13, s51
	s_wait_loadcnt_dscnt 0x0
	v_dual_mov_b32 v57, 0 :: v_dual_mov_b32 v62, v63
	v_mov_b32_e32 v1, 0
	v_mov_b32_e32 v15, v17
	s_branch .LBB133_38
.LBB133_37:                             ;   in Loop: Header=BB133_3 Depth=1
	v_add_co_u32 v20, vcc_lo, v55, s48
	s_wait_alu 0xfffd
	v_add_co_ci_u32_e64 v21, null, s49, v56, vcc_lo
	v_add_co_u32 v18, vcc_lo, v60, s46
	s_wait_alu 0xfffd
	v_add_co_ci_u32_e64 v19, null, s47, v61, vcc_lo
.LBB133_38:                             ;   in Loop: Header=BB133_3 Depth=1
	v_add_co_u32 v16, vcc_lo, v20, v10
	s_wait_alu 0xfffd
	v_add_co_ci_u32_e64 v17, null, v21, v11, vcc_lo
	flat_load_b32 v16, v[16:17]
	s_and_saveexec_b32 s46, s57
	s_cbranch_execz .LBB133_40
; %bb.39:                               ;   in Loop: Header=BB133_3 Depth=1
	v_add_co_u32 v17, vcc_lo, v18, v4
	s_wait_alu 0xfffd
	v_add_co_ci_u32_e64 v18, null, v19, v5, vcc_lo
	s_lshl_b64 s[48:49], s[26:27], 2
	s_wait_alu 0xfffe
	v_add_co_u32 v19, vcc_lo, v17, s48
	s_wait_alu 0xfffd
	v_add_co_ci_u32_e64 v20, null, s49, v18, vcc_lo
	s_clause 0x1
	flat_load_b32 v59, v[17:18] offset:64
	flat_load_b32 v58, v[19:20] offset:64
.LBB133_40:                             ;   in Loop: Header=BB133_3 Depth=1
	s_wait_alu 0xfffe
	s_or_b32 exec_lo, exec_lo, s46
	ds_load_b64 v[17:18], v29
	s_wait_storecnt 0x0
	s_wait_loadcnt_dscnt 0x0
	s_barrier_signal -1
	s_barrier_wait -1
	global_inv scope:SCOPE_SE
	v_fma_f32 v19, v14, v17, 0
	v_fma_f32 v17, v59, v17, 0
	s_delay_alu instid0(VALU_DEP_2) | instskip(NEXT) | instid1(VALU_DEP_2)
	v_fmac_f32_e32 v19, v15, v18
	v_fmac_f32_e32 v17, v58, v18
	ds_store_2addr_b32 v52, v19, v17 offset1:16
	s_wait_loadcnt_dscnt 0x0
	s_barrier_signal -1
	s_barrier_wait -1
	global_inv scope:SCOPE_SE
	s_and_saveexec_b32 s46, s0
	s_cbranch_execz .LBB133_42
; %bb.41:                               ;   in Loop: Header=BB133_3 Depth=1
	ds_load_2addr_b32 v[17:18], v25 offset1:32
	ds_load_2addr_b32 v[19:20], v25 offset0:64 offset1:96
	ds_load_2addr_b32 v[21:22], v25 offset0:128 offset1:160
	v_add_co_u32 v12, vcc_lo, v12, v8
	s_wait_alu 0xfffd
	v_add_co_ci_u32_e64 v13, null, v13, v9, vcc_lo
	s_wait_dscnt 0x2
	v_add_f32_e32 v17, 0, v17
	s_delay_alu instid0(VALU_DEP_1) | instskip(SKIP_3) | instid1(VALU_DEP_1)
	v_add_f32_e32 v23, v17, v18
	ds_load_2addr_b32 v[17:18], v25 offset0:192 offset1:224
	s_wait_dscnt 0x2
	v_add_f32_e32 v19, v23, v19
	v_add_f32_e32 v23, v19, v20
	ds_load_2addr_b32 v[19:20], v53 offset1:32
	s_wait_dscnt 0x2
	v_add_f32_e32 v21, v23, v21
	s_delay_alu instid0(VALU_DEP_1) | instskip(SKIP_3) | instid1(VALU_DEP_1)
	v_add_f32_e32 v23, v21, v22
	ds_load_2addr_b32 v[21:22], v53 offset0:64 offset1:96
	s_wait_dscnt 0x2
	v_add_f32_e32 v17, v23, v17
	v_add_f32_e32 v17, v17, v18
	s_wait_dscnt 0x1
	s_delay_alu instid0(VALU_DEP_1) | instskip(SKIP_3) | instid1(VALU_DEP_1)
	v_add_f32_e32 v19, v17, v19
	ds_load_2addr_b32 v[17:18], v53 offset0:128 offset1:160
	v_add_f32_e32 v19, v19, v20
	s_wait_dscnt 0x1
	v_add_f32_e32 v21, v19, v21
	ds_load_2addr_b32 v[19:20], v53 offset0:192 offset1:224
	v_add_f32_e32 v21, v21, v22
	s_wait_dscnt 0x1
	s_delay_alu instid0(VALU_DEP_1) | instskip(NEXT) | instid1(VALU_DEP_1)
	v_add_f32_e32 v17, v21, v17
	v_add_f32_e32 v17, v17, v18
	s_wait_dscnt 0x0
	s_delay_alu instid0(VALU_DEP_1) | instskip(NEXT) | instid1(VALU_DEP_1)
	v_add_f32_e32 v17, v17, v19
	v_add_f32_e32 v17, v17, v20
	s_delay_alu instid0(VALU_DEP_1)
	v_mul_f32_e32 v17, v54, v17
	flat_atomic_add_f32 v[12:13], v17 scope:SCOPE_DEV
.LBB133_42:                             ;   in Loop: Header=BB133_3 Depth=1
	s_wait_alu 0xfffe
	s_or_b32 exec_lo, exec_lo, s46
	v_fmac_f32_e32 v1, v62, v14
	v_fmac_f32_e32 v57, v62, v15
	s_delay_alu instid0(VALU_DEP_2) | instskip(NEXT) | instid1(VALU_DEP_2)
	v_fmac_f32_e32 v1, v16, v59
	v_fmac_f32_e32 v57, v16, v58
.LBB133_43:                             ;   in Loop: Header=BB133_3 Depth=1
	s_cmp_lt_u32 s22, s56
	ds_store_2addr_b32 v28, v1, v57 offset1:16
	s_cselect_b32 s46, -1, 0
	s_wait_storecnt 0x0
	s_wait_loadcnt_dscnt 0x0
	s_wait_alu 0xfffe
	s_or_b32 s46, s1, s46
	s_barrier_signal -1
	s_wait_alu 0xfffe
	s_and_b32 s46, s0, s46
	s_barrier_wait -1
	global_inv scope:SCOPE_SE
	s_wait_alu 0xfffe
	s_and_b32 exec_lo, exec_lo, s46
	s_cbranch_execz .LBB133_2
; %bb.44:                               ;   in Loop: Header=BB133_3 Depth=1
	ds_load_b32 v1, v30
	ds_load_b32 v12, v31
	;; [unrolled: 1-line block ×8, first 2 shown]
	s_add_nc_u64 s[44:45], s[44:45], s[42:43]
	s_wait_dscnt 0x7
	v_add_f32_e32 v1, 0, v1
	s_wait_dscnt 0x6
	s_delay_alu instid0(VALU_DEP_1)
	v_add_f32_e32 v1, v1, v12
	ds_load_b32 v12, v38
	s_wait_dscnt 0x6
	v_add_f32_e32 v1, v1, v13
	ds_load_b32 v13, v39
	s_wait_dscnt 0x6
	;; [unrolled: 3-line block ×3, first 2 shown]
	v_add_f32_e32 v1, v1, v15
	s_wait_dscnt 0x5
	s_delay_alu instid0(VALU_DEP_1) | instskip(SKIP_1) | instid1(VALU_DEP_1)
	v_add_f32_e32 v1, v1, v16
	s_wait_dscnt 0x4
	v_add_f32_e32 v1, v1, v17
	s_wait_dscnt 0x3
	s_delay_alu instid0(VALU_DEP_1)
	v_add_f32_e32 v1, v1, v18
	ds_load_b32 v15, v41
	ds_load_b32 v16, v42
	;; [unrolled: 1-line block ×5, first 2 shown]
	s_wait_dscnt 0x7
	v_add_f32_e32 v1, v1, v12
	s_wait_alu 0xfffe
	v_add_co_u32 v12, vcc_lo, s44, v8
	s_wait_dscnt 0x6
	s_delay_alu instid0(VALU_DEP_2) | instskip(SKIP_3) | instid1(VALU_DEP_2)
	v_add_f32_e32 v1, v1, v13
	s_wait_alu 0xfffd
	v_add_co_ci_u32_e64 v13, null, s45, v9, vcc_lo
	s_wait_dscnt 0x5
	v_add_f32_e32 v1, v1, v14
	s_wait_dscnt 0x4
	s_delay_alu instid0(VALU_DEP_1) | instskip(SKIP_1) | instid1(VALU_DEP_1)
	v_add_f32_e32 v1, v1, v15
	s_wait_dscnt 0x3
	v_add_f32_e32 v1, v1, v16
	s_wait_dscnt 0x2
	s_delay_alu instid0(VALU_DEP_1) | instskip(SKIP_1) | instid1(VALU_DEP_1)
	v_add_f32_e32 v1, v1, v17
	s_wait_dscnt 0x1
	v_add_f32_e32 v1, v1, v18
	s_wait_dscnt 0x0
	s_delay_alu instid0(VALU_DEP_1) | instskip(NEXT) | instid1(VALU_DEP_1)
	v_add_f32_e32 v1, v1, v19
	v_mul_f32_e32 v1, v54, v1
	flat_atomic_add_f32 v[12:13], v1 scope:SCOPE_DEV
	s_branch .LBB133_2
.LBB133_45:
	s_endpgm
	.section	.rodata,"a",@progbits
	.p2align	6, 0x0
	.amdhsa_kernel _ZL62rocblas_symv_kernel_upper_double_buffered_non_diagonal_genericILi32ELi8ELi2ELi0E24rocblas_internal_val_ptrIfEPKPKfPKPfEvbiT3_lT4_lllSA_lllT5_lllii
		.amdhsa_group_segment_fixed_size 6272
		.amdhsa_private_segment_fixed_size 0
		.amdhsa_kernarg_size 384
		.amdhsa_user_sgpr_count 4
		.amdhsa_user_sgpr_dispatch_ptr 1
		.amdhsa_user_sgpr_queue_ptr 0
		.amdhsa_user_sgpr_kernarg_segment_ptr 1
		.amdhsa_user_sgpr_dispatch_id 0
		.amdhsa_user_sgpr_private_segment_size 0
		.amdhsa_wavefront_size32 1
		.amdhsa_uses_dynamic_stack 0
		.amdhsa_enable_private_segment 0
		.amdhsa_system_sgpr_workgroup_id_x 1
		.amdhsa_system_sgpr_workgroup_id_y 1
		.amdhsa_system_sgpr_workgroup_id_z 1
		.amdhsa_system_sgpr_workgroup_info 0
		.amdhsa_system_vgpr_workitem_id 2
		.amdhsa_next_free_vgpr 74
		.amdhsa_next_free_sgpr 62
		.amdhsa_reserve_vcc 1
		.amdhsa_float_round_mode_32 0
		.amdhsa_float_round_mode_16_64 0
		.amdhsa_float_denorm_mode_32 3
		.amdhsa_float_denorm_mode_16_64 3
		.amdhsa_fp16_overflow 0
		.amdhsa_workgroup_processor_mode 1
		.amdhsa_memory_ordered 1
		.amdhsa_forward_progress 1
		.amdhsa_inst_pref_size 31
		.amdhsa_round_robin_scheduling 0
		.amdhsa_exception_fp_ieee_invalid_op 0
		.amdhsa_exception_fp_denorm_src 0
		.amdhsa_exception_fp_ieee_div_zero 0
		.amdhsa_exception_fp_ieee_overflow 0
		.amdhsa_exception_fp_ieee_underflow 0
		.amdhsa_exception_fp_ieee_inexact 0
		.amdhsa_exception_int_div_zero 0
	.end_amdhsa_kernel
	.section	.text._ZL62rocblas_symv_kernel_upper_double_buffered_non_diagonal_genericILi32ELi8ELi2ELi0E24rocblas_internal_val_ptrIfEPKPKfPKPfEvbiT3_lT4_lllSA_lllT5_lllii,"axG",@progbits,_ZL62rocblas_symv_kernel_upper_double_buffered_non_diagonal_genericILi32ELi8ELi2ELi0E24rocblas_internal_val_ptrIfEPKPKfPKPfEvbiT3_lT4_lllSA_lllT5_lllii,comdat
.Lfunc_end133:
	.size	_ZL62rocblas_symv_kernel_upper_double_buffered_non_diagonal_genericILi32ELi8ELi2ELi0E24rocblas_internal_val_ptrIfEPKPKfPKPfEvbiT3_lT4_lllSA_lllT5_lllii, .Lfunc_end133-_ZL62rocblas_symv_kernel_upper_double_buffered_non_diagonal_genericILi32ELi8ELi2ELi0E24rocblas_internal_val_ptrIfEPKPKfPKPfEvbiT3_lT4_lllSA_lllT5_lllii
                                        ; -- End function
	.set _ZL62rocblas_symv_kernel_upper_double_buffered_non_diagonal_genericILi32ELi8ELi2ELi0E24rocblas_internal_val_ptrIfEPKPKfPKPfEvbiT3_lT4_lllSA_lllT5_lllii.num_vgpr, 74
	.set _ZL62rocblas_symv_kernel_upper_double_buffered_non_diagonal_genericILi32ELi8ELi2ELi0E24rocblas_internal_val_ptrIfEPKPKfPKPfEvbiT3_lT4_lllSA_lllT5_lllii.num_agpr, 0
	.set _ZL62rocblas_symv_kernel_upper_double_buffered_non_diagonal_genericILi32ELi8ELi2ELi0E24rocblas_internal_val_ptrIfEPKPKfPKPfEvbiT3_lT4_lllSA_lllT5_lllii.numbered_sgpr, 62
	.set _ZL62rocblas_symv_kernel_upper_double_buffered_non_diagonal_genericILi32ELi8ELi2ELi0E24rocblas_internal_val_ptrIfEPKPKfPKPfEvbiT3_lT4_lllSA_lllT5_lllii.num_named_barrier, 0
	.set _ZL62rocblas_symv_kernel_upper_double_buffered_non_diagonal_genericILi32ELi8ELi2ELi0E24rocblas_internal_val_ptrIfEPKPKfPKPfEvbiT3_lT4_lllSA_lllT5_lllii.private_seg_size, 0
	.set _ZL62rocblas_symv_kernel_upper_double_buffered_non_diagonal_genericILi32ELi8ELi2ELi0E24rocblas_internal_val_ptrIfEPKPKfPKPfEvbiT3_lT4_lllSA_lllT5_lllii.uses_vcc, 1
	.set _ZL62rocblas_symv_kernel_upper_double_buffered_non_diagonal_genericILi32ELi8ELi2ELi0E24rocblas_internal_val_ptrIfEPKPKfPKPfEvbiT3_lT4_lllSA_lllT5_lllii.uses_flat_scratch, 1
	.set _ZL62rocblas_symv_kernel_upper_double_buffered_non_diagonal_genericILi32ELi8ELi2ELi0E24rocblas_internal_val_ptrIfEPKPKfPKPfEvbiT3_lT4_lllSA_lllT5_lllii.has_dyn_sized_stack, 0
	.set _ZL62rocblas_symv_kernel_upper_double_buffered_non_diagonal_genericILi32ELi8ELi2ELi0E24rocblas_internal_val_ptrIfEPKPKfPKPfEvbiT3_lT4_lllSA_lllT5_lllii.has_recursion, 0
	.set _ZL62rocblas_symv_kernel_upper_double_buffered_non_diagonal_genericILi32ELi8ELi2ELi0E24rocblas_internal_val_ptrIfEPKPKfPKPfEvbiT3_lT4_lllSA_lllT5_lllii.has_indirect_call, 0
	.section	.AMDGPU.csdata,"",@progbits
; Kernel info:
; codeLenInByte = 3872
; TotalNumSgprs: 64
; NumVgprs: 74
; ScratchSize: 0
; MemoryBound: 0
; FloatMode: 240
; IeeeMode: 1
; LDSByteSize: 6272 bytes/workgroup (compile time only)
; SGPRBlocks: 0
; VGPRBlocks: 9
; NumSGPRsForWavesPerEU: 64
; NumVGPRsForWavesPerEU: 74
; Occupancy: 16
; WaveLimiterHint : 1
; COMPUTE_PGM_RSRC2:SCRATCH_EN: 0
; COMPUTE_PGM_RSRC2:USER_SGPR: 4
; COMPUTE_PGM_RSRC2:TRAP_HANDLER: 0
; COMPUTE_PGM_RSRC2:TGID_X_EN: 1
; COMPUTE_PGM_RSRC2:TGID_Y_EN: 1
; COMPUTE_PGM_RSRC2:TGID_Z_EN: 1
; COMPUTE_PGM_RSRC2:TIDIG_COMP_CNT: 2
	.section	.text._ZL62rocblas_symv_kernel_upper_double_buffered_non_diagonal_genericILi32ELi8ELi2ELi1E24rocblas_internal_val_ptrIfEPKPKfPKPfEvbiT3_lT4_lllSA_lllT5_lllii,"axG",@progbits,_ZL62rocblas_symv_kernel_upper_double_buffered_non_diagonal_genericILi32ELi8ELi2ELi1E24rocblas_internal_val_ptrIfEPKPKfPKPfEvbiT3_lT4_lllSA_lllT5_lllii,comdat
	.globl	_ZL62rocblas_symv_kernel_upper_double_buffered_non_diagonal_genericILi32ELi8ELi2ELi1E24rocblas_internal_val_ptrIfEPKPKfPKPfEvbiT3_lT4_lllSA_lllT5_lllii ; -- Begin function _ZL62rocblas_symv_kernel_upper_double_buffered_non_diagonal_genericILi32ELi8ELi2ELi1E24rocblas_internal_val_ptrIfEPKPKfPKPfEvbiT3_lT4_lllSA_lllT5_lllii
	.p2align	8
	.type	_ZL62rocblas_symv_kernel_upper_double_buffered_non_diagonal_genericILi32ELi8ELi2ELi1E24rocblas_internal_val_ptrIfEPKPKfPKPfEvbiT3_lT4_lllSA_lllT5_lllii,@function
_ZL62rocblas_symv_kernel_upper_double_buffered_non_diagonal_genericILi32ELi8ELi2ELi1E24rocblas_internal_val_ptrIfEPKPKfPKPfEvbiT3_lT4_lllSA_lllT5_lllii: ; @_ZL62rocblas_symv_kernel_upper_double_buffered_non_diagonal_genericILi32ELi8ELi2ELi1E24rocblas_internal_val_ptrIfEPKPKfPKPfEvbiT3_lT4_lllSA_lllT5_lllii
; %bb.0:
	s_load_b64 s[0:1], s[0:1], 0x4
	s_load_b256 s[4:11], s[2:3], 0x8
	v_and_b32_e32 v1, 0x3ff, v0
	s_load_b64 s[20:21], s[2:3], 0x78
	v_bfe_u32 v2, v0, 10, 10
	v_bfe_u32 v0, v0, 20, 10
	s_wait_kmcnt 0x0
	s_lshr_b32 s0, s0, 16
	v_mov_b32_e32 v4, s5
	s_mul_i32 s0, s0, s1
	s_delay_alu instid0(SALU_CYCLE_1) | instskip(NEXT) | instid1(VALU_DEP_1)
	v_mul_lo_u32 v3, s0, v1
	v_mad_u32_u24 v5, v2, s1, v3
	v_mov_b32_e32 v3, s4
	s_lshr_b32 s4, ttmp7, 16
	s_wait_alu 0xfffe
	s_cmp_ge_u32 s4, s21
	v_add_lshl_u32 v0, v5, v0, 3
	ds_store_b64 v0, v[3:4] offset:4224
	s_cbranch_scc1 .LBB134_77
; %bb.1:
	s_clause 0x3
	s_load_b64 s[24:25], s[2:3], 0x48
	s_load_b32 s1, s[2:3], 0x0
	s_load_b64 s[26:27], s[2:3], 0x28
	s_load_b128 s[12:15], s[2:3], 0x38
	v_lshl_add_u32 v4, v2, 5, v1
	v_and_b32_e32 v3, 15, v1
	v_cmp_eq_u32_e64 s0, 0, v2
	v_add_nc_u32_e32 v24, 0x1080, v0
	v_mov_b32_e32 v0, 0
	v_lshrrev_b32_e32 v18, 4, v4
	v_or_b32_e32 v16, 16, v3
	v_lshlrev_b32_e32 v25, 2, v1
	s_clause 0x1
	s_load_b64 s[28:29], s[2:3], 0x58
	s_load_b128 s[16:19], s[2:3], 0x60
	v_mov_b32_e32 v4, v0
	v_lshlrev_b32_e32 v20, 7, v18
	s_add_nc_u64 s[30:31], s[2:3], 0x80
	v_or_b32_e32 v26, 0x1000, v25
	v_add_nc_u32_e32 v53, 0x400, v25
	s_mov_b32 s5, 0
	s_mov_b32 s22, ttmp9
	s_wait_kmcnt 0x0
	v_mad_co_u64_u32 v[5:6], null, s24, v1, 0
	v_lshlrev_b32_e32 v13, 1, v18
	v_mad_co_u64_u32 v[11:12], null, s24, v16, 0
	s_bitcmp1_b32 s1, 0
	s_wait_alu 0xfffe
	s_mov_b32 s23, s5
	s_cselect_b32 s1, -1, 0
	v_mov_b32_e32 v2, v6
	v_mad_co_u64_u32 v[7:8], null, s26, v13, v[3:4]
	s_and_b32 s33, ttmp7, 0xffff
	s_lshl_b32 s38, ttmp9, 5
	v_mad_co_u64_u32 v[9:10], null, s25, v1, v[2:3]
	s_wait_alu 0xfffe
	s_xor_b32 s54, s1, -1
	s_ashr_i32 s39, s38, 31
	s_lshl_b32 s55, s33, 5
	s_cmp_lg_u32 ttmp9, 0
	s_mul_u64 s[42:43], s[26:27], s[38:39]
	s_cselect_b32 s56, -1, 0
	v_dual_mov_b32 v6, v9 :: v_dual_lshlrev_b32 v19, 2, v3
	v_mad_co_u64_u32 v[9:10], null, s24, v3, 0
	s_lshr_b32 s1, s20, 31
	s_mul_u64 s[40:41], s[24:25], s[38:39]
	v_or_b32_e32 v4, 0x800, v19
	s_wait_alu 0xfffe
	s_add_co_i32 s1, s20, s1
	s_mul_u64 s[44:45], s[18:19], s[38:39]
	s_wait_alu 0xfffe
	s_ashr_i32 s3, s1, 1
	s_lshl_b64 s[38:39], s[38:39], 2
	v_add_nc_u32_e32 v28, v4, v20
	v_mov_b32_e32 v4, v12
	v_cmp_le_i32_e64 s2, s3, v18
	v_cmp_eq_u32_e64 s3, s3, v18
	v_cmp_gt_i32_e64 s1, s20, v1
	s_lshl_b64 s[10:11], s[10:11], 2
	v_mad_co_u64_u32 v[16:17], null, s25, v16, v[4:5]
	v_lshlrev_b32_e32 v4, 3, v18
	v_mov_b32_e32 v2, v8
	v_or_b32_e32 v27, v19, v20
	v_or_b32_e32 v50, 0x80, v19
	;; [unrolled: 1-line block ×3, first 2 shown]
	v_add_nc_u32_e32 v29, 0x1000, v4
	v_mad_co_u64_u32 v[13:14], null, s27, v13, v[2:3]
	v_mad_co_u64_u32 v[14:15], null, s18, v1, 0
	v_mov_b32_e32 v2, v10
	v_add_nc_u32_e32 v52, v19, v20
	s_lshl_b64 s[34:35], s[24:25], 7
	s_lshl_b64 s[36:37], s[18:19], 7
	s_delay_alu instid0(VALU_DEP_4)
	v_mov_b32_e32 v8, v13
	v_mad_co_u64_u32 v[12:13], null, s25, v3, v[2:3]
	v_dual_mov_b32 v2, v15 :: v_dual_add_nc_u32 v13, 2, v1
	v_add_nc_u32_e32 v21, 7, v1
	s_lshl_b64 s[14:15], s[14:15], 2
	s_lshl_b64 s[40:41], s[40:41], 2
	s_delay_alu instid0(VALU_DEP_2)
	v_mad_co_u64_u32 v[17:18], null, s19, v1, v[2:3]
	v_add_nc_u32_e32 v2, 1, v1
	v_add_nc_u32_e32 v18, 4, v1
	v_mov_b32_e32 v10, v12
	v_mov_b32_e32 v12, v16
	v_lshl_add_u32 v16, v1, 6, 0x800
	v_dual_mov_b32 v15, v17 :: v_dual_and_b32 v2, 15, v2
	v_and_b32_e32 v13, 15, v13
	v_add_nc_u32_e32 v17, 3, v1
	v_xor_b32_e32 v3, 8, v3
	s_delay_alu instid0(VALU_DEP_4)
	v_lshl_or_b32 v31, v2, 2, v16
	v_add_nc_u32_e32 v2, 5, v1
	v_lshl_or_b32 v32, v13, 2, v16
	v_and_b32_e32 v13, 15, v17
	v_and_b32_e32 v17, 15, v18
	v_add_nc_u32_e32 v18, 6, v1
	v_and_b32_e32 v2, 15, v2
	v_lshl_or_b32 v38, v3, 2, v16
	v_lshl_or_b32 v33, v13, 2, v16
	;; [unrolled: 1-line block ×3, first 2 shown]
	v_and_b32_e32 v13, 15, v18
	v_and_b32_e32 v17, 15, v21
	v_lshl_or_b32 v35, v2, 2, v16
	v_add_nc_u32_e32 v2, 9, v1
	v_add_nc_u32_e32 v18, 10, v1
	v_lshl_or_b32 v36, v13, 2, v16
	v_lshl_or_b32 v37, v17, 2, v16
	v_add_nc_u32_e32 v17, 11, v1
	v_and_b32_e32 v2, 15, v2
	v_and_b32_e32 v13, 15, v18
	v_add_nc_u32_e32 v18, 12, v1
	v_add_co_u32 v3, s20, v4, s38
	s_delay_alu instid0(VALU_DEP_4) | instskip(NEXT) | instid1(VALU_DEP_4)
	v_lshl_or_b32 v39, v2, 2, v16
	v_lshl_or_b32 v40, v13, 2, v16
	v_and_b32_e32 v13, 15, v17
	v_and_b32_e32 v17, 15, v18
	v_add_nc_u32_e32 v2, 13, v1
	v_add_nc_u32_e32 v4, 14, v1
	v_add_nc_u32_e32 v1, -1, v1
	s_wait_alu 0xf1ff
	v_add_co_ci_u32_e64 v18, null, 0, s39, s20
	v_or_b32_e32 v21, 4, v3
	v_and_b32_e32 v22, 15, v2
	v_and_b32_e32 v45, 15, v1
	s_delay_alu instid0(VALU_DEP_4)
	v_mul_lo_u32 v18, s26, v18
	v_and_b32_e32 v23, 15, v4
	v_mul_lo_u32 v46, s27, v21
	v_mad_co_u64_u32 v[1:2], null, s26, v21, s[10:11]
	v_mul_lo_u32 v21, s27, v3
	v_mad_co_u64_u32 v[3:4], null, s26, v3, s[10:11]
	v_or_b32_e32 v30, v16, v19
	v_lshl_or_b32 v41, v13, 2, v16
	v_lshl_or_b32 v42, v17, 2, v16
	v_add3_u32 v2, v46, v2, v18
	v_add_co_u32 v46, vcc_lo, v1, v19
	v_add3_u32 v4, v21, v4, v18
	v_lshl_or_b32 v43, v22, 2, v16
	s_delay_alu instid0(VALU_DEP_4)
	v_add_co_ci_u32_e64 v47, null, 0, v2, vcc_lo
	v_add_co_u32 v48, vcc_lo, v3, v19
	s_wait_alu 0xfffd
	v_add_co_ci_u32_e64 v49, null, 0, v4, vcc_lo
	v_lshlrev_b64_e32 v[2:3], 2, v[5:6]
	v_lshlrev_b64_e32 v[4:5], 2, v[7:8]
	;; [unrolled: 1-line block ×5, first 2 shown]
	v_lshl_or_b32 v44, v23, 2, v16
	v_lshl_or_b32 v45, v45, 2, v16
	s_lshl_b64 s[38:39], s[24:25], 2
	s_lshl_b64 s[42:43], s[42:43], 2
	;; [unrolled: 1-line block ×4, first 2 shown]
	s_branch .LBB134_3
.LBB134_2:                              ;   in Loop: Header=BB134_3 Depth=1
	s_wait_alu 0xfffe
	s_or_b32 exec_lo, exec_lo, s20
	s_add_co_i32 s4, s4, 0x10000
	s_wait_alu 0xfffe
	s_cmp_lt_u32 s4, s21
	s_cbranch_scc0 .LBB134_77
.LBB134_3:                              ; =>This Loop Header: Depth=1
                                        ;     Child Loop BB134_27 Depth 2
	s_and_b32 vcc_lo, exec_lo, s54
	s_mov_b32 s20, -1
                                        ; implicit-def: $vgpr54
	s_wait_alu 0xfffe
	s_cbranch_vccz .LBB134_5
; %bb.4:                                ;   in Loop: Header=BB134_3 Depth=1
	s_wait_loadcnt 0x0
	ds_load_b64 v[12:13], v24
	s_mul_u64 s[46:47], s[6:7], s[4:5]
	s_mov_b32 s20, 0
	s_wait_alu 0xfffe
	s_lshl_b64 s[46:47], s[46:47], 2
	s_wait_dscnt 0x0
	s_wait_alu 0xfffe
	v_add_co_u32 v12, vcc_lo, v12, s46
	s_wait_alu 0xfffd
	v_add_co_ci_u32_e64 v13, null, s47, v13, vcc_lo
	flat_load_b32 v54, v[12:13]
.LBB134_5:                              ;   in Loop: Header=BB134_3 Depth=1
	s_wait_alu 0xfffe
	s_and_not1_b32 vcc_lo, exec_lo, s20
	s_wait_alu 0xfffe
	s_cbranch_vccnz .LBB134_7
; %bb.6:                                ;   in Loop: Header=BB134_3 Depth=1
	s_wait_loadcnt_dscnt 0x0
	ds_load_b32 v54, v24
.LBB134_7:                              ;   in Loop: Header=BB134_3 Depth=1
	s_mov_b32 s20, exec_lo
	s_wait_loadcnt_dscnt 0x0
	v_cmpx_neq_f32_e32 0, v54
	s_cbranch_execz .LBB134_2
; %bb.8:                                ;   in Loop: Header=BB134_3 Depth=1
	s_and_not1_b32 vcc_lo, exec_lo, s56
	s_wait_alu 0xfffe
	s_cbranch_vccnz .LBB134_2
; %bb.9:                                ;   in Loop: Header=BB134_3 Depth=1
	s_lshl_b64 s[46:47], s[4:5], 3
	s_wait_alu 0xfffe
	s_add_nc_u64 s[48:49], s[8:9], s[46:47]
	s_add_nc_u64 s[50:51], s[12:13], s[46:47]
	s_clause 0x1
	global_load_b64 v[16:17], v0, s[48:49]
	global_load_b64 v[12:13], v0, s[50:51]
	s_load_b32 s49, s[30:31], 0x4
	s_mov_b32 s51, s5
	s_wait_kmcnt 0x0
	s_cvt_f32_u32 s48, s49
	s_sub_co_i32 s50, 0, s49
	s_wait_alu 0xfffe
	s_delay_alu instid0(SALU_CYCLE_1) | instskip(NEXT) | instid1(TRANS32_DEP_1)
	v_rcp_iflag_f32_e32 v1, s48
	v_readfirstlane_b32 s48, v1
	s_mul_f32 s48, s48, 0x4f7ffffe
	s_wait_alu 0xfffe
	s_delay_alu instid0(SALU_CYCLE_2) | instskip(SKIP_1) | instid1(SALU_CYCLE_2)
	s_cvt_u32_f32 s48, s48
	s_wait_alu 0xfffe
	s_mul_i32 s50, s50, s48
	s_wait_alu 0xfffe
	s_mul_hi_u32 s50, s48, s50
	s_wait_alu 0xfffe
	s_add_co_i32 s50, s48, s50
	s_wait_alu 0xfffe
	s_mul_u64 s[50:51], s[22:23], s[50:51]
	s_wait_alu 0xfffe
	s_mul_i32 s48, s51, s49
	s_add_co_i32 s50, s51, 1
	s_wait_alu 0xfffe
	s_sub_co_i32 s48, s22, s48
	s_wait_alu 0xfffe
	s_sub_co_i32 s52, s48, s49
	s_cmp_ge_u32 s48, s49
	s_cselect_b32 s50, s50, s51
	s_wait_alu 0xfffe
	s_cselect_b32 s48, s52, s48
	s_add_co_i32 s51, s50, 1
	s_wait_alu 0xfffe
	s_cmp_ge_u32 s48, s49
	s_cselect_b32 s48, s51, s50
	s_add_co_i32 s50, s49, -1
	s_wait_alu 0xfffe
	s_mov_b32 s58, s48
	s_cmp_lg_u32 s33, s50
	s_cbranch_scc1 .LBB134_11
; %bb.10:                               ;   in Loop: Header=BB134_3 Depth=1
	s_mul_i32 s49, s48, s49
	s_wait_alu 0xfffe
	s_sub_co_i32 s49, s22, s49
	s_wait_alu 0xfffe
	s_add_co_i32 s58, s49, s48
.LBB134_11:                             ;   in Loop: Header=BB134_3 Depth=1
	s_wait_alu 0xfffe
	s_cmp_eq_u32 s58, 0
	s_cbranch_scc1 .LBB134_2
; %bb.12:                               ;   in Loop: Header=BB134_3 Depth=1
	s_load_b32 s57, s[30:31], 0x0
	s_add_nc_u64 s[46:47], s[28:29], s[46:47]
	s_wait_loadcnt 0x0
	v_add_co_u32 v55, vcc_lo, v12, s14
	s_load_b64 s[46:47], s[46:47], 0x0
	v_add_co_ci_u32_e64 v56, null, s15, v13, vcc_lo
	v_add_co_u32 v1, vcc_lo, v55, s40
	s_mov_b32 s49, -1
	s_wait_alu 0xfffd
	v_add_co_ci_u32_e64 v12, null, s41, v56, vcc_lo
	s_wait_kmcnt 0x0
	s_add_co_i32 s57, s57, -1
	s_delay_alu instid0(SALU_CYCLE_1)
	s_cmp_lg_u32 s22, s57
	s_cselect_b32 s52, -1, 0
	s_wait_alu 0xfffe
	s_and_b32 vcc_lo, exec_lo, s52
	s_wait_alu 0xfffe
	s_cbranch_vccz .LBB134_16
; %bb.13:                               ;   in Loop: Header=BB134_3 Depth=1
	s_and_saveexec_b32 s49, s0
	s_cbranch_execz .LBB134_15
; %bb.14:                               ;   in Loop: Header=BB134_3 Depth=1
	v_add_co_u32 v13, vcc_lo, v1, v2
	s_wait_alu 0xfffd
	v_add_co_ci_u32_e64 v14, null, v12, v3, vcc_lo
	flat_load_b32 v13, v[13:14]
	s_wait_loadcnt_dscnt 0x0
	ds_store_b32 v26, v13
.LBB134_15:                             ;   in Loop: Header=BB134_3 Depth=1
	s_wait_alu 0xfffe
	s_or_b32 exec_lo, exec_lo, s49
	s_mov_b32 s49, 0
.LBB134_16:                             ;   in Loop: Header=BB134_3 Depth=1
	s_wait_alu 0xfffe
	s_and_not1_b32 vcc_lo, exec_lo, s49
	s_wait_alu 0xfffe
	s_cbranch_vccnz .LBB134_22
; %bb.17:                               ;   in Loop: Header=BB134_3 Depth=1
	s_and_saveexec_b32 s49, s0
	s_cbranch_execz .LBB134_21
; %bb.18:                               ;   in Loop: Header=BB134_3 Depth=1
	v_mov_b32_e32 v13, 0
	s_and_saveexec_b32 s50, s1
	s_cbranch_execz .LBB134_20
; %bb.19:                               ;   in Loop: Header=BB134_3 Depth=1
	v_add_co_u32 v13, vcc_lo, v1, v2
	s_wait_alu 0xfffd
	v_add_co_ci_u32_e64 v14, null, v12, v3, vcc_lo
	flat_load_b32 v13, v[13:14]
.LBB134_20:                             ;   in Loop: Header=BB134_3 Depth=1
	s_wait_alu 0xfffe
	s_or_b32 exec_lo, exec_lo, s50
	s_wait_loadcnt_dscnt 0x0
	ds_store_b32 v26, v13
.LBB134_21:                             ;   in Loop: Header=BB134_3 Depth=1
	s_wait_alu 0xfffe
	s_or_b32 exec_lo, exec_lo, s49
	ds_store_2addr_b32 v27, v0, v0 offset1:16
	ds_store_2addr_b32 v28, v0, v0 offset1:16
.LBB134_22:                             ;   in Loop: Header=BB134_3 Depth=1
	v_add_co_u32 v1, vcc_lo, v16, s10
	s_wait_alu 0xfffd
	v_add_co_ci_u32_e64 v12, null, s11, v17, vcc_lo
	s_mul_i32 s50, s55, s48
	v_add_co_u32 v59, vcc_lo, v1, s42
	s_wait_alu 0xfffe
	s_ashr_i32 s51, s50, 31
	s_wait_alu 0xfffd
	v_add_co_ci_u32_e64 v60, null, s43, v12, vcc_lo
	s_wait_alu 0xfffe
	s_lshl_b64 s[48:49], s[50:51], 2
	v_cndmask_b32_e64 v57, 0, 1, s52
	s_wait_alu 0xfffe
	v_add_co_u32 v18, vcc_lo, v59, s48
	s_wait_alu 0xfffd
	v_add_co_ci_u32_e64 v19, null, s49, v60, vcc_lo
	s_and_not1_b32 vcc_lo, exec_lo, s52
	s_mov_b32 s52, -1
	s_wait_dscnt 0x0
	s_barrier_signal -1
	s_barrier_wait -1
	global_inv scope:SCOPE_SE
                                        ; implicit-def: $vgpr14_vgpr15
	s_wait_alu 0xfffe
	s_cbranch_vccz .LBB134_51
; %bb.23:                               ;   in Loop: Header=BB134_3 Depth=1
	s_and_not1_b32 vcc_lo, exec_lo, s52
	s_wait_alu 0xfffe
	s_cbranch_vccz .LBB134_52
.LBB134_24:                             ;   in Loop: Header=BB134_3 Depth=1
	s_cmp_lt_i32 s58, 1
	s_add_nc_u64 s[46:47], s[46:47], s[16:17]
	s_cbranch_scc1 .LBB134_59
.LBB134_25:                             ;   in Loop: Header=BB134_3 Depth=1
	s_mul_u64 s[52:53], s[24:25], s[50:51]
	v_mov_b32_e32 v61, 0
	s_wait_alu 0xfffe
	s_lshl_b64 s[52:53], s[52:53], 2
	s_wait_alu 0xfffe
	v_add_co_u32 v20, vcc_lo, v55, s52
	s_wait_alu 0xfffd
	v_add_co_ci_u32_e64 v21, null, s53, v56, vcc_lo
	s_mul_u64 s[52:53], s[18:19], s[50:51]
	v_add_co_u32 v12, vcc_lo, v20, v6
	s_wait_alu 0xfffd
	v_add_co_ci_u32_e64 v13, null, v21, v7, vcc_lo
	s_wait_alu 0xfffe
	s_lshl_b64 s[52:53], s[52:53], 2
	s_cmp_eq_u32 s58, 1
	s_wait_alu 0xfffe
	s_add_nc_u64 s[52:53], s[46:47], s[52:53]
	flat_load_b32 v63, v[12:13]
	s_cbranch_scc1 .LBB134_60
; %bb.26:                               ;   in Loop: Header=BB134_3 Depth=1
	v_add_co_u32 v1, s59, v50, s48
	s_wait_alu 0xf1ff
	v_add_co_ci_u32_e64 v12, null, 0, s49, s59
	v_add_co_u32 v20, s59, v51, s48
	s_wait_alu 0xf1ff
	v_add_co_ci_u32_e64 v21, null, 0, s49, s59
	v_mul_lo_u32 v13, s25, v1
	v_mul_lo_u32 v12, s24, v12
	v_mad_co_u64_u32 v[18:19], null, s24, v1, 0
	v_mul_lo_u32 v1, s25, v20
	v_mul_lo_u32 v22, s24, v21
	v_mad_co_u64_u32 v[20:21], null, s24, v20, 0
	v_add_co_u32 v64, vcc_lo, v16, v46
	s_wait_alu 0xfffd
	v_add_co_ci_u32_e64 v65, null, v17, v47, vcc_lo
	v_add_co_u32 v66, vcc_lo, v16, v48
	v_add3_u32 v19, v19, v12, v13
	v_add3_u32 v21, v21, v22, v1
	s_wait_alu 0xfffe
	v_dual_mov_b32 v1, 0 :: v_dual_mov_b32 v12, s52
	s_wait_alu 0xfffd
	v_add_co_ci_u32_e64 v67, null, v17, v49, vcc_lo
	v_dual_mov_b32 v13, s53 :: v_dual_mov_b32 v58, 0
	v_dual_mov_b32 v17, 0 :: v_dual_mov_b32 v16, 0
	s_add_co_i32 s52, s58, -1
	s_mul_u64 s[50:51], s[38:39], s[50:51]
.LBB134_27:                             ;   Parent Loop BB134_3 Depth=1
                                        ; =>  This Inner Loop Header: Depth=2
	v_add_co_u32 v22, vcc_lo, v55, v20
	s_wait_alu 0xfffd
	v_add_co_ci_u32_e64 v23, null, v56, v21, vcc_lo
	v_cmp_ne_u32_e32 vcc_lo, 1, v57
	s_mov_b32 s53, -1
                                        ; implicit-def: $vgpr61
                                        ; implicit-def: $vgpr62
	flat_load_b32 v69, v[22:23]
	s_cbranch_vccnz .LBB134_29
; %bb.28:                               ;   in Loop: Header=BB134_27 Depth=2
	v_add_co_u32 v22, vcc_lo, v66, s48
	s_wait_alu 0xfffd
	v_add_co_ci_u32_e64 v23, null, s49, v67, vcc_lo
	v_add_co_u32 v70, vcc_lo, v64, s48
	s_wait_alu 0xfffd
	v_add_co_ci_u32_e64 v71, null, s49, v65, vcc_lo
	flat_load_b32 v62, v[22:23] offset:64
	flat_load_b32 v61, v[70:71] offset:64
	s_mov_b32 s53, 0
.LBB134_29:                             ;   in Loop: Header=BB134_27 Depth=2
	s_wait_alu 0xfffe
	s_and_not1_b32 vcc_lo, exec_lo, s53
	s_wait_alu 0xfffe
	s_cbranch_vccnz .LBB134_37
; %bb.30:                               ;   in Loop: Header=BB134_27 Depth=2
	s_and_saveexec_b32 s53, s2
	s_wait_alu 0xfffe
	s_xor_b32 s53, exec_lo, s53
	s_cbranch_execz .LBB134_34
; %bb.31:                               ;   in Loop: Header=BB134_27 Depth=2
	s_and_saveexec_b32 s58, s3
	s_cbranch_execz .LBB134_33
; %bb.32:                               ;   in Loop: Header=BB134_27 Depth=2
	v_add_co_u32 v22, vcc_lo, v66, s48
	s_wait_alu 0xfffd
	v_add_co_ci_u32_e64 v23, null, s49, v67, vcc_lo
	flat_load_b32 v17, v[22:23] offset:64
.LBB134_33:                             ;   in Loop: Header=BB134_27 Depth=2
	s_wait_alu 0xfffe
	s_or_b32 exec_lo, exec_lo, s58
.LBB134_34:                             ;   in Loop: Header=BB134_27 Depth=2
	s_wait_alu 0xfffe
	s_and_not1_saveexec_b32 s53, s53
	s_cbranch_execz .LBB134_36
; %bb.35:                               ;   in Loop: Header=BB134_27 Depth=2
	v_add_co_u32 v16, vcc_lo, v66, s48
	s_wait_loadcnt_dscnt 0x0
	s_wait_alu 0xfffd
	v_add_co_ci_u32_e64 v17, null, s49, v67, vcc_lo
	v_add_co_u32 v22, vcc_lo, v64, s48
	s_wait_alu 0xfffd
	v_add_co_ci_u32_e64 v23, null, s49, v65, vcc_lo
	flat_load_b32 v17, v[16:17] offset:64
	flat_load_b32 v16, v[22:23] offset:64
.LBB134_36:                             ;   in Loop: Header=BB134_27 Depth=2
	s_wait_alu 0xfffe
	s_or_b32 exec_lo, exec_lo, s53
	s_wait_loadcnt_dscnt 0x0
	v_dual_mov_b32 v62, v17 :: v_dual_mov_b32 v61, v16
.LBB134_37:                             ;   in Loop: Header=BB134_27 Depth=2
	ds_load_b64 v[22:23], v29
	v_cmp_ne_u32_e32 vcc_lo, 1, v57
	s_mov_b32 s53, -1
                                        ; implicit-def: $vgpr16_vgpr17
	s_cbranch_vccnz .LBB134_39
; %bb.38:                               ;   in Loop: Header=BB134_27 Depth=2
	v_add_co_u32 v16, vcc_lo, v66, s48
	s_wait_alu 0xfffd
	v_add_co_ci_u32_e64 v17, null, s49, v67, vcc_lo
	v_add_co_u32 v70, vcc_lo, v64, s48
	s_wait_alu 0xfffd
	v_add_co_ci_u32_e64 v71, null, s49, v65, vcc_lo
	flat_load_b32 v16, v[16:17] offset:128
	flat_load_b32 v17, v[70:71] offset:128
	s_mov_b32 s53, 0
.LBB134_39:                             ;   in Loop: Header=BB134_27 Depth=2
	s_wait_alu 0xfffe
	s_and_not1_b32 vcc_lo, exec_lo, s53
	s_wait_alu 0xfffe
	s_cbranch_vccnz .LBB134_47
; %bb.40:                               ;   in Loop: Header=BB134_27 Depth=2
                                        ; implicit-def: $vgpr16_vgpr17
	s_and_saveexec_b32 s53, s2
	s_wait_alu 0xfffe
	s_xor_b32 s53, exec_lo, s53
	s_cbranch_execz .LBB134_44
; %bb.41:                               ;   in Loop: Header=BB134_27 Depth=2
	s_wait_loadcnt_dscnt 0x0
	v_dual_mov_b32 v17, v15 :: v_dual_mov_b32 v16, v14
	s_and_saveexec_b32 s58, s3
	s_cbranch_execz .LBB134_43
; %bb.42:                               ;   in Loop: Header=BB134_27 Depth=2
	v_add_co_u32 v16, vcc_lo, v66, s48
	s_wait_alu 0xfffd
	v_add_co_ci_u32_e64 v17, null, s49, v67, vcc_lo
	flat_load_b32 v16, v[16:17] offset:128
	v_mov_b32_e32 v17, v15
.LBB134_43:                             ;   in Loop: Header=BB134_27 Depth=2
	s_wait_alu 0xfffe
	s_or_b32 exec_lo, exec_lo, s58
.LBB134_44:                             ;   in Loop: Header=BB134_27 Depth=2
	s_wait_alu 0xfffe
	s_and_not1_saveexec_b32 s53, s53
	s_cbranch_execz .LBB134_46
; %bb.45:                               ;   in Loop: Header=BB134_27 Depth=2
	s_wait_loadcnt_dscnt 0x0
	v_add_co_u32 v16, vcc_lo, v66, s48
	s_wait_alu 0xfffd
	v_add_co_ci_u32_e64 v17, null, s49, v67, vcc_lo
	v_add_co_u32 v70, vcc_lo, v64, s48
	s_wait_alu 0xfffd
	v_add_co_ci_u32_e64 v71, null, s49, v65, vcc_lo
	flat_load_b32 v16, v[16:17] offset:128
	flat_load_b32 v17, v[70:71] offset:128
.LBB134_46:                             ;   in Loop: Header=BB134_27 Depth=2
	s_wait_alu 0xfffe
	s_or_b32 exec_lo, exec_lo, s53
.LBB134_47:                             ;   in Loop: Header=BB134_27 Depth=2
	v_add_co_u32 v70, vcc_lo, v55, v18
	s_wait_alu 0xfffd
	v_add_co_ci_u32_e64 v71, null, v56, v19, vcc_lo
	flat_load_b32 v68, v[70:71]
	s_wait_loadcnt_dscnt 0x301
	v_fma_f32 v70, v14, v22, 0
	s_wait_loadcnt 0x2
	v_fma_f32 v22, v62, v22, 0
	s_wait_loadcnt_dscnt 0x0
	s_barrier_signal -1
	s_barrier_wait -1
	v_fmac_f32_e32 v70, v15, v23
	v_fmac_f32_e32 v22, v61, v23
	global_inv scope:SCOPE_SE
	ds_store_2addr_b32 v52, v70, v22 offset1:16
	s_wait_loadcnt_dscnt 0x0
	s_barrier_signal -1
	s_barrier_wait -1
	global_inv scope:SCOPE_SE
	s_and_saveexec_b32 s53, s0
	s_cbranch_execz .LBB134_49
; %bb.48:                               ;   in Loop: Header=BB134_27 Depth=2
	ds_load_2addr_b32 v[22:23], v25 offset1:32
	ds_load_2addr_b32 v[70:71], v25 offset0:64 offset1:96
	ds_load_2addr_b32 v[72:73], v25 offset0:128 offset1:160
	s_wait_dscnt 0x2
	v_add_f32_e32 v22, 0, v22
	s_delay_alu instid0(VALU_DEP_1) | instskip(SKIP_3) | instid1(VALU_DEP_1)
	v_add_f32_e32 v74, v22, v23
	ds_load_2addr_b32 v[22:23], v25 offset0:192 offset1:224
	s_wait_dscnt 0x2
	v_add_f32_e32 v70, v74, v70
	v_add_f32_e32 v74, v70, v71
	ds_load_2addr_b32 v[70:71], v53 offset1:32
	s_wait_dscnt 0x2
	v_add_f32_e32 v72, v74, v72
	s_delay_alu instid0(VALU_DEP_1) | instskip(SKIP_3) | instid1(VALU_DEP_1)
	v_add_f32_e32 v74, v72, v73
	ds_load_2addr_b32 v[72:73], v53 offset0:64 offset1:96
	s_wait_dscnt 0x2
	v_add_f32_e32 v22, v74, v22
	v_add_f32_e32 v22, v22, v23
	s_wait_dscnt 0x1
	s_delay_alu instid0(VALU_DEP_1) | instskip(SKIP_3) | instid1(VALU_DEP_1)
	v_add_f32_e32 v70, v22, v70
	ds_load_2addr_b32 v[22:23], v53 offset0:128 offset1:160
	v_add_f32_e32 v70, v70, v71
	s_wait_dscnt 0x1
	v_add_f32_e32 v72, v70, v72
	ds_load_2addr_b32 v[70:71], v53 offset0:192 offset1:224
	v_add_f32_e32 v72, v72, v73
	s_wait_dscnt 0x1
	s_delay_alu instid0(VALU_DEP_1) | instskip(NEXT) | instid1(VALU_DEP_1)
	v_add_f32_e32 v22, v72, v22
	v_add_f32_e32 v22, v22, v23
	s_wait_dscnt 0x0
	s_delay_alu instid0(VALU_DEP_1) | instskip(NEXT) | instid1(VALU_DEP_1)
	v_add_f32_e32 v22, v22, v70
	v_add_f32_e32 v70, v22, v71
	v_add_co_u32 v22, vcc_lo, v12, v10
	s_wait_alu 0xfffd
	v_add_co_ci_u32_e64 v23, null, v13, v11, vcc_lo
	s_delay_alu instid0(VALU_DEP_3)
	v_mul_f32_e32 v70, v54, v70
	v_add_co_u32 v12, vcc_lo, v12, s36
	s_wait_alu 0xfffd
	v_add_co_ci_u32_e64 v13, null, s37, v13, vcc_lo
	flat_atomic_add_f32 v[22:23], v70 scope:SCOPE_DEV
.LBB134_49:                             ;   in Loop: Header=BB134_27 Depth=2
	s_wait_alu 0xfffe
	s_or_b32 exec_lo, exec_lo, s53
	v_add_co_u32 v64, vcc_lo, 0x80, v64
	s_wait_alu 0xfffd
	v_add_co_ci_u32_e64 v65, null, 0, v65, vcc_lo
	v_add_co_u32 v66, vcc_lo, 0x80, v66
	v_fmac_f32_e32 v58, v63, v15
	v_fmac_f32_e32 v1, v63, v14
	s_wait_alu 0xfffd
	v_add_co_ci_u32_e64 v67, null, 0, v67, vcc_lo
	v_add_co_u32 v59, vcc_lo, 0x80, v59
	s_wait_alu 0xfffd
	v_add_co_ci_u32_e64 v60, null, 0, v60, vcc_lo
	v_add_co_u32 v55, vcc_lo, v55, s34
	v_fmac_f32_e32 v58, v69, v61
	v_fmac_f32_e32 v1, v69, v62
	s_wait_alu 0xfffd
	v_add_co_ci_u32_e64 v56, null, s35, v56, vcc_lo
	s_add_co_i32 s52, s52, -1
	s_wait_alu 0xfffe
	s_cmp_eq_u32 s52, 0
	s_cbranch_scc1 .LBB134_61
; %bb.50:                               ;   in Loop: Header=BB134_27 Depth=2
	v_dual_mov_b32 v63, v68 :: v_dual_mov_b32 v14, v16
	v_dual_mov_b32 v15, v17 :: v_dual_mov_b32 v16, v61
	v_mov_b32_e32 v17, v62
	s_branch .LBB134_27
.LBB134_51:                             ;   in Loop: Header=BB134_3 Depth=1
	v_add_co_u32 v12, vcc_lo, v18, v4
	s_wait_alu 0xfffd
	v_add_co_ci_u32_e64 v13, null, v19, v5, vcc_lo
	s_lshl_b64 s[52:53], s[26:27], 2
	s_wait_alu 0xfffe
	v_add_co_u32 v20, vcc_lo, v12, s52
	s_wait_alu 0xfffd
	v_add_co_ci_u32_e64 v21, null, s53, v13, vcc_lo
	s_clause 0x1
	flat_load_b32 v14, v[12:13]
	flat_load_b32 v15, v[20:21]
	s_cbranch_execnz .LBB134_24
.LBB134_52:                             ;   in Loop: Header=BB134_3 Depth=1
                                        ; implicit-def: $vgpr14_vgpr15
	s_and_saveexec_b32 s52, s2
	s_wait_alu 0xfffe
	s_xor_b32 s52, exec_lo, s52
	s_cbranch_execz .LBB134_56
; %bb.53:                               ;   in Loop: Header=BB134_3 Depth=1
	v_mov_b32_e32 v1, v0
	s_wait_loadcnt_dscnt 0x0
	s_delay_alu instid0(VALU_DEP_1)
	v_dual_mov_b32 v15, v1 :: v_dual_mov_b32 v14, v0
	s_and_saveexec_b32 s53, s3
	s_cbranch_execz .LBB134_55
; %bb.54:                               ;   in Loop: Header=BB134_3 Depth=1
	v_add_co_u32 v12, vcc_lo, v18, v4
	s_wait_alu 0xfffd
	v_add_co_ci_u32_e64 v13, null, v19, v5, vcc_lo
	v_mov_b32_e32 v15, v0
	flat_load_b32 v14, v[12:13]
.LBB134_55:                             ;   in Loop: Header=BB134_3 Depth=1
	s_wait_alu 0xfffe
	s_or_b32 exec_lo, exec_lo, s53
.LBB134_56:                             ;   in Loop: Header=BB134_3 Depth=1
	s_wait_alu 0xfffe
	s_and_not1_saveexec_b32 s52, s52
	s_cbranch_execz .LBB134_58
; %bb.57:                               ;   in Loop: Header=BB134_3 Depth=1
	v_add_co_u32 v12, vcc_lo, v18, v4
	s_wait_alu 0xfffd
	v_add_co_ci_u32_e64 v13, null, v19, v5, vcc_lo
	s_lshl_b64 s[60:61], s[26:27], 2
	s_wait_alu 0xfffe
	v_add_co_u32 v20, vcc_lo, v12, s60
	s_wait_alu 0xfffd
	v_add_co_ci_u32_e64 v21, null, s61, v13, vcc_lo
	s_wait_loadcnt_dscnt 0x0
	s_clause 0x1
	flat_load_b32 v14, v[12:13]
	flat_load_b32 v15, v[20:21]
.LBB134_58:                             ;   in Loop: Header=BB134_3 Depth=1
	s_wait_alu 0xfffe
	s_or_b32 exec_lo, exec_lo, s52
	s_cmp_lt_i32 s58, 1
	s_add_nc_u64 s[46:47], s[46:47], s[16:17]
	s_cbranch_scc0 .LBB134_25
.LBB134_59:                             ;   in Loop: Header=BB134_3 Depth=1
	v_dual_mov_b32 v58, 0 :: v_dual_mov_b32 v1, 0
	s_branch .LBB134_75
.LBB134_60:                             ;   in Loop: Header=BB134_3 Depth=1
	s_wait_loadcnt_dscnt 0x101
	v_dual_mov_b32 v58, 0 :: v_dual_mov_b32 v17, v15
	s_wait_alu 0xfffe
	v_dual_mov_b32 v12, s52 :: v_dual_mov_b32 v13, s53
	v_dual_mov_b32 v62, 0 :: v_dual_mov_b32 v1, 0
	v_mov_b32_e32 v16, v14
	s_wait_loadcnt_dscnt 0x0
	v_mov_b32_e32 v68, v63
	s_branch .LBB134_62
.LBB134_61:                             ;   in Loop: Header=BB134_3 Depth=1
	v_add_co_u32 v20, vcc_lo, v55, s50
	s_wait_alu 0xfffd
	v_add_co_ci_u32_e64 v21, null, s51, v56, vcc_lo
	v_add_co_u32 v18, vcc_lo, v59, s48
	s_wait_alu 0xfffd
	v_add_co_ci_u32_e64 v19, null, s49, v60, vcc_lo
.LBB134_62:                             ;   in Loop: Header=BB134_3 Depth=1
	v_add_co_u32 v14, vcc_lo, v20, v8
	s_wait_alu 0xfffd
	v_add_co_ci_u32_e64 v15, null, v21, v9, vcc_lo
	v_cmp_ne_u32_e32 vcc_lo, 1, v57
	s_mov_b32 s48, -1
                                        ; implicit-def: $vgpr20
	flat_load_b32 v14, v[14:15]
                                        ; implicit-def: $vgpr15
	s_cbranch_vccnz .LBB134_64
; %bb.63:                               ;   in Loop: Header=BB134_3 Depth=1
	v_add_co_u32 v20, vcc_lo, v18, v4
	s_wait_alu 0xfffd
	v_add_co_ci_u32_e64 v21, null, v19, v5, vcc_lo
	s_lshl_b64 s[48:49], s[26:27], 2
	s_wait_alu 0xfffe
	v_add_co_u32 v22, vcc_lo, v20, s48
	s_wait_alu 0xfffd
	v_add_co_ci_u32_e64 v23, null, s49, v21, vcc_lo
	s_mov_b32 s48, 0
	s_clause 0x1
	flat_load_b32 v15, v[20:21] offset:64
	flat_load_b32 v20, v[22:23] offset:64
.LBB134_64:                             ;   in Loop: Header=BB134_3 Depth=1
	s_wait_alu 0xfffe
	s_and_not1_b32 vcc_lo, exec_lo, s48
	s_wait_alu 0xfffe
	s_cbranch_vccnz .LBB134_72
; %bb.65:                               ;   in Loop: Header=BB134_3 Depth=1
	s_and_saveexec_b32 s48, s2
	s_wait_alu 0xfffe
	s_xor_b32 s48, exec_lo, s48
	s_cbranch_execz .LBB134_69
; %bb.66:                               ;   in Loop: Header=BB134_3 Depth=1
	s_and_saveexec_b32 s49, s3
	s_cbranch_execz .LBB134_68
; %bb.67:                               ;   in Loop: Header=BB134_3 Depth=1
	v_add_co_u32 v18, vcc_lo, v18, v4
	s_wait_alu 0xfffd
	v_add_co_ci_u32_e64 v19, null, v19, v5, vcc_lo
	flat_load_b32 v62, v[18:19] offset:64
.LBB134_68:                             ;   in Loop: Header=BB134_3 Depth=1
	s_wait_alu 0xfffe
	s_or_b32 exec_lo, exec_lo, s49
                                        ; implicit-def: $vgpr18_vgpr19
.LBB134_69:                             ;   in Loop: Header=BB134_3 Depth=1
	s_wait_alu 0xfffe
	s_and_not1_saveexec_b32 s48, s48
	s_cbranch_execz .LBB134_71
; %bb.70:                               ;   in Loop: Header=BB134_3 Depth=1
	v_add_co_u32 v18, vcc_lo, v18, v4
	s_wait_alu 0xfffd
	v_add_co_ci_u32_e64 v19, null, v19, v5, vcc_lo
	s_lshl_b64 s[50:51], s[26:27], 2
	s_wait_loadcnt_dscnt 0x0
	s_wait_alu 0xfffe
	v_add_co_u32 v20, vcc_lo, v18, s50
	s_wait_alu 0xfffd
	v_add_co_ci_u32_e64 v21, null, s51, v19, vcc_lo
	s_clause 0x1
	flat_load_b32 v62, v[18:19] offset:64
	flat_load_b32 v61, v[20:21] offset:64
.LBB134_71:                             ;   in Loop: Header=BB134_3 Depth=1
	s_wait_alu 0xfffe
	s_or_b32 exec_lo, exec_lo, s48
	s_wait_loadcnt_dscnt 0x0
	v_dual_mov_b32 v15, v62 :: v_dual_mov_b32 v20, v61
.LBB134_72:                             ;   in Loop: Header=BB134_3 Depth=1
	ds_load_b64 v[18:19], v29
	s_wait_storecnt 0x0
	s_wait_loadcnt_dscnt 0x0
	s_barrier_signal -1
	s_barrier_wait -1
	global_inv scope:SCOPE_SE
	v_fma_f32 v21, v16, v18, 0
	v_fma_f32 v18, v15, v18, 0
	s_delay_alu instid0(VALU_DEP_2) | instskip(NEXT) | instid1(VALU_DEP_2)
	v_fmac_f32_e32 v21, v17, v19
	v_fmac_f32_e32 v18, v20, v19
	ds_store_2addr_b32 v52, v21, v18 offset1:16
	s_wait_loadcnt_dscnt 0x0
	s_barrier_signal -1
	s_barrier_wait -1
	global_inv scope:SCOPE_SE
	s_and_saveexec_b32 s48, s0
	s_cbranch_execz .LBB134_74
; %bb.73:                               ;   in Loop: Header=BB134_3 Depth=1
	ds_load_2addr_b32 v[18:19], v25 offset1:32
	ds_load_2addr_b32 v[21:22], v25 offset0:64 offset1:96
	ds_load_2addr_b32 v[55:56], v25 offset0:128 offset1:160
	v_add_co_u32 v12, vcc_lo, v12, v10
	s_wait_alu 0xfffd
	v_add_co_ci_u32_e64 v13, null, v13, v11, vcc_lo
	s_wait_dscnt 0x2
	v_add_f32_e32 v18, 0, v18
	s_delay_alu instid0(VALU_DEP_1) | instskip(SKIP_3) | instid1(VALU_DEP_1)
	v_add_f32_e32 v23, v18, v19
	ds_load_2addr_b32 v[18:19], v25 offset0:192 offset1:224
	s_wait_dscnt 0x2
	v_add_f32_e32 v21, v23, v21
	v_add_f32_e32 v23, v21, v22
	ds_load_2addr_b32 v[21:22], v53 offset1:32
	s_wait_dscnt 0x2
	v_add_f32_e32 v23, v23, v55
	s_delay_alu instid0(VALU_DEP_1) | instskip(SKIP_3) | instid1(VALU_DEP_1)
	v_add_f32_e32 v23, v23, v56
	ds_load_2addr_b32 v[55:56], v53 offset0:64 offset1:96
	s_wait_dscnt 0x2
	v_add_f32_e32 v18, v23, v18
	v_add_f32_e32 v18, v18, v19
	s_wait_dscnt 0x1
	s_delay_alu instid0(VALU_DEP_1) | instskip(SKIP_3) | instid1(VALU_DEP_1)
	v_add_f32_e32 v21, v18, v21
	ds_load_2addr_b32 v[18:19], v53 offset0:128 offset1:160
	v_add_f32_e32 v21, v21, v22
	s_wait_dscnt 0x1
	v_add_f32_e32 v23, v21, v55
	ds_load_2addr_b32 v[21:22], v53 offset0:192 offset1:224
	v_add_f32_e32 v23, v23, v56
	s_wait_dscnt 0x1
	s_delay_alu instid0(VALU_DEP_1) | instskip(NEXT) | instid1(VALU_DEP_1)
	v_add_f32_e32 v18, v23, v18
	v_add_f32_e32 v18, v18, v19
	s_wait_dscnt 0x0
	s_delay_alu instid0(VALU_DEP_1) | instskip(NEXT) | instid1(VALU_DEP_1)
	v_add_f32_e32 v18, v18, v21
	v_add_f32_e32 v18, v18, v22
	s_delay_alu instid0(VALU_DEP_1)
	v_mul_f32_e32 v18, v54, v18
	flat_atomic_add_f32 v[12:13], v18 scope:SCOPE_DEV
.LBB134_74:                             ;   in Loop: Header=BB134_3 Depth=1
	s_wait_alu 0xfffe
	s_or_b32 exec_lo, exec_lo, s48
	v_fmac_f32_e32 v1, v68, v16
	s_delay_alu instid0(VALU_DEP_1) | instskip(NEXT) | instid1(VALU_DEP_1)
	v_dual_fmac_f32 v58, v68, v17 :: v_dual_fmac_f32 v1, v14, v15
	v_fmac_f32_e32 v58, v14, v20
.LBB134_75:                             ;   in Loop: Header=BB134_3 Depth=1
	s_cmp_lt_u32 s22, s57
	ds_store_2addr_b32 v28, v1, v58 offset1:16
	s_cselect_b32 s48, -1, 0
	s_wait_storecnt 0x0
	s_wait_loadcnt_dscnt 0x0
	s_wait_alu 0xfffe
	s_or_b32 s48, s1, s48
	s_barrier_signal -1
	s_wait_alu 0xfffe
	s_and_b32 s48, s0, s48
	s_barrier_wait -1
	global_inv scope:SCOPE_SE
	s_wait_alu 0xfffe
	s_and_b32 exec_lo, exec_lo, s48
	s_cbranch_execz .LBB134_2
; %bb.76:                               ;   in Loop: Header=BB134_3 Depth=1
	ds_load_b32 v1, v30
	ds_load_b32 v12, v31
	;; [unrolled: 1-line block ×8, first 2 shown]
	s_add_nc_u64 s[46:47], s[46:47], s[44:45]
	s_wait_dscnt 0x7
	v_add_f32_e32 v1, 0, v1
	s_wait_dscnt 0x6
	s_delay_alu instid0(VALU_DEP_1)
	v_add_f32_e32 v1, v1, v12
	ds_load_b32 v12, v38
	s_wait_dscnt 0x6
	v_add_f32_e32 v1, v1, v13
	ds_load_b32 v13, v39
	s_wait_dscnt 0x6
	;; [unrolled: 3-line block ×3, first 2 shown]
	v_add_f32_e32 v1, v1, v15
	s_wait_dscnt 0x5
	s_delay_alu instid0(VALU_DEP_1) | instskip(SKIP_1) | instid1(VALU_DEP_1)
	v_add_f32_e32 v1, v1, v16
	s_wait_dscnt 0x4
	v_add_f32_e32 v1, v1, v17
	s_wait_dscnt 0x3
	s_delay_alu instid0(VALU_DEP_1)
	v_add_f32_e32 v1, v1, v18
	ds_load_b32 v15, v41
	ds_load_b32 v16, v42
	;; [unrolled: 1-line block ×5, first 2 shown]
	s_wait_dscnt 0x7
	v_add_f32_e32 v1, v1, v12
	s_wait_alu 0xfffe
	v_add_co_u32 v12, vcc_lo, s46, v10
	s_wait_dscnt 0x6
	s_delay_alu instid0(VALU_DEP_2) | instskip(SKIP_3) | instid1(VALU_DEP_2)
	v_add_f32_e32 v1, v1, v13
	s_wait_alu 0xfffd
	v_add_co_ci_u32_e64 v13, null, s47, v11, vcc_lo
	s_wait_dscnt 0x5
	v_add_f32_e32 v1, v1, v14
	s_wait_dscnt 0x4
	s_delay_alu instid0(VALU_DEP_1) | instskip(SKIP_1) | instid1(VALU_DEP_1)
	v_add_f32_e32 v1, v1, v15
	s_wait_dscnt 0x3
	v_add_f32_e32 v1, v1, v16
	s_wait_dscnt 0x2
	s_delay_alu instid0(VALU_DEP_1) | instskip(SKIP_1) | instid1(VALU_DEP_1)
	v_add_f32_e32 v1, v1, v17
	s_wait_dscnt 0x1
	v_add_f32_e32 v1, v1, v18
	s_wait_dscnt 0x0
	s_delay_alu instid0(VALU_DEP_1) | instskip(NEXT) | instid1(VALU_DEP_1)
	v_add_f32_e32 v1, v1, v19
	v_mul_f32_e32 v1, v54, v1
	flat_atomic_add_f32 v[12:13], v1 scope:SCOPE_DEV
	s_branch .LBB134_2
.LBB134_77:
	s_endpgm
	.section	.rodata,"a",@progbits
	.p2align	6, 0x0
	.amdhsa_kernel _ZL62rocblas_symv_kernel_upper_double_buffered_non_diagonal_genericILi32ELi8ELi2ELi1E24rocblas_internal_val_ptrIfEPKPKfPKPfEvbiT3_lT4_lllSA_lllT5_lllii
		.amdhsa_group_segment_fixed_size 6272
		.amdhsa_private_segment_fixed_size 0
		.amdhsa_kernarg_size 384
		.amdhsa_user_sgpr_count 4
		.amdhsa_user_sgpr_dispatch_ptr 1
		.amdhsa_user_sgpr_queue_ptr 0
		.amdhsa_user_sgpr_kernarg_segment_ptr 1
		.amdhsa_user_sgpr_dispatch_id 0
		.amdhsa_user_sgpr_private_segment_size 0
		.amdhsa_wavefront_size32 1
		.amdhsa_uses_dynamic_stack 0
		.amdhsa_enable_private_segment 0
		.amdhsa_system_sgpr_workgroup_id_x 1
		.amdhsa_system_sgpr_workgroup_id_y 1
		.amdhsa_system_sgpr_workgroup_id_z 1
		.amdhsa_system_sgpr_workgroup_info 0
		.amdhsa_system_vgpr_workitem_id 2
		.amdhsa_next_free_vgpr 75
		.amdhsa_next_free_sgpr 62
		.amdhsa_reserve_vcc 1
		.amdhsa_float_round_mode_32 0
		.amdhsa_float_round_mode_16_64 0
		.amdhsa_float_denorm_mode_32 3
		.amdhsa_float_denorm_mode_16_64 3
		.amdhsa_fp16_overflow 0
		.amdhsa_workgroup_processor_mode 1
		.amdhsa_memory_ordered 1
		.amdhsa_forward_progress 1
		.amdhsa_inst_pref_size 37
		.amdhsa_round_robin_scheduling 0
		.amdhsa_exception_fp_ieee_invalid_op 0
		.amdhsa_exception_fp_denorm_src 0
		.amdhsa_exception_fp_ieee_div_zero 0
		.amdhsa_exception_fp_ieee_overflow 0
		.amdhsa_exception_fp_ieee_underflow 0
		.amdhsa_exception_fp_ieee_inexact 0
		.amdhsa_exception_int_div_zero 0
	.end_amdhsa_kernel
	.section	.text._ZL62rocblas_symv_kernel_upper_double_buffered_non_diagonal_genericILi32ELi8ELi2ELi1E24rocblas_internal_val_ptrIfEPKPKfPKPfEvbiT3_lT4_lllSA_lllT5_lllii,"axG",@progbits,_ZL62rocblas_symv_kernel_upper_double_buffered_non_diagonal_genericILi32ELi8ELi2ELi1E24rocblas_internal_val_ptrIfEPKPKfPKPfEvbiT3_lT4_lllSA_lllT5_lllii,comdat
.Lfunc_end134:
	.size	_ZL62rocblas_symv_kernel_upper_double_buffered_non_diagonal_genericILi32ELi8ELi2ELi1E24rocblas_internal_val_ptrIfEPKPKfPKPfEvbiT3_lT4_lllSA_lllT5_lllii, .Lfunc_end134-_ZL62rocblas_symv_kernel_upper_double_buffered_non_diagonal_genericILi32ELi8ELi2ELi1E24rocblas_internal_val_ptrIfEPKPKfPKPfEvbiT3_lT4_lllSA_lllT5_lllii
                                        ; -- End function
	.set _ZL62rocblas_symv_kernel_upper_double_buffered_non_diagonal_genericILi32ELi8ELi2ELi1E24rocblas_internal_val_ptrIfEPKPKfPKPfEvbiT3_lT4_lllSA_lllT5_lllii.num_vgpr, 75
	.set _ZL62rocblas_symv_kernel_upper_double_buffered_non_diagonal_genericILi32ELi8ELi2ELi1E24rocblas_internal_val_ptrIfEPKPKfPKPfEvbiT3_lT4_lllSA_lllT5_lllii.num_agpr, 0
	.set _ZL62rocblas_symv_kernel_upper_double_buffered_non_diagonal_genericILi32ELi8ELi2ELi1E24rocblas_internal_val_ptrIfEPKPKfPKPfEvbiT3_lT4_lllSA_lllT5_lllii.numbered_sgpr, 62
	.set _ZL62rocblas_symv_kernel_upper_double_buffered_non_diagonal_genericILi32ELi8ELi2ELi1E24rocblas_internal_val_ptrIfEPKPKfPKPfEvbiT3_lT4_lllSA_lllT5_lllii.num_named_barrier, 0
	.set _ZL62rocblas_symv_kernel_upper_double_buffered_non_diagonal_genericILi32ELi8ELi2ELi1E24rocblas_internal_val_ptrIfEPKPKfPKPfEvbiT3_lT4_lllSA_lllT5_lllii.private_seg_size, 0
	.set _ZL62rocblas_symv_kernel_upper_double_buffered_non_diagonal_genericILi32ELi8ELi2ELi1E24rocblas_internal_val_ptrIfEPKPKfPKPfEvbiT3_lT4_lllSA_lllT5_lllii.uses_vcc, 1
	.set _ZL62rocblas_symv_kernel_upper_double_buffered_non_diagonal_genericILi32ELi8ELi2ELi1E24rocblas_internal_val_ptrIfEPKPKfPKPfEvbiT3_lT4_lllSA_lllT5_lllii.uses_flat_scratch, 1
	.set _ZL62rocblas_symv_kernel_upper_double_buffered_non_diagonal_genericILi32ELi8ELi2ELi1E24rocblas_internal_val_ptrIfEPKPKfPKPfEvbiT3_lT4_lllSA_lllT5_lllii.has_dyn_sized_stack, 0
	.set _ZL62rocblas_symv_kernel_upper_double_buffered_non_diagonal_genericILi32ELi8ELi2ELi1E24rocblas_internal_val_ptrIfEPKPKfPKPfEvbiT3_lT4_lllSA_lllT5_lllii.has_recursion, 0
	.set _ZL62rocblas_symv_kernel_upper_double_buffered_non_diagonal_genericILi32ELi8ELi2ELi1E24rocblas_internal_val_ptrIfEPKPKfPKPfEvbiT3_lT4_lllSA_lllT5_lllii.has_indirect_call, 0
	.section	.AMDGPU.csdata,"",@progbits
; Kernel info:
; codeLenInByte = 4672
; TotalNumSgprs: 64
; NumVgprs: 75
; ScratchSize: 0
; MemoryBound: 0
; FloatMode: 240
; IeeeMode: 1
; LDSByteSize: 6272 bytes/workgroup (compile time only)
; SGPRBlocks: 0
; VGPRBlocks: 9
; NumSGPRsForWavesPerEU: 64
; NumVGPRsForWavesPerEU: 75
; Occupancy: 16
; WaveLimiterHint : 1
; COMPUTE_PGM_RSRC2:SCRATCH_EN: 0
; COMPUTE_PGM_RSRC2:USER_SGPR: 4
; COMPUTE_PGM_RSRC2:TRAP_HANDLER: 0
; COMPUTE_PGM_RSRC2:TGID_X_EN: 1
; COMPUTE_PGM_RSRC2:TGID_Y_EN: 1
; COMPUTE_PGM_RSRC2:TGID_Z_EN: 1
; COMPUTE_PGM_RSRC2:TIDIG_COMP_CNT: 2
	.section	.text._ZL26rocblas_hemvn_kernel_upperILb0ELi64ELi4ELi33ELi32ELi16ElPKfPKS1_PfEviT6_lT7_lT5_lS6_lS7_lS5_lT8_i,"axG",@progbits,_ZL26rocblas_hemvn_kernel_upperILb0ELi64ELi4ELi33ELi32ELi16ElPKfPKS1_PfEviT6_lT7_lT5_lS6_lS7_lS5_lT8_i,comdat
	.globl	_ZL26rocblas_hemvn_kernel_upperILb0ELi64ELi4ELi33ELi32ELi16ElPKfPKS1_PfEviT6_lT7_lT5_lS6_lS7_lS5_lT8_i ; -- Begin function _ZL26rocblas_hemvn_kernel_upperILb0ELi64ELi4ELi33ELi32ELi16ElPKfPKS1_PfEviT6_lT7_lT5_lS6_lS7_lS5_lT8_i
	.p2align	8
	.type	_ZL26rocblas_hemvn_kernel_upperILb0ELi64ELi4ELi33ELi32ELi16ElPKfPKS1_PfEviT6_lT7_lT5_lS6_lS7_lS5_lT8_i,@function
_ZL26rocblas_hemvn_kernel_upperILb0ELi64ELi4ELi33ELi32ELi16ElPKfPKS1_PfEviT6_lT7_lT5_lS6_lS7_lS5_lT8_i: ; @_ZL26rocblas_hemvn_kernel_upperILb0ELi64ELi4ELi33ELi32ELi16ElPKfPKS1_PfEviT6_lT7_lT5_lS6_lS7_lS5_lT8_i
; %bb.0:
	s_clause 0x1
	s_load_b64 s[2:3], s[0:1], 0x84
	s_load_b32 s33, s[0:1], 0x70
	s_lshr_b32 s34, ttmp7, 16
	s_wait_kmcnt 0x0
	s_lshr_b32 s4, s2, 16
	s_and_b32 s2, s2, 0xffff
	s_and_b32 s3, s3, 0xffff
	s_mul_i32 s2, s4, s2
	s_delay_alu instid0(SALU_CYCLE_1) | instskip(NEXT) | instid1(SALU_CYCLE_1)
	s_mul_i32 s2, s2, s3
	s_cmp_lg_u32 s2, 0x100
	s_cselect_b32 s2, -1, 0
	s_cmp_ge_u32 s34, s33
	s_cselect_b32 s3, -1, 0
	s_delay_alu instid0(SALU_CYCLE_1) | instskip(NEXT) | instid1(SALU_CYCLE_1)
	s_or_b32 s2, s2, s3
	s_and_b32 vcc_lo, exec_lo, s2
	s_cbranch_vccnz .LBB135_131
; %bb.1:
	s_clause 0x1
	s_load_b32 s2, s[0:1], 0x0
	s_load_b64 s[40:41], s[0:1], 0x48
	s_add_nc_u64 s[6:7], s[0:1], 0x78
	v_dual_mov_b32 v16, 0 :: v_dual_and_b32 v41, 0x3ff, v0
	s_load_b32 s42, s[6:7], 0x0
	v_bfe_u32 v14, v0, 10, 10
	s_clause 0x2
	s_load_b64 s[60:61], s[0:1], 0x28
	s_load_b128 s[28:31], s[0:1], 0x38
	s_load_b64 s[6:7], s[0:1], 0x68
	s_lshl_b32 s18, ttmp9, 6
	v_and_b32_e32 v15, 31, v0
	v_add_nc_u32_e32 v1, s18, v41
	v_lshl_add_u32 v17, v14, 6, v41
	s_clause 0x1
	s_load_b256 s[20:27], s[0:1], 0x8
	s_load_b128 s[36:39], s[0:1], 0x58
	v_lshlrev_b32_e32 v29, 2, v15
	v_ashrrev_i32_e32 v2, 31, v1
	v_lshrrev_b32_e32 v12, 5, v17
	v_lshlrev_b32_e32 v48, 2, v14
	s_mov_b32 s35, 0
	v_lshl_or_b32 v44, v15, 7, v29
	s_wait_kmcnt 0x0
	s_ashr_i32 s3, s2, 31
	v_lshlrev_b32_e32 v21, 2, v12
	s_lshr_b32 s0, s3, 26
	v_mul_lo_u32 v7, s40, v2
	s_add_co_i32 s0, s2, s0
	s_add_co_i32 s1, s42, -1
	s_and_not1_b32 s0, s0, 63
	v_mul_lo_u32 v8, s41, v1
	v_mad_co_u64_u32 v[3:4], null, s40, v1, 0
	s_sub_co_i32 s70, s2, s0
	v_mad_co_u64_u32 v[5:6], null, s60, v12, v[15:16]
	v_lshlrev_b32_e32 v10, 4, v12
	v_or_b32_e32 v11, 1, v21
	s_cmp_eq_u32 ttmp9, s1
	v_add3_u32 v4, v4, v7, v8
	s_cselect_b32 s44, s70, 0
	v_add_nc_u32_e32 v45, v44, v10
	s_cmp_lg_u32 s44, 0
	v_mul_u32_u24_e32 v32, 0x84, v11
	v_add_nc_u32_e32 v46, 0x11c0, v10
	v_mad_co_u64_u32 v[10:11], null, s60, v48, 0
	s_cselect_b32 s71, -1, 0
	s_cmp_eq_u32 s44, 0
	v_mad_co_u64_u32 v[7:8], null, s61, v12, v[6:7]
	s_mov_b32 s4, ttmp9
	s_cselect_b32 s1, -1, 0
	v_cmp_gt_i32_e32 vcc_lo, s44, v41
	s_ashr_i32 s5, ttmp9, 31
	s_mov_b32 s43, s35
	s_mul_u64 s[4:5], s[2:3], s[4:5]
	s_mul_u64 s[46:47], s[42:43], s[2:3]
	v_sub_co_u32 v8, s2, 0, v15
	v_add_nc_u32_e32 v13, 8, v12
	s_sub_co_i32 s15, s44, 32
	v_sub_co_ci_u32_e64 v9, null, 0, 0, s2
	v_add_nc_u32_e32 v18, 16, v12
	v_cmp_gt_i32_e64 s2, s44, v12
	v_mul_u32_u24_e32 v30, 0x84, v12
	v_add_nc_u32_e32 v19, 24, v12
	v_mul_u32_u24_e32 v31, 0x210, v12
	v_cmp_gt_i32_e64 s12, s15, v12
	v_cmp_eq_u32_e64 s16, 1, v12
	v_mul_i32_i24_e32 v49, -12, v12
	v_mad_co_u64_u32 v[11:12], null, s61, v48, v[11:12]
	s_or_b32 s72, s1, vcc_lo
	v_sub_co_u32 v12, vcc_lo, 0, v5
	v_mov_b32_e32 v6, v7
	v_cmp_gt_i32_e64 s3, s44, v13
	v_cmp_gt_i32_e64 s13, s15, v13
	v_sub_co_ci_u32_e64 v13, null, 0, v7, vcc_lo
	v_lshrrev_b32_e32 v7, 2, v17
	s_lshl_b64 s[4:5], s[4:5], 2
	v_lshlrev_b32_e32 v42, 2, v41
	s_add_nc_u64 s[48:49], s[6:7], s[4:5]
	v_cmp_gt_i32_e64 s4, s44, v18
	v_or_b32_e32 v20, 2, v21
	v_cmp_gt_i32_e64 s14, s15, v18
	v_and_b32_e32 v18, 15, v0
	v_lshlrev_b32_e32 v26, 4, v14
	v_and_b32_e32 v7, 0x1ffc, v7
	v_cmp_gt_i32_e64 s5, s44, v19
	v_cmp_gt_u32_e64 s8, v20, v15
	v_or_b32_e32 v20, 32, v15
	v_cmp_gt_i32_e64 s15, s15, v19
	v_or_b32_e32 v19, 60, v42
	v_mad_u32_u24 v53, 0x10c, v18, v7
	v_add_nc_u32_e32 v7, 0x88, v26
	v_and_b32_e32 v0, 48, v0
	v_cmp_gt_i32_e64 s11, s44, v20
	v_mad_u32_u24 v55, 0x10c, v18, v19
	v_cmp_eq_u32_e64 s0, 0, v14
	v_mad_co_u64_u32 v[19:20], null, s60, v7, 0
	v_lshlrev_b32_e32 v0, 2, v0
	v_mad_u32_u24 v52, 0x430, v14, v42
	v_mad_u32_u24 v71, 0x10c, v14, v42
	v_add_nc_u32_e32 v14, 0x8c, v26
	v_or_b32_e32 v22, 3, v21
	v_mad_u32_u24 v54, 0x10c, v18, v0
	v_mov_b32_e32 v0, v20
	v_mul_u32_u24_e32 v23, 33, v15
	v_cmp_gt_u32_e64 s6, v21, v15
	v_cmp_ge_u32_e64 s7, v21, v15
	v_add_nc_u32_e32 v72, v44, v21
	v_add_nc_u32_e32 v73, 0x11c0, v21
	v_lshl_add_u32 v47, v23, 2, v21
	v_mad_co_u64_u32 v[20:21], null, s61, v7, v[0:1]
	v_add_nc_u32_e32 v7, 0x84, v26
	s_add_co_i32 s17, ttmp9, 1
	s_ashr_i32 s19, s18, 31
	s_ashr_i32 s45, s44, 31
	s_lshl_b64 s[50:51], s[60:61], 5
	s_lshl_b64 s[52:53], s[60:61], 6
	v_cmp_gt_u32_e64 s10, 32, v17
	s_cmp_lt_u32 s17, s42
	v_mul_u32_u24_e32 v33, 0x10c, v18
	v_and_b32_e32 v34, 0x7ff0, v17
	v_cmp_gt_u32_e64 s17, 64, v17
	v_lshlrev_b64_e32 v[17:18], 2, v[5:6]
	v_mad_co_u64_u32 v[5:6], null, s60, v14, 0
	v_cmp_gt_u32_e64 s9, v22, v15
	v_mad_co_u64_u32 v[21:22], null, s60, v7, 0
	v_add_nc_u32_e32 v24, 0xc8, v26
	v_sub_co_u32 v74, vcc_lo, v19, v17
	v_mov_b32_e32 v0, v6
	s_wait_alu 0xfffd
	v_sub_co_ci_u32_e64 v75, null, v20, v18, vcc_lo
	v_mov_b32_e32 v6, v22
	v_mad_co_u64_u32 v[22:23], null, s60, v24, 0
	v_mad_co_u64_u32 v[19:20], null, s61, v14, v[0:1]
	s_delay_alu instid0(VALU_DEP_3) | instskip(SKIP_1) | instid1(VALU_DEP_4)
	v_mad_co_u64_u32 v[6:7], null, s61, v7, v[6:7]
	v_add_nc_u32_e32 v14, 0xcc, v26
	v_dual_mov_b32 v0, v23 :: v_dual_add_nc_u32 v27, 0xc0, v26
	v_sub_co_u32 v76, vcc_lo, v5, v17
	s_wait_alu 0xfffd
	v_sub_co_ci_u32_e64 v77, null, v19, v18, vcc_lo
	v_sub_co_u32 v78, vcc_lo, v21, v17
	v_mad_co_u64_u32 v[19:20], null, s60, v14, 0
	s_wait_alu 0xfffd
	v_sub_co_ci_u32_e64 v79, null, v6, v18, vcc_lo
	v_mad_co_u64_u32 v[5:6], null, s61, v24, v[0:1]
	v_mad_co_u64_u32 v[23:24], null, s60, v27, 0
	v_add_nc_u32_e32 v25, 0xc4, v26
	v_sub_co_u32 v80, vcc_lo, v22, v17
	v_mov_b32_e32 v0, v20
	s_wait_alu 0xfffd
	v_sub_co_ci_u32_e64 v81, null, v5, v18, vcc_lo
	v_mad_co_u64_u32 v[6:7], null, s60, v25, 0
	v_mov_b32_e32 v5, v24
	v_add_nc_u32_e32 v43, 0x11c0, v42
	v_mad_co_u64_u32 v[20:21], null, s61, v14, v[0:1]
	v_sub_co_u32 v82, vcc_lo, v19, v17
	v_dual_mov_b32 v0, v7 :: v_dual_add_nc_u32 v7, 0x108, v26
	v_add_nc_u32_e32 v14, 0x10c, v26
	v_add_nc_u32_e32 v28, 0x144, v26
	s_wait_alu 0xfffd
	v_sub_co_ci_u32_e64 v83, null, v20, v18, vcc_lo
	v_mad_co_u64_u32 v[19:20], null, s61, v25, v[0:1]
	v_mad_co_u64_u32 v[20:21], null, s60, v7, 0
	;; [unrolled: 1-line block ×3, first 2 shown]
	v_sub_co_u32 v84, vcc_lo, v6, v17
	v_mad_co_u64_u32 v[5:6], null, s60, v14, 0
	s_delay_alu instid0(VALU_DEP_4) | instskip(SKIP_3) | instid1(VALU_DEP_3)
	v_dual_mov_b32 v0, v21 :: v_dual_add_nc_u32 v51, 0x10c0, v26
	s_wait_alu 0xfffd
	v_sub_co_ci_u32_e64 v85, null, v19, v18, vcc_lo
	v_add_nc_u32_e32 v19, 0x104, v26
	v_mad_co_u64_u32 v[21:22], null, s61, v7, v[0:1]
	v_dual_mov_b32 v0, v6 :: v_dual_add_nc_u32 v25, 0x100, v26
	v_sub_co_u32 v86, vcc_lo, v23, v17
	s_delay_alu instid0(VALU_DEP_4) | instskip(NEXT) | instid1(VALU_DEP_3)
	v_mad_co_u64_u32 v[6:7], null, s60, v19, 0
	v_mad_co_u64_u32 v[22:23], null, s61, v14, v[0:1]
	s_wait_alu 0xfffd
	v_sub_co_ci_u32_e64 v87, null, v24, v18, vcc_lo
	v_mad_co_u64_u32 v[23:24], null, s60, v25, 0
	v_sub_co_u32 v88, vcc_lo, v20, v17
	v_dual_mov_b32 v0, v7 :: v_dual_add_nc_u32 v59, 16, v48
	s_wait_alu 0xfffd
	v_sub_co_ci_u32_e64 v89, null, v21, v18, vcc_lo
	v_sub_co_u32 v90, vcc_lo, v5, v17
	v_dual_mov_b32 v5, v24 :: v_dual_add_nc_u32 v14, 0x148, v26
	v_mad_co_u64_u32 v[19:20], null, s61, v19, v[0:1]
	s_wait_alu 0xfffd
	v_sub_co_ci_u32_e64 v91, null, v22, v18, vcc_lo
	s_delay_alu instid0(VALU_DEP_3) | instskip(SKIP_3) | instid1(VALU_DEP_3)
	v_mad_co_u64_u32 v[20:21], null, s61, v25, v[5:6]
	v_add_nc_u32_e32 v27, 0x14c, v26
	v_mad_co_u64_u32 v[21:22], null, s60, v14, 0
	v_sub_co_u32 v92, vcc_lo, v6, v17
	v_mad_co_u64_u32 v[24:25], null, s60, v27, 0
	v_mad_co_u64_u32 v[6:7], null, s60, v28, 0
	s_delay_alu instid0(VALU_DEP_4)
	v_dual_mov_b32 v0, v22 :: v_dual_add_nc_u32 v35, 0x140, v26
	s_wait_alu 0xfffd
	v_sub_co_ci_u32_e64 v93, null, v19, v18, vcc_lo
	v_sub_co_u32 v94, vcc_lo, v23, v17
	s_wait_alu 0xfffd
	v_sub_co_ci_u32_e64 v95, null, v20, v18, vcc_lo
	v_mov_b32_e32 v5, v25
	v_mad_co_u64_u32 v[19:20], null, s61, v14, v[0:1]
	v_mad_co_u64_u32 v[25:26], null, s60, v35, 0
	v_dual_mov_b32 v0, v7 :: v_dual_add_nc_u32 v61, 18, v48
	v_sub_co_u32 v96, vcc_lo, v21, v17
	v_add_nc_u32_e32 v63, 32, v48
	s_wait_alu 0xfffd
	v_sub_co_ci_u32_e64 v97, null, v19, v18, vcc_lo
	v_mad_co_u64_u32 v[19:20], null, s61, v28, v[0:1]
	v_mov_b32_e32 v0, v26
	v_mad_co_u64_u32 v[22:23], null, s61, v27, v[5:6]
	v_sub_co_u32 v98, vcc_lo, v24, v17
	s_delay_alu instid0(VALU_DEP_3) | instskip(SKIP_4) | instid1(VALU_DEP_4)
	v_mad_co_u64_u32 v[20:21], null, s61, v35, v[0:1]
	s_wait_alu 0xfffe
	s_mul_u64 s[56:57], s[40:41], s[18:19]
	v_lshlrev_b64_e32 v[23:24], 2, v[10:11]
	s_wait_alu 0xfffd
	v_sub_co_ci_u32_e64 v99, null, v22, v18, vcc_lo
	v_sub_co_u32 v100, vcc_lo, v6, v17
	s_wait_alu 0xfffd
	v_sub_co_ci_u32_e64 v101, null, v19, v18, vcc_lo
	v_sub_co_u32 v102, vcc_lo, v25, v17
	s_wait_alu 0xfffd
	v_sub_co_ci_u32_e64 v103, null, v20, v18, vcc_lo
	v_lshlrev_b64_e32 v[19:20], 2, v[3:4]
	v_lshlrev_b64_e32 v[21:22], 2, v[12:13]
	;; [unrolled: 1-line block ×4, first 2 shown]
	v_cmp_gt_i32_e64 s1, s44, v15
	v_add_nc_u32_e32 v50, 0x10c0, v42
	v_or_b32_e32 v56, 1, v48
	v_or_b32_e32 v57, 2, v48
	;; [unrolled: 1-line block ×3, first 2 shown]
	v_add_nc_u32_e32 v60, 17, v48
	v_add_nc_u32_e32 v62, 19, v48
	;; [unrolled: 1-line block ×10, first 2 shown]
	v_lshlrev_b32_e32 v105, 2, v15
	v_add_nc_u32_e32 v106, v29, v31
	v_add_nc_u32_e32 v107, v29, v32
	;; [unrolled: 1-line block ×3, first 2 shown]
	s_mul_u64 s[62:63], s[60:61], s[18:19]
	s_sub_nc_u64 s[64:65], 0, s[56:57]
	s_mul_u64 s[54:55], s[60:61], 0x60
	s_cselect_b32 s43, -1, 0
	s_add_co_i32 s73, s42, -2
	s_and_b32 s74, s0, s72
	s_sub_nc_u64 s[56:57], 0, s[44:45]
	s_add_co_i32 s75, s18, 64
	s_lshl_b64 s[58:59], s[60:61], 8
	s_lshl_b64 s[30:31], s[30:31], 2
	;; [unrolled: 1-line block ×6, first 2 shown]
	s_branch .LBB135_4
.LBB135_2:                              ;   in Loop: Header=BB135_4 Depth=1
	s_wait_alu 0xfffe
	s_or_b32 exec_lo, exec_lo, s18
.LBB135_3:                              ;   in Loop: Header=BB135_4 Depth=1
	s_add_co_i32 s34, s34, 0x10000
	s_delay_alu instid0(SALU_CYCLE_1)
	s_cmp_lt_u32 s34, s33
	s_cbranch_scc0 .LBB135_131
.LBB135_4:                              ; =>This Loop Header: Depth=1
                                        ;     Child Loop BB135_71 Depth 2
	s_mul_u64 s[18:19], s[22:23], s[34:35]
	s_mul_u64 s[66:67], s[38:39], s[34:35]
	s_wait_alu 0xfffe
	s_lshl_b64 s[18:19], s[18:19], 2
	s_lshl_b64 s[66:67], s[66:67], 2
	s_wait_alu 0xfffe
	s_add_nc_u64 s[18:19], s[20:21], s[18:19]
	s_add_nc_u64 s[66:67], s[36:37], s[66:67]
	s_clause 0x1
	global_load_b32 v0, v16, s[18:19]
	global_load_b32 v1, v16, s[66:67]
	s_wait_loadcnt 0x1
	v_cmp_eq_f32_e64 s18, 0, v0
	s_wait_loadcnt 0x0
	v_cmp_eq_f32_e32 vcc_lo, 1.0, v1
	s_wait_alu 0xfffe
	s_and_b32 s19, s18, vcc_lo
	s_wait_alu 0xfffe
	s_and_b32 vcc_lo, exec_lo, s19
	s_wait_alu 0xfffe
	s_cbranch_vccnz .LBB135_3
; %bb.5:                                ;   in Loop: Header=BB135_4 Depth=1
	s_and_b32 vcc_lo, exec_lo, s18
	s_wait_alu 0xfffe
	s_cbranch_vccz .LBB135_7
; %bb.6:                                ;   in Loop: Header=BB135_4 Depth=1
	s_cbranch_execnz .LBB135_3
	s_branch .LBB135_8
.LBB135_7:                              ;   in Loop: Header=BB135_4 Depth=1
.LBB135_8:                              ;   in Loop: Header=BB135_4 Depth=1
	s_lshl_b64 s[18:19], s[34:35], 3
	s_wait_alu 0xfffe
	s_add_nc_u64 s[66:67], s[28:29], s[18:19]
	s_add_nc_u64 s[18:19], s[24:25], s[18:19]
	s_clause 0x1
	global_load_b64 v[2:3], v16, s[66:67]
	global_load_b64 v[0:1], v16, s[18:19]
	s_wait_loadcnt 0x1
	v_add_co_u32 v2, vcc_lo, v2, s30
	s_wait_alu 0xfffd
	v_add_co_ci_u32_e64 v3, null, s31, v3, vcc_lo
	s_delay_alu instid0(VALU_DEP_2) | instskip(SKIP_1) | instid1(VALU_DEP_2)
	v_add_co_u32 v4, vcc_lo, v2, v19
	s_wait_alu 0xfffd
	v_add_co_ci_u32_e64 v5, null, v3, v20, vcc_lo
	s_and_saveexec_b32 s18, s0
	s_cbranch_execz .LBB135_12
; %bb.9:                                ;   in Loop: Header=BB135_4 Depth=1
	v_mov_b32_e32 v2, 0
	s_and_saveexec_b32 s19, s72
	s_cbranch_execz .LBB135_11
; %bb.10:                               ;   in Loop: Header=BB135_4 Depth=1
	flat_load_b32 v2, v[4:5]
.LBB135_11:                             ;   in Loop: Header=BB135_4 Depth=1
	s_wait_alu 0xfffe
	s_or_b32 exec_lo, exec_lo, s19
	s_wait_loadcnt_dscnt 0x0
	ds_store_b32 v43, v2
.LBB135_12:                             ;   in Loop: Header=BB135_4 Depth=1
	s_wait_alu 0xfffe
	s_or_b32 exec_lo, exec_lo, s18
	s_wait_loadcnt 0x0
	v_add_co_u32 v0, vcc_lo, v0, s26
	s_wait_alu 0xfffd
	v_add_co_ci_u32_e64 v1, null, s27, v1, vcc_lo
	s_mov_b32 s18, -1
	v_add_co_u32 v0, vcc_lo, v0, s60
	s_wait_alu 0xfffd
	v_add_co_ci_u32_e64 v1, null, s61, v1, vcc_lo
                                        ; implicit-def: $vgpr2_vgpr3
	s_delay_alu instid0(VALU_DEP_2) | instskip(SKIP_1) | instid1(VALU_DEP_2)
	v_add_co_u32 v0, vcc_lo, v0, v17
	s_wait_alu 0xfffd
	v_add_co_ci_u32_e64 v1, null, v1, v18, vcc_lo
	s_delay_alu instid0(VALU_DEP_2) | instskip(SKIP_1) | instid1(VALU_DEP_2)
	v_add_co_u32 v0, vcc_lo, v0, s62
	s_wait_alu 0xfffd
	v_add_co_ci_u32_e64 v1, null, s63, v1, vcc_lo
	s_and_b32 vcc_lo, exec_lo, s71
	s_wait_alu 0xfffe
	s_cbranch_vccz .LBB135_22
; %bb.13:                               ;   in Loop: Header=BB135_4 Depth=1
	v_add_co_u32 v2, vcc_lo, v0, v27
	s_wait_alu 0xfffd
	v_add_co_ci_u32_e64 v3, null, v1, v28, vcc_lo
	s_lshl_b64 s[18:19], s[44:45], 2
	v_dual_mov_b32 v7, 0 :: v_dual_mov_b32 v6, 0
	s_wait_alu 0xfffe
	v_add_co_u32 v2, vcc_lo, v2, s18
	s_wait_alu 0xfffd
	v_add_co_ci_u32_e64 v3, null, s19, v3, vcc_lo
	s_delay_alu instid0(VALU_DEP_2) | instskip(SKIP_1) | instid1(VALU_DEP_2)
	v_add_co_u32 v2, vcc_lo, v2, -4
	s_wait_alu 0xfffd
	v_add_co_ci_u32_e64 v3, null, -1, v3, vcc_lo
	s_delay_alu instid0(VALU_DEP_2) | instskip(NEXT) | instid1(VALU_DEP_2)
	v_cndmask_b32_e64 v2, v2, v0, s1
	v_cndmask_b32_e64 v3, v3, v1, s1
	s_and_saveexec_b32 s18, s2
	s_cbranch_execz .LBB135_15
; %bb.14:                               ;   in Loop: Header=BB135_4 Depth=1
	flat_load_b32 v6, v[2:3]
.LBB135_15:                             ;   in Loop: Header=BB135_4 Depth=1
	s_wait_alu 0xfffe
	s_or_b32 exec_lo, exec_lo, s18
	s_wait_loadcnt_dscnt 0x0
	ds_store_b32 v104, v6
	s_and_saveexec_b32 s18, s3
	s_cbranch_execz .LBB135_17
; %bb.16:                               ;   in Loop: Header=BB135_4 Depth=1
	v_add_co_u32 v6, vcc_lo, v2, s50
	s_wait_alu 0xfffd
	v_add_co_ci_u32_e64 v7, null, s51, v3, vcc_lo
	flat_load_b32 v7, v[6:7]
.LBB135_17:                             ;   in Loop: Header=BB135_4 Depth=1
	s_wait_alu 0xfffe
	s_or_b32 exec_lo, exec_lo, s18
	v_mov_b32_e32 v6, 0
	v_mov_b32_e32 v8, 0
	s_wait_loadcnt_dscnt 0x0
	ds_store_b32 v104, v7 offset:1056
	s_and_saveexec_b32 s18, s4
	s_cbranch_execz .LBB135_19
; %bb.18:                               ;   in Loop: Header=BB135_4 Depth=1
	v_add_co_u32 v7, vcc_lo, v2, s52
	s_wait_alu 0xfffd
	v_add_co_ci_u32_e64 v8, null, s53, v3, vcc_lo
	flat_load_b32 v8, v[7:8]
.LBB135_19:                             ;   in Loop: Header=BB135_4 Depth=1
	s_wait_alu 0xfffe
	s_or_b32 exec_lo, exec_lo, s18
	s_wait_loadcnt_dscnt 0x0
	ds_store_b32 v104, v8 offset:2112
	s_and_saveexec_b32 s18, s5
	s_cbranch_execz .LBB135_21
; %bb.20:                               ;   in Loop: Header=BB135_4 Depth=1
	v_add_co_u32 v6, vcc_lo, v2, s54
	s_wait_alu 0xfffd
	v_add_co_ci_u32_e64 v7, null, s55, v3, vcc_lo
	flat_load_b32 v6, v[6:7]
.LBB135_21:                             ;   in Loop: Header=BB135_4 Depth=1
	s_wait_alu 0xfffe
	s_or_b32 exec_lo, exec_lo, s18
	v_add_co_u32 v2, vcc_lo, v2, v105
	s_wait_alu 0xfffd
	v_add_co_ci_u32_e64 v3, null, 0, v3, vcc_lo
	s_lshl_b64 s[18:19], s[56:57], 2
	s_wait_loadcnt_dscnt 0x0
	ds_store_b32 v104, v6 offset:3168
	s_wait_alu 0xfffe
	v_add_co_u32 v2, vcc_lo, v2, s18
	s_wait_alu 0xfffd
	v_add_co_ci_u32_e64 v3, null, s19, v3, vcc_lo
	s_mov_b32 s18, 0
	v_add_co_u32 v2, vcc_lo, v2, 4
	s_wait_alu 0xfffd
	v_add_co_ci_u32_e64 v3, null, 0, v3, vcc_lo
	s_delay_alu instid0(VALU_DEP_2) | instskip(NEXT) | instid1(VALU_DEP_2)
	v_cndmask_b32_e64 v2, v2, v0, s1
	v_cndmask_b32_e64 v3, v3, v1, s1
.LBB135_22:                             ;   in Loop: Header=BB135_4 Depth=1
	s_wait_alu 0xfffe
	s_and_b32 vcc_lo, exec_lo, s18
	s_wait_alu 0xfffe
	s_cbranch_vccz .LBB135_24
; %bb.23:                               ;   in Loop: Header=BB135_4 Depth=1
	v_add_co_u32 v2, vcc_lo, v0, s50
	s_wait_alu 0xfffd
	v_add_co_ci_u32_e64 v3, null, s51, v1, vcc_lo
	s_delay_alu instid0(VALU_DEP_2) | instskip(SKIP_1) | instid1(VALU_DEP_2)
	v_add_co_u32 v6, vcc_lo, v2, s50
	s_wait_alu 0xfffd
	v_add_co_ci_u32_e64 v7, null, s51, v3, vcc_lo
	s_delay_alu instid0(VALU_DEP_2) | instskip(SKIP_1) | instid1(VALU_DEP_2)
	v_add_co_u32 v8, vcc_lo, v6, s50
	s_wait_alu 0xfffd
	v_add_co_ci_u32_e64 v9, null, s51, v7, vcc_lo
	s_clause 0x3
	flat_load_b32 v10, v[0:1]
	flat_load_b32 v11, v[2:3]
	;; [unrolled: 1-line block ×4, first 2 shown]
	v_dual_mov_b32 v3, v1 :: v_dual_mov_b32 v2, v0
	s_wait_loadcnt_dscnt 0x303
	ds_store_b32 v104, v10
	s_wait_loadcnt_dscnt 0x203
	ds_store_b32 v104, v11 offset:1056
	s_wait_loadcnt_dscnt 0x103
	ds_store_b32 v104, v6 offset:2112
	;; [unrolled: 2-line block ×3, first 2 shown]
.LBB135_24:                             ;   in Loop: Header=BB135_4 Depth=1
	s_wait_dscnt 0x0
	s_barrier_signal -1
	s_barrier_wait -1
	global_inv scope:SCOPE_SE
	s_and_saveexec_b32 s18, s6
	s_cbranch_execnz .LBB135_125
; %bb.25:                               ;   in Loop: Header=BB135_4 Depth=1
	s_wait_alu 0xfffe
	s_or_b32 exec_lo, exec_lo, s18
	s_and_saveexec_b32 s18, s7
	s_cbranch_execnz .LBB135_126
.LBB135_26:                             ;   in Loop: Header=BB135_4 Depth=1
	s_wait_alu 0xfffe
	s_or_b32 exec_lo, exec_lo, s18
	s_and_saveexec_b32 s18, s8
	s_cbranch_execnz .LBB135_127
.LBB135_27:                             ;   in Loop: Header=BB135_4 Depth=1
	s_wait_alu 0xfffe
	s_or_b32 exec_lo, exec_lo, s18
	s_and_saveexec_b32 s18, s9
	s_cbranch_execz .LBB135_29
.LBB135_28:                             ;   in Loop: Header=BB135_4 Depth=1
	ds_load_b32 v0, v107 offset:264
	s_wait_dscnt 0x0
	ds_store_b32 v45, v0 offset:12
.LBB135_29:                             ;   in Loop: Header=BB135_4 Depth=1
	s_wait_alu 0xfffe
	s_or_b32 exec_lo, exec_lo, s18
	s_wait_loadcnt_dscnt 0x0
	s_barrier_signal -1
	s_barrier_wait -1
	global_inv scope:SCOPE_SE
	ds_load_b32 v10, v106
	ds_load_b128 v[6:9], v46
	ds_load_2addr_b32 v[0:1], v107 offset1:33
	ds_load_b32 v11, v107 offset:264
	s_wait_loadcnt_dscnt 0x0
	s_barrier_signal -1
	s_barrier_wait -1
	global_inv scope:SCOPE_SE
	v_mov_b32_e32 v109, 0
	v_fma_f32 v6, v10, v6, 0
	s_delay_alu instid0(VALU_DEP_1) | instskip(NEXT) | instid1(VALU_DEP_1)
	v_fmac_f32_e32 v6, v0, v7
	v_fmac_f32_e32 v6, v1, v8
	s_delay_alu instid0(VALU_DEP_1)
	v_fmac_f32_e32 v6, v11, v9
	ds_store_b32 v47, v6
	s_wait_loadcnt_dscnt 0x0
	s_barrier_signal -1
	s_barrier_wait -1
	global_inv scope:SCOPE_SE
	s_and_saveexec_b32 s18, s10
	s_cbranch_execz .LBB135_31
; %bb.30:                               ;   in Loop: Header=BB135_4 Depth=1
	ds_load_2addr_b32 v[0:1], v44 offset1:1
	ds_load_2addr_b32 v[6:7], v44 offset0:2 offset1:3
	ds_load_2addr_b32 v[8:9], v44 offset0:4 offset1:5
	;; [unrolled: 1-line block ×3, first 2 shown]
	s_wait_dscnt 0x3
	v_add_f32_e32 v0, v0, v1
	s_wait_dscnt 0x2
	s_delay_alu instid0(VALU_DEP_1) | instskip(NEXT) | instid1(VALU_DEP_1)
	v_add_f32_e32 v0, v0, v6
	v_add_f32_e32 v0, v0, v7
	s_wait_dscnt 0x1
	s_delay_alu instid0(VALU_DEP_1) | instskip(NEXT) | instid1(VALU_DEP_1)
	v_add_f32_e32 v0, v0, v8
	v_add_f32_e32 v0, v0, v9
	s_wait_dscnt 0x0
	s_delay_alu instid0(VALU_DEP_1) | instskip(NEXT) | instid1(VALU_DEP_1)
	v_add_f32_e32 v0, v0, v10
	v_add_f32_e32 v109, v0, v11
.LBB135_31:                             ;   in Loop: Header=BB135_4 Depth=1
	s_wait_alu 0xfffe
	s_or_b32 exec_lo, exec_lo, s18
	s_lshl_b64 s[18:19], s[50:51], 2
	s_mov_b32 s66, -1
	s_wait_alu 0xfffe
	v_add_co_u32 v6, vcc_lo, v2, s18
	s_wait_alu 0xfffd
	v_add_co_ci_u32_e64 v7, null, s19, v3, vcc_lo
	s_wait_loadcnt 0x0
	s_delay_alu instid0(VALU_DEP_2) | instskip(SKIP_1) | instid1(VALU_DEP_2)
	v_add_co_u32 v2, vcc_lo, 0x80, v6
	s_wait_alu 0xfffd
	v_add_co_ci_u32_e64 v3, null, 0, v7, vcc_lo
	s_and_b32 vcc_lo, exec_lo, s71
	s_barrier_signal -1
	s_barrier_wait -1
	global_inv scope:SCOPE_SE
                                        ; implicit-def: $vgpr0_vgpr1
	s_wait_alu 0xfffe
	s_cbranch_vccz .LBB135_41
; %bb.32:                               ;   in Loop: Header=BB135_4 Depth=1
	v_add_co_u32 v0, vcc_lo, v6, v27
	s_wait_alu 0xfffd
	v_add_co_ci_u32_e64 v1, null, v7, v28, vcc_lo
	s_lshl_b64 s[66:67], s[44:45], 2
	v_dual_mov_b32 v9, 0 :: v_dual_mov_b32 v8, 0
	s_wait_alu 0xfffe
	v_add_co_u32 v0, vcc_lo, v0, s66
	s_wait_alu 0xfffd
	v_add_co_ci_u32_e64 v1, null, s67, v1, vcc_lo
	s_delay_alu instid0(VALU_DEP_2) | instskip(SKIP_1) | instid1(VALU_DEP_2)
	v_add_co_u32 v0, vcc_lo, v0, -4
	s_wait_alu 0xfffd
	v_add_co_ci_u32_e64 v1, null, -1, v1, vcc_lo
	s_delay_alu instid0(VALU_DEP_2) | instskip(NEXT) | instid1(VALU_DEP_2)
	v_cndmask_b32_e64 v0, v0, v2, s11
	v_cndmask_b32_e64 v1, v1, v3, s11
	s_and_saveexec_b32 s66, s12
	s_cbranch_execz .LBB135_34
; %bb.33:                               ;   in Loop: Header=BB135_4 Depth=1
	flat_load_b32 v8, v[0:1]
.LBB135_34:                             ;   in Loop: Header=BB135_4 Depth=1
	s_wait_alu 0xfffe
	s_or_b32 exec_lo, exec_lo, s66
	s_wait_loadcnt_dscnt 0x0
	ds_store_b32 v104, v8
	s_and_saveexec_b32 s66, s13
	s_cbranch_execz .LBB135_36
; %bb.35:                               ;   in Loop: Header=BB135_4 Depth=1
	v_add_co_u32 v8, vcc_lo, v0, s50
	s_wait_alu 0xfffd
	v_add_co_ci_u32_e64 v9, null, s51, v1, vcc_lo
	flat_load_b32 v9, v[8:9]
.LBB135_36:                             ;   in Loop: Header=BB135_4 Depth=1
	s_wait_alu 0xfffe
	s_or_b32 exec_lo, exec_lo, s66
	v_mov_b32_e32 v8, 0
	v_mov_b32_e32 v10, 0
	s_wait_loadcnt_dscnt 0x0
	ds_store_b32 v104, v9 offset:1056
	s_and_saveexec_b32 s66, s14
	s_cbranch_execz .LBB135_38
; %bb.37:                               ;   in Loop: Header=BB135_4 Depth=1
	v_add_co_u32 v9, vcc_lo, v0, s52
	s_wait_alu 0xfffd
	v_add_co_ci_u32_e64 v10, null, s53, v1, vcc_lo
	flat_load_b32 v10, v[9:10]
.LBB135_38:                             ;   in Loop: Header=BB135_4 Depth=1
	s_wait_alu 0xfffe
	s_or_b32 exec_lo, exec_lo, s66
	s_wait_loadcnt_dscnt 0x0
	ds_store_b32 v104, v10 offset:2112
	s_and_saveexec_b32 s66, s15
	s_cbranch_execz .LBB135_40
; %bb.39:                               ;   in Loop: Header=BB135_4 Depth=1
	v_add_co_u32 v8, vcc_lo, v0, s54
	s_wait_alu 0xfffd
	v_add_co_ci_u32_e64 v9, null, s55, v1, vcc_lo
	flat_load_b32 v8, v[8:9]
.LBB135_40:                             ;   in Loop: Header=BB135_4 Depth=1
	s_wait_alu 0xfffe
	s_or_b32 exec_lo, exec_lo, s66
	v_add_co_u32 v0, vcc_lo, v0, v105
	s_wait_alu 0xfffd
	v_add_co_ci_u32_e64 v1, null, 0, v1, vcc_lo
	s_lshl_b64 s[66:67], s[56:57], 2
	s_wait_loadcnt_dscnt 0x0
	ds_store_b32 v104, v8 offset:3168
	s_wait_alu 0xfffe
	v_add_co_u32 v0, vcc_lo, v0, s66
	s_wait_alu 0xfffd
	v_add_co_ci_u32_e64 v1, null, s67, v1, vcc_lo
	s_mov_b32 s66, 0
	v_add_co_u32 v0, vcc_lo, 0x84, v0
	s_wait_alu 0xfffd
	v_add_co_ci_u32_e64 v1, null, 0, v1, vcc_lo
	s_delay_alu instid0(VALU_DEP_2) | instskip(NEXT) | instid1(VALU_DEP_2)
	v_cndmask_b32_e64 v0, v0, v2, s11
	v_cndmask_b32_e64 v1, v1, v3, s11
.LBB135_41:                             ;   in Loop: Header=BB135_4 Depth=1
	s_wait_alu 0xfffe
	s_and_b32 vcc_lo, exec_lo, s66
	s_wait_alu 0xfffe
	s_cbranch_vccz .LBB135_43
; %bb.42:                               ;   in Loop: Header=BB135_4 Depth=1
	v_add_co_u32 v0, vcc_lo, v6, s50
	s_wait_alu 0xfffd
	v_add_co_ci_u32_e64 v1, null, s51, v7, vcc_lo
	s_delay_alu instid0(VALU_DEP_2) | instskip(SKIP_1) | instid1(VALU_DEP_2)
	v_add_co_u32 v8, vcc_lo, v0, s50
	s_wait_alu 0xfffd
	v_add_co_ci_u32_e64 v9, null, s51, v1, vcc_lo
	s_delay_alu instid0(VALU_DEP_2) | instskip(SKIP_1) | instid1(VALU_DEP_2)
	v_add_co_u32 v10, vcc_lo, v8, s50
	s_wait_alu 0xfffd
	v_add_co_ci_u32_e64 v11, null, s51, v9, vcc_lo
	s_clause 0x3
	flat_load_b32 v6, v[6:7] offset:128
	flat_load_b32 v7, v[0:1] offset:128
	;; [unrolled: 1-line block ×4, first 2 shown]
	v_dual_mov_b32 v0, v2 :: v_dual_mov_b32 v1, v3
	s_wait_loadcnt_dscnt 0x303
	ds_store_b32 v104, v6
	s_wait_loadcnt_dscnt 0x203
	ds_store_b32 v104, v7 offset:1056
	s_wait_loadcnt_dscnt 0x103
	ds_store_b32 v104, v8 offset:2112
	;; [unrolled: 2-line block ×3, first 2 shown]
.LBB135_43:                             ;   in Loop: Header=BB135_4 Depth=1
	s_wait_loadcnt_dscnt 0x0
	s_barrier_signal -1
	s_barrier_wait -1
	global_inv scope:SCOPE_SE
	s_and_saveexec_b32 s66, s6
	s_cbranch_execnz .LBB135_128
; %bb.44:                               ;   in Loop: Header=BB135_4 Depth=1
	s_wait_alu 0xfffe
	s_or_b32 exec_lo, exec_lo, s66
	s_and_saveexec_b32 s66, s7
	s_cbranch_execnz .LBB135_129
.LBB135_45:                             ;   in Loop: Header=BB135_4 Depth=1
	s_wait_alu 0xfffe
	s_or_b32 exec_lo, exec_lo, s66
	s_and_saveexec_b32 s66, s8
	s_cbranch_execnz .LBB135_130
.LBB135_46:                             ;   in Loop: Header=BB135_4 Depth=1
	s_wait_alu 0xfffe
	s_or_b32 exec_lo, exec_lo, s66
	s_and_saveexec_b32 s66, s9
	s_cbranch_execz .LBB135_48
.LBB135_47:                             ;   in Loop: Header=BB135_4 Depth=1
	ds_load_b32 v2, v107 offset:264
	s_wait_dscnt 0x0
	ds_store_b32 v45, v2 offset:12
.LBB135_48:                             ;   in Loop: Header=BB135_4 Depth=1
	s_wait_alu 0xfffe
	s_or_b32 exec_lo, exec_lo, s66
	s_wait_loadcnt_dscnt 0x0
	s_barrier_signal -1
	s_barrier_wait -1
	global_inv scope:SCOPE_SE
	ds_load_b32 v10, v106
	ds_load_b128 v[6:9], v46 offset:128
	ds_load_2addr_b32 v[2:3], v107 offset1:33
	ds_load_b32 v11, v107 offset:264
	s_wait_loadcnt_dscnt 0x0
	s_barrier_signal -1
	s_barrier_wait -1
	global_inv scope:SCOPE_SE
	v_fma_f32 v6, v10, v6, 0
	s_delay_alu instid0(VALU_DEP_1) | instskip(NEXT) | instid1(VALU_DEP_1)
	v_fmac_f32_e32 v6, v2, v7
	v_fmac_f32_e32 v6, v3, v8
	s_delay_alu instid0(VALU_DEP_1)
	v_fmac_f32_e32 v6, v11, v9
	ds_store_b32 v47, v6
	s_wait_loadcnt_dscnt 0x0
	s_barrier_signal -1
	s_barrier_wait -1
	global_inv scope:SCOPE_SE
	s_and_saveexec_b32 s66, s16
	s_cbranch_execz .LBB135_50
; %bb.49:                               ;   in Loop: Header=BB135_4 Depth=1
	ds_load_2addr_b32 v[2:3], v44 offset1:1
	ds_load_2addr_b32 v[6:7], v44 offset0:2 offset1:3
	ds_load_2addr_b32 v[8:9], v44 offset0:4 offset1:5
	;; [unrolled: 1-line block ×3, first 2 shown]
	s_wait_dscnt 0x3
	v_add_f32_e32 v2, v2, v3
	s_wait_dscnt 0x2
	s_delay_alu instid0(VALU_DEP_1) | instskip(NEXT) | instid1(VALU_DEP_1)
	v_add_f32_e32 v2, v2, v6
	v_add_f32_e32 v2, v2, v7
	s_wait_dscnt 0x1
	s_delay_alu instid0(VALU_DEP_1) | instskip(NEXT) | instid1(VALU_DEP_1)
	v_add_f32_e32 v2, v2, v8
	;; [unrolled: 4-line block ×3, first 2 shown]
	v_add_f32_e32 v109, v2, v11
.LBB135_50:                             ;   in Loop: Header=BB135_4 Depth=1
	s_wait_alu 0xfffe
	s_or_b32 exec_lo, exec_lo, s66
	v_add_co_u32 v2, vcc_lo, 0xffffff80, v0
	s_wait_alu 0xfffd
	v_add_co_ci_u32_e64 v3, null, -1, v1, vcc_lo
	s_and_b32 vcc_lo, exec_lo, s71
	s_mov_b32 s66, -1
	s_wait_loadcnt 0x0
	s_barrier_signal -1
	s_barrier_wait -1
	global_inv scope:SCOPE_SE
                                        ; implicit-def: $vgpr6_vgpr7
	s_wait_alu 0xfffe
	s_cbranch_vccz .LBB135_60
; %bb.51:                               ;   in Loop: Header=BB135_4 Depth=1
	v_add_co_u32 v6, vcc_lo, v0, v27
	s_wait_alu 0xfffd
	v_add_co_ci_u32_e64 v7, null, v1, v28, vcc_lo
	s_lshl_b64 s[66:67], s[44:45], 2
	v_dual_mov_b32 v9, 0 :: v_dual_mov_b32 v8, 0
	s_wait_alu 0xfffe
	v_add_co_u32 v6, vcc_lo, v6, s66
	s_wait_alu 0xfffd
	v_add_co_ci_u32_e64 v7, null, s67, v7, vcc_lo
	s_delay_alu instid0(VALU_DEP_2) | instskip(SKIP_1) | instid1(VALU_DEP_2)
	v_add_co_u32 v6, vcc_lo, 0xffffff7c, v6
	s_wait_alu 0xfffd
	v_add_co_ci_u32_e64 v7, null, -1, v7, vcc_lo
	s_delay_alu instid0(VALU_DEP_2) | instskip(NEXT) | instid1(VALU_DEP_2)
	v_cndmask_b32_e64 v6, v6, v2, s1
	v_cndmask_b32_e64 v7, v7, v3, s1
	s_and_saveexec_b32 s66, s12
	s_cbranch_execz .LBB135_53
; %bb.52:                               ;   in Loop: Header=BB135_4 Depth=1
	flat_load_b32 v8, v[6:7]
.LBB135_53:                             ;   in Loop: Header=BB135_4 Depth=1
	s_wait_alu 0xfffe
	s_or_b32 exec_lo, exec_lo, s66
	s_wait_loadcnt_dscnt 0x0
	ds_store_b32 v104, v8
	s_and_saveexec_b32 s66, s13
	s_cbranch_execz .LBB135_55
; %bb.54:                               ;   in Loop: Header=BB135_4 Depth=1
	v_add_co_u32 v8, vcc_lo, v6, s50
	s_wait_alu 0xfffd
	v_add_co_ci_u32_e64 v9, null, s51, v7, vcc_lo
	flat_load_b32 v9, v[8:9]
.LBB135_55:                             ;   in Loop: Header=BB135_4 Depth=1
	s_wait_alu 0xfffe
	s_or_b32 exec_lo, exec_lo, s66
	v_mov_b32_e32 v8, 0
	v_mov_b32_e32 v10, 0
	s_wait_loadcnt_dscnt 0x0
	ds_store_b32 v104, v9 offset:1056
	s_and_saveexec_b32 s66, s14
	s_cbranch_execz .LBB135_57
; %bb.56:                               ;   in Loop: Header=BB135_4 Depth=1
	v_add_co_u32 v9, vcc_lo, v6, s52
	s_wait_alu 0xfffd
	v_add_co_ci_u32_e64 v10, null, s53, v7, vcc_lo
	flat_load_b32 v10, v[9:10]
.LBB135_57:                             ;   in Loop: Header=BB135_4 Depth=1
	s_wait_alu 0xfffe
	s_or_b32 exec_lo, exec_lo, s66
	s_wait_loadcnt_dscnt 0x0
	ds_store_b32 v104, v10 offset:2112
	s_and_saveexec_b32 s66, s15
	s_cbranch_execz .LBB135_59
; %bb.58:                               ;   in Loop: Header=BB135_4 Depth=1
	v_add_co_u32 v8, vcc_lo, v6, s54
	s_wait_alu 0xfffd
	v_add_co_ci_u32_e64 v9, null, s55, v7, vcc_lo
	flat_load_b32 v8, v[8:9]
.LBB135_59:                             ;   in Loop: Header=BB135_4 Depth=1
	s_wait_alu 0xfffe
	s_or_b32 exec_lo, exec_lo, s66
	v_add_co_u32 v6, vcc_lo, v6, v105
	s_wait_alu 0xfffd
	v_add_co_ci_u32_e64 v7, null, 0, v7, vcc_lo
	s_lshl_b64 s[66:67], s[56:57], 2
	s_wait_loadcnt_dscnt 0x0
	ds_store_b32 v104, v8 offset:3168
	s_wait_alu 0xfffe
	v_add_co_u32 v6, vcc_lo, v6, s66
	s_wait_alu 0xfffd
	v_add_co_ci_u32_e64 v7, null, s67, v7, vcc_lo
	s_mov_b32 s66, 0
	v_add_co_u32 v6, vcc_lo, v6, 4
	s_wait_alu 0xfffd
	v_add_co_ci_u32_e64 v7, null, 0, v7, vcc_lo
	s_delay_alu instid0(VALU_DEP_2) | instskip(NEXT) | instid1(VALU_DEP_2)
	v_cndmask_b32_e64 v6, v6, v2, s1
	v_cndmask_b32_e64 v7, v7, v3, s1
.LBB135_60:                             ;   in Loop: Header=BB135_4 Depth=1
	s_wait_alu 0xfffe
	s_and_b32 vcc_lo, exec_lo, s66
	s_wait_alu 0xfffe
	s_cbranch_vccz .LBB135_62
; %bb.61:                               ;   in Loop: Header=BB135_4 Depth=1
	v_add_co_u32 v6, vcc_lo, v0, s50
	s_wait_alu 0xfffd
	v_add_co_ci_u32_e64 v7, null, s51, v1, vcc_lo
	s_delay_alu instid0(VALU_DEP_2) | instskip(SKIP_1) | instid1(VALU_DEP_2)
	v_add_co_u32 v8, vcc_lo, v6, s50
	s_wait_alu 0xfffd
	v_add_co_ci_u32_e64 v9, null, s51, v7, vcc_lo
	s_delay_alu instid0(VALU_DEP_2) | instskip(SKIP_1) | instid1(VALU_DEP_2)
	v_add_co_u32 v10, vcc_lo, v8, s50
	s_wait_alu 0xfffd
	v_add_co_ci_u32_e64 v11, null, s51, v9, vcc_lo
	s_clause 0x3
	flat_load_b32 v0, v[0:1] offset:-128
	flat_load_b32 v1, v[6:7] offset:-128
	;; [unrolled: 1-line block ×4, first 2 shown]
	v_dual_mov_b32 v7, v3 :: v_dual_mov_b32 v6, v2
	s_wait_loadcnt_dscnt 0x303
	ds_store_b32 v104, v0
	s_wait_loadcnt_dscnt 0x203
	ds_store_b32 v104, v1 offset:1056
	s_wait_loadcnt_dscnt 0x103
	ds_store_b32 v104, v8 offset:2112
	;; [unrolled: 2-line block ×3, first 2 shown]
.LBB135_62:                             ;   in Loop: Header=BB135_4 Depth=1
	v_add_nc_u32_e32 v0, v45, v49
	v_add_nc_u32_e32 v1, v46, v49
	s_wait_loadcnt_dscnt 0x0
	s_barrier_signal -1
	s_barrier_wait -1
	global_inv scope:SCOPE_SE
	ds_load_b32 v0, v0
	ds_load_b32 v1, v1
	ds_load_2addr_b32 v[12:13], v72 offset0:8 offset1:16
	ds_load_2addr_b32 v[14:15], v73 offset0:8 offset1:16
	ds_load_b32 v29, v72 offset:96
	ds_load_b32 v30, v73 offset:96
	;; [unrolled: 1-line block ×3, first 2 shown]
	s_wait_dscnt 0x5
	v_fma_f32 v31, v0, v1, 0
	ds_load_b32 v11, v106
	ds_load_2addr_b32 v[8:9], v107 offset1:33
	ds_load_b128 v[0:3], v46 offset:128
	s_wait_loadcnt_dscnt 0x0
	s_barrier_signal -1
	s_barrier_wait -1
	v_fmac_f32_e32 v31, v12, v14
	global_inv scope:SCOPE_SE
	v_fmac_f32_e32 v31, v13, v15
	s_delay_alu instid0(VALU_DEP_1)
	v_fmac_f32_e32 v31, v29, v30
	ds_store_b32 v47, v31
	s_wait_loadcnt_dscnt 0x0
	s_barrier_signal -1
	s_barrier_wait -1
	global_inv scope:SCOPE_SE
	s_and_saveexec_b32 s66, s16
	s_cbranch_execz .LBB135_64
; %bb.63:                               ;   in Loop: Header=BB135_4 Depth=1
	ds_load_2addr_b32 v[12:13], v44 offset1:1
	ds_load_2addr_b32 v[14:15], v44 offset0:2 offset1:3
	ds_load_2addr_b32 v[29:30], v44 offset0:4 offset1:5
	ds_load_2addr_b32 v[31:32], v44 offset0:6 offset1:7
	s_wait_dscnt 0x3
	v_add_f32_e32 v12, v109, v12
	s_delay_alu instid0(VALU_DEP_1) | instskip(SKIP_1) | instid1(VALU_DEP_1)
	v_add_f32_e32 v12, v12, v13
	s_wait_dscnt 0x2
	v_add_f32_e32 v12, v12, v14
	s_delay_alu instid0(VALU_DEP_1) | instskip(SKIP_1) | instid1(VALU_DEP_1)
	v_add_f32_e32 v12, v12, v15
	;; [unrolled: 4-line block ×3, first 2 shown]
	s_wait_dscnt 0x0
	v_add_f32_e32 v12, v12, v31
	s_delay_alu instid0(VALU_DEP_1)
	v_add_f32_e32 v109, v12, v32
.LBB135_64:                             ;   in Loop: Header=BB135_4 Depth=1
	s_wait_alu 0xfffe
	s_or_b32 exec_lo, exec_lo, s66
	v_fma_f32 v0, v11, v0, 0
	s_wait_loadcnt 0x0
	s_barrier_signal -1
	s_barrier_wait -1
	global_inv scope:SCOPE_SE
	v_fmac_f32_e32 v0, v8, v1
	s_delay_alu instid0(VALU_DEP_1) | instskip(NEXT) | instid1(VALU_DEP_1)
	v_fmac_f32_e32 v0, v9, v2
	v_fmac_f32_e32 v0, v10, v3
	ds_store_b32 v47, v0
	s_wait_loadcnt_dscnt 0x0
	s_barrier_signal -1
	s_barrier_wait -1
	global_inv scope:SCOPE_SE
	s_and_saveexec_b32 s66, s10
	s_cbranch_execz .LBB135_66
; %bb.65:                               ;   in Loop: Header=BB135_4 Depth=1
	ds_load_2addr_b32 v[0:1], v44 offset1:1
	ds_load_2addr_b32 v[2:3], v44 offset0:2 offset1:3
	ds_load_2addr_b32 v[8:9], v44 offset0:4 offset1:5
	ds_load_2addr_b32 v[10:11], v44 offset0:6 offset1:7
	s_wait_dscnt 0x3
	v_add_f32_e32 v0, v109, v0
	s_delay_alu instid0(VALU_DEP_1) | instskip(SKIP_1) | instid1(VALU_DEP_1)
	v_add_f32_e32 v0, v0, v1
	s_wait_dscnt 0x2
	v_add_f32_e32 v0, v0, v2
	s_delay_alu instid0(VALU_DEP_1) | instskip(SKIP_1) | instid1(VALU_DEP_1)
	v_add_f32_e32 v0, v0, v3
	;; [unrolled: 4-line block ×3, first 2 shown]
	s_wait_dscnt 0x0
	v_add_f32_e32 v0, v0, v10
	s_delay_alu instid0(VALU_DEP_1)
	v_add_f32_e32 v109, v0, v11
.LBB135_66:                             ;   in Loop: Header=BB135_4 Depth=1
	s_wait_alu 0xfffe
	s_or_b32 exec_lo, exec_lo, s66
	s_mul_u64 s[66:67], s[46:47], s[34:35]
	s_and_not1_b32 vcc_lo, exec_lo, s43
	s_wait_alu 0xfffe
	s_lshl_b64 s[66:67], s[66:67], 2
	s_wait_loadcnt 0x0
	s_wait_alu 0xfffe
	s_add_nc_u64 s[66:67], s[48:49], s[66:67]
	s_barrier_signal -1
	s_barrier_wait -1
	global_inv scope:SCOPE_SE
	s_cbranch_vccnz .LBB135_123
; %bb.67:                               ;   in Loop: Header=BB135_4 Depth=1
	v_add_co_u32 v0, vcc_lo, v6, s18
	s_wait_alu 0xfffd
	v_add_co_ci_u32_e64 v1, null, s19, v7, vcc_lo
	s_mov_b32 s76, ttmp9
	v_add_co_u32 v0, vcc_lo, v0, v21
	s_wait_alu 0xfffd
	v_add_co_ci_u32_e64 v1, null, v1, v22, vcc_lo
	v_add_co_u32 v110, vcc_lo, v4, s64
	s_wait_alu 0xfffd
	v_add_co_ci_u32_e64 v111, null, s65, v5, vcc_lo
	;; [unrolled: 3-line block ×18, first 2 shown]
	s_mov_b32 s68, s75
	s_cmp_eq_u32 s73, s76
	s_cselect_b32 s19, s70, 0
	s_and_saveexec_b32 s18, s0
	s_cbranch_execz .LBB135_71
.LBB135_68:                             ;   in Loop: Header=BB135_4 Depth=1
	s_wait_alu 0xfffe
	v_cmp_gt_i32_e32 vcc_lo, s19, v41
	s_cmp_eq_u32 s19, 0
	v_mov_b32_e32 v0, 0
	s_cselect_b32 s69, -1, 0
	s_wait_alu 0xfffe
	s_or_b32 s69, s69, vcc_lo
	s_wait_alu 0xfffe
	s_and_saveexec_b32 s77, s69
	s_cbranch_execz .LBB135_70
; %bb.69:                               ;   in Loop: Header=BB135_4 Depth=1
	s_ashr_i32 s69, s68, 31
	s_wait_alu 0xfffe
	s_mul_u64 s[78:79], s[40:41], s[68:69]
	s_wait_alu 0xfffe
	s_lshl_b64 s[78:79], s[78:79], 2
	s_wait_alu 0xfffe
	v_add_co_u32 v0, vcc_lo, v110, s78
	s_wait_alu 0xfffd
	v_add_co_ci_u32_e64 v1, null, s79, v111, vcc_lo
	flat_load_b32 v0, v[0:1]
.LBB135_70:                             ;   in Loop: Header=BB135_4 Depth=1
	s_or_b32 exec_lo, exec_lo, s77
	s_wait_loadcnt_dscnt 0x0
	ds_store_b32 v50, v0
.LBB135_71:                             ;   Parent Loop BB135_4 Depth=1
                                        ; =>  This Inner Loop Header: Depth=2
	s_wait_alu 0xfffe
	s_or_b32 exec_lo, exec_lo, s18
	s_cmp_eq_u32 s19, 0
	v_add_co_u32 v0, vcc_lo, v112, v42
	s_cselect_b32 s69, -1, 0
	s_cmp_lg_u32 s19, 0
	s_wait_alu 0xfffd
	v_add_co_ci_u32_e64 v1, null, 0, v113, vcc_lo
	s_cselect_b32 s18, -1, 0
	s_mov_b32 s77, -1
	s_wait_alu 0xfffe
	s_and_b32 vcc_lo, exec_lo, s18
	s_wait_loadcnt_dscnt 0x0
	s_barrier_signal -1
	s_barrier_wait -1
	global_inv scope:SCOPE_SE
                                        ; implicit-def: $vgpr145
                                        ; implicit-def: $vgpr146
                                        ; implicit-def: $vgpr144
                                        ; implicit-def: $vgpr147
	s_wait_alu 0xfffe
	s_cbranch_vccz .LBB135_81
; %bb.72:                               ;   in Loop: Header=BB135_71 Depth=2
	v_dual_mov_b32 v144, 0 :: v_dual_mov_b32 v147, 0
	s_mov_b32 s77, exec_lo
	v_cmpx_gt_i32_e64 s19, v48
	s_cbranch_execz .LBB135_74
; %bb.73:                               ;   in Loop: Header=BB135_71 Depth=2
	flat_load_b32 v147, v[0:1]
.LBB135_74:                             ;   in Loop: Header=BB135_71 Depth=2
	s_or_b32 exec_lo, exec_lo, s77
	s_delay_alu instid0(SALU_CYCLE_1)
	s_mov_b32 s77, exec_lo
	v_cmpx_gt_i32_e64 s19, v56
	s_cbranch_execz .LBB135_76
; %bb.75:                               ;   in Loop: Header=BB135_71 Depth=2
	v_add_co_u32 v2, vcc_lo, v118, v42
	s_wait_alu 0xfffd
	v_add_co_ci_u32_e64 v3, null, 0, v119, vcc_lo
	flat_load_b32 v144, v[2:3]
.LBB135_76:                             ;   in Loop: Header=BB135_71 Depth=2
	s_or_b32 exec_lo, exec_lo, s77
	v_dual_mov_b32 v145, 0 :: v_dual_mov_b32 v146, 0
	s_mov_b32 s77, exec_lo
	v_cmpx_gt_i32_e64 s19, v57
	s_cbranch_execz .LBB135_78
; %bb.77:                               ;   in Loop: Header=BB135_71 Depth=2
	v_add_co_u32 v2, vcc_lo, v114, v42
	s_wait_alu 0xfffd
	v_add_co_ci_u32_e64 v3, null, 0, v115, vcc_lo
	flat_load_b32 v146, v[2:3]
.LBB135_78:                             ;   in Loop: Header=BB135_71 Depth=2
	s_or_b32 exec_lo, exec_lo, s77
	s_delay_alu instid0(SALU_CYCLE_1)
	s_mov_b32 s77, exec_lo
	v_cmpx_gt_i32_e64 s19, v58
	s_cbranch_execz .LBB135_80
; %bb.79:                               ;   in Loop: Header=BB135_71 Depth=2
	v_add_co_u32 v2, vcc_lo, v116, v42
	s_wait_alu 0xfffd
	v_add_co_ci_u32_e64 v3, null, 0, v117, vcc_lo
	flat_load_b32 v145, v[2:3]
.LBB135_80:                             ;   in Loop: Header=BB135_71 Depth=2
	s_or_b32 exec_lo, exec_lo, s77
	s_mov_b32 s77, 0
.LBB135_81:                             ;   in Loop: Header=BB135_71 Depth=2
	s_delay_alu instid0(SALU_CYCLE_1)
	s_and_b32 vcc_lo, exec_lo, s77
	s_wait_alu 0xfffe
	s_cbranch_vccz .LBB135_83
; %bb.82:                               ;   in Loop: Header=BB135_71 Depth=2
	v_add_co_u32 v2, vcc_lo, v118, v42
	s_wait_alu 0xfffd
	v_add_co_ci_u32_e64 v3, null, 0, v119, vcc_lo
	v_add_co_u32 v4, vcc_lo, v114, v42
	s_wait_alu 0xfffd
	v_add_co_ci_u32_e64 v5, null, 0, v115, vcc_lo
	;; [unrolled: 3-line block ×3, first 2 shown]
	s_wait_loadcnt_dscnt 0x0
	flat_load_b32 v147, v[0:1]
	flat_load_b32 v144, v[2:3]
	flat_load_b32 v146, v[4:5]
	flat_load_b32 v145, v[6:7]
.LBB135_83:                             ;   in Loop: Header=BB135_71 Depth=2
	ds_load_b32 v4, v43
	ds_load_b128 v[0:3], v51
	v_cndmask_b32_e64 v12, 0, 1, s18
                                        ; implicit-def: $vgpr150
                                        ; implicit-def: $vgpr151
                                        ; implicit-def: $vgpr148
                                        ; implicit-def: $vgpr149
	s_wait_loadcnt_dscnt 0x1
	v_mul_f32_e32 v5, v147, v4
	v_mul_f32_e32 v6, v144, v4
	;; [unrolled: 1-line block ×4, first 2 shown]
	ds_store_2addr_b32 v52, v5, v6 offset1:67
	ds_store_2addr_b32 v52, v7, v4 offset0:134 offset1:201
	s_wait_dscnt 0x0
	s_barrier_signal -1
	s_barrier_wait -1
	global_inv scope:SCOPE_SE
	ds_load_2addr_b32 v[31:32], v108 offset1:1
	ds_load_2addr_b32 v[29:30], v108 offset0:2 offset1:3
	v_add_co_u32 v4, vcc_lo, v126, v42
	s_wait_alu 0xfffd
	v_add_co_ci_u32_e64 v5, null, 0, v127, vcc_lo
	s_and_not1_b32 vcc_lo, exec_lo, s18
	s_mov_b32 s18, -1
	s_wait_loadcnt_dscnt 0x0
	s_barrier_signal -1
	s_barrier_wait -1
	global_inv scope:SCOPE_SE
	s_wait_alu 0xfffe
	s_cbranch_vccnz .LBB135_93
; %bb.84:                               ;   in Loop: Header=BB135_71 Depth=2
	v_dual_mov_b32 v148, 0 :: v_dual_mov_b32 v149, 0
	s_mov_b32 s18, exec_lo
	v_cmpx_gt_i32_e64 s19, v59
	s_cbranch_execz .LBB135_86
; %bb.85:                               ;   in Loop: Header=BB135_71 Depth=2
	flat_load_b32 v149, v[4:5]
.LBB135_86:                             ;   in Loop: Header=BB135_71 Depth=2
	s_wait_alu 0xfffe
	s_or_b32 exec_lo, exec_lo, s18
	s_delay_alu instid0(SALU_CYCLE_1)
	s_mov_b32 s18, exec_lo
	v_cmpx_gt_i32_e64 s19, v60
	s_cbranch_execz .LBB135_88
; %bb.87:                               ;   in Loop: Header=BB135_71 Depth=2
	v_add_co_u32 v6, vcc_lo, v124, v42
	s_wait_alu 0xfffd
	v_add_co_ci_u32_e64 v7, null, 0, v125, vcc_lo
	flat_load_b32 v148, v[6:7]
.LBB135_88:                             ;   in Loop: Header=BB135_71 Depth=2
	s_wait_alu 0xfffe
	s_or_b32 exec_lo, exec_lo, s18
	v_dual_mov_b32 v150, 0 :: v_dual_mov_b32 v151, 0
	s_mov_b32 s18, exec_lo
	v_cmpx_gt_i32_e64 s19, v61
	s_cbranch_execz .LBB135_90
; %bb.89:                               ;   in Loop: Header=BB135_71 Depth=2
	v_add_co_u32 v6, vcc_lo, v120, v42
	s_wait_alu 0xfffd
	v_add_co_ci_u32_e64 v7, null, 0, v121, vcc_lo
	flat_load_b32 v151, v[6:7]
.LBB135_90:                             ;   in Loop: Header=BB135_71 Depth=2
	s_wait_alu 0xfffe
	s_or_b32 exec_lo, exec_lo, s18
	s_delay_alu instid0(SALU_CYCLE_1)
	s_mov_b32 s18, exec_lo
	v_cmpx_gt_i32_e64 s19, v62
	s_cbranch_execz .LBB135_92
; %bb.91:                               ;   in Loop: Header=BB135_71 Depth=2
	v_add_co_u32 v6, vcc_lo, v122, v42
	s_wait_alu 0xfffd
	v_add_co_ci_u32_e64 v7, null, 0, v123, vcc_lo
	flat_load_b32 v150, v[6:7]
.LBB135_92:                             ;   in Loop: Header=BB135_71 Depth=2
	s_wait_alu 0xfffe
	s_or_b32 exec_lo, exec_lo, s18
	s_mov_b32 s18, 0
.LBB135_93:                             ;   in Loop: Header=BB135_71 Depth=2
	s_wait_alu 0xfffe
	s_and_b32 vcc_lo, exec_lo, s18
	s_wait_alu 0xfffe
	s_cbranch_vccz .LBB135_95
; %bb.94:                               ;   in Loop: Header=BB135_71 Depth=2
	v_add_co_u32 v6, vcc_lo, v124, v42
	s_wait_alu 0xfffd
	v_add_co_ci_u32_e64 v7, null, 0, v125, vcc_lo
	v_add_co_u32 v8, vcc_lo, v120, v42
	s_wait_alu 0xfffd
	v_add_co_ci_u32_e64 v9, null, 0, v121, vcc_lo
	;; [unrolled: 3-line block ×3, first 2 shown]
	s_wait_loadcnt_dscnt 0x0
	flat_load_b32 v149, v[4:5]
	flat_load_b32 v148, v[6:7]
	;; [unrolled: 1-line block ×4, first 2 shown]
.LBB135_95:                             ;   in Loop: Header=BB135_71 Depth=2
	ds_load_b32 v4, v43
	v_cmp_ne_u32_e32 vcc_lo, 1, v12
                                        ; implicit-def: $vgpr154
                                        ; implicit-def: $vgpr155
                                        ; implicit-def: $vgpr152
                                        ; implicit-def: $vgpr153
	s_and_b32 vcc_lo, exec_lo, vcc_lo
	s_wait_loadcnt_dscnt 0x0
	v_mul_f32_e32 v8, v149, v4
	v_mul_f32_e32 v9, v148, v4
	;; [unrolled: 1-line block ×4, first 2 shown]
	ds_load_b128 v[4:7], v51 offset:64
	ds_store_2addr_b32 v52, v8, v9 offset1:67
	ds_store_2addr_b32 v52, v10, v11 offset0:134 offset1:201
	s_wait_dscnt 0x0
	s_barrier_signal -1
	s_barrier_wait -1
	global_inv scope:SCOPE_SE
	ds_load_2addr_b32 v[35:36], v108 offset1:1
	ds_load_2addr_b32 v[33:34], v108 offset0:2 offset1:3
	v_add_co_u32 v8, s18, v134, v42
	s_wait_alu 0xf1ff
	v_add_co_ci_u32_e64 v9, null, 0, v135, s18
	s_mov_b32 s18, -1
	s_wait_loadcnt_dscnt 0x0
	s_barrier_signal -1
	s_barrier_wait -1
	global_inv scope:SCOPE_SE
	s_wait_alu 0xfffe
	s_cbranch_vccnz .LBB135_105
; %bb.96:                               ;   in Loop: Header=BB135_71 Depth=2
	v_dual_mov_b32 v152, 0 :: v_dual_mov_b32 v153, 0
	s_mov_b32 s18, exec_lo
	v_cmpx_gt_i32_e64 s19, v63
	s_cbranch_execz .LBB135_98
; %bb.97:                               ;   in Loop: Header=BB135_71 Depth=2
	flat_load_b32 v153, v[8:9]
.LBB135_98:                             ;   in Loop: Header=BB135_71 Depth=2
	s_wait_alu 0xfffe
	s_or_b32 exec_lo, exec_lo, s18
	s_delay_alu instid0(SALU_CYCLE_1)
	s_mov_b32 s18, exec_lo
	v_cmpx_gt_i32_e64 s19, v64
	s_cbranch_execz .LBB135_100
; %bb.99:                               ;   in Loop: Header=BB135_71 Depth=2
	v_add_co_u32 v10, vcc_lo, v132, v42
	s_wait_alu 0xfffd
	v_add_co_ci_u32_e64 v11, null, 0, v133, vcc_lo
	flat_load_b32 v152, v[10:11]
.LBB135_100:                            ;   in Loop: Header=BB135_71 Depth=2
	s_wait_alu 0xfffe
	s_or_b32 exec_lo, exec_lo, s18
	v_dual_mov_b32 v154, 0 :: v_dual_mov_b32 v155, 0
	s_mov_b32 s18, exec_lo
	v_cmpx_gt_i32_e64 s19, v65
	s_cbranch_execz .LBB135_102
; %bb.101:                              ;   in Loop: Header=BB135_71 Depth=2
	v_add_co_u32 v10, vcc_lo, v128, v42
	s_wait_alu 0xfffd
	v_add_co_ci_u32_e64 v11, null, 0, v129, vcc_lo
	flat_load_b32 v155, v[10:11]
.LBB135_102:                            ;   in Loop: Header=BB135_71 Depth=2
	s_wait_alu 0xfffe
	s_or_b32 exec_lo, exec_lo, s18
	s_delay_alu instid0(SALU_CYCLE_1)
	s_mov_b32 s18, exec_lo
	v_cmpx_gt_i32_e64 s19, v66
	s_cbranch_execz .LBB135_104
; %bb.103:                              ;   in Loop: Header=BB135_71 Depth=2
	v_add_co_u32 v10, vcc_lo, v130, v42
	s_wait_alu 0xfffd
	v_add_co_ci_u32_e64 v11, null, 0, v131, vcc_lo
	flat_load_b32 v154, v[10:11]
.LBB135_104:                            ;   in Loop: Header=BB135_71 Depth=2
	s_wait_alu 0xfffe
	s_or_b32 exec_lo, exec_lo, s18
	s_mov_b32 s18, 0
.LBB135_105:                            ;   in Loop: Header=BB135_71 Depth=2
	s_wait_alu 0xfffe
	s_and_b32 vcc_lo, exec_lo, s18
	s_wait_alu 0xfffe
	s_cbranch_vccz .LBB135_107
; %bb.106:                              ;   in Loop: Header=BB135_71 Depth=2
	v_add_co_u32 v10, vcc_lo, v132, v42
	s_wait_alu 0xfffd
	v_add_co_ci_u32_e64 v11, null, 0, v133, vcc_lo
	v_add_co_u32 v13, vcc_lo, v128, v42
	s_wait_alu 0xfffd
	v_add_co_ci_u32_e64 v14, null, 0, v129, vcc_lo
	;; [unrolled: 3-line block ×3, first 2 shown]
	s_wait_loadcnt_dscnt 0x0
	flat_load_b32 v153, v[8:9]
	flat_load_b32 v152, v[10:11]
	;; [unrolled: 1-line block ×4, first 2 shown]
.LBB135_107:                            ;   in Loop: Header=BB135_71 Depth=2
	ds_load_b32 v13, v43
	ds_load_b128 v[8:11], v51 offset:128
	v_cmp_ne_u32_e32 vcc_lo, 1, v12
	v_add_co_u32 v12, s18, v142, v42
                                        ; implicit-def: $vgpr158
                                        ; implicit-def: $vgpr159
                                        ; implicit-def: $vgpr156
                                        ; implicit-def: $vgpr157
	s_and_b32 vcc_lo, exec_lo, vcc_lo
	s_wait_loadcnt_dscnt 0x1
	v_mul_f32_e32 v14, v153, v13
	v_mul_f32_e32 v15, v152, v13
	;; [unrolled: 1-line block ×4, first 2 shown]
	ds_store_2addr_b32 v52, v14, v15 offset1:67
	ds_store_2addr_b32 v52, v37, v13 offset0:134 offset1:201
	s_wait_dscnt 0x0
	s_barrier_signal -1
	s_barrier_wait -1
	global_inv scope:SCOPE_SE
	ds_load_2addr_b32 v[39:40], v108 offset1:1
	ds_load_2addr_b32 v[37:38], v108 offset0:2 offset1:3
	s_wait_alu 0xf1ff
	v_add_co_ci_u32_e64 v13, null, 0, v143, s18
	s_mov_b32 s18, -1
	s_wait_loadcnt_dscnt 0x0
	s_barrier_signal -1
	s_barrier_wait -1
	global_inv scope:SCOPE_SE
	s_wait_alu 0xfffe
	s_cbranch_vccnz .LBB135_117
; %bb.108:                              ;   in Loop: Header=BB135_71 Depth=2
	v_dual_mov_b32 v156, 0 :: v_dual_mov_b32 v157, 0
	s_mov_b32 s18, exec_lo
	v_cmpx_gt_i32_e64 s19, v67
	s_cbranch_execz .LBB135_110
; %bb.109:                              ;   in Loop: Header=BB135_71 Depth=2
	flat_load_b32 v157, v[12:13]
.LBB135_110:                            ;   in Loop: Header=BB135_71 Depth=2
	s_wait_alu 0xfffe
	s_or_b32 exec_lo, exec_lo, s18
	s_delay_alu instid0(SALU_CYCLE_1)
	s_mov_b32 s18, exec_lo
	v_cmpx_gt_i32_e64 s19, v68
	s_cbranch_execz .LBB135_112
; %bb.111:                              ;   in Loop: Header=BB135_71 Depth=2
	v_add_co_u32 v14, vcc_lo, v140, v42
	s_wait_alu 0xfffd
	v_add_co_ci_u32_e64 v15, null, 0, v141, vcc_lo
	flat_load_b32 v156, v[14:15]
.LBB135_112:                            ;   in Loop: Header=BB135_71 Depth=2
	s_wait_alu 0xfffe
	s_or_b32 exec_lo, exec_lo, s18
	v_dual_mov_b32 v158, 0 :: v_dual_mov_b32 v159, 0
	s_mov_b32 s18, exec_lo
	v_cmpx_gt_i32_e64 s19, v69
	s_cbranch_execz .LBB135_114
; %bb.113:                              ;   in Loop: Header=BB135_71 Depth=2
	v_add_co_u32 v14, vcc_lo, v136, v42
	s_wait_alu 0xfffd
	v_add_co_ci_u32_e64 v15, null, 0, v137, vcc_lo
	flat_load_b32 v159, v[14:15]
.LBB135_114:                            ;   in Loop: Header=BB135_71 Depth=2
	s_wait_alu 0xfffe
	s_or_b32 exec_lo, exec_lo, s18
	s_delay_alu instid0(SALU_CYCLE_1)
	s_mov_b32 s18, exec_lo
	v_cmpx_gt_i32_e64 s19, v70
	s_cbranch_execz .LBB135_116
; %bb.115:                              ;   in Loop: Header=BB135_71 Depth=2
	v_add_co_u32 v14, vcc_lo, v138, v42
	s_wait_alu 0xfffd
	v_add_co_ci_u32_e64 v15, null, 0, v139, vcc_lo
	flat_load_b32 v158, v[14:15]
.LBB135_116:                            ;   in Loop: Header=BB135_71 Depth=2
	s_wait_alu 0xfffe
	s_or_b32 exec_lo, exec_lo, s18
	s_mov_b32 s18, 0
.LBB135_117:                            ;   in Loop: Header=BB135_71 Depth=2
	s_wait_alu 0xfffe
	s_and_b32 vcc_lo, exec_lo, s18
	s_wait_alu 0xfffe
	s_cbranch_vccz .LBB135_119
; %bb.118:                              ;   in Loop: Header=BB135_71 Depth=2
	v_add_co_u32 v14, vcc_lo, v140, v42
	s_wait_alu 0xfffd
	v_add_co_ci_u32_e64 v15, null, 0, v141, vcc_lo
	s_wait_loadcnt_dscnt 0x0
	v_add_co_u32 v158, vcc_lo, v136, v42
	s_wait_alu 0xfffd
	v_add_co_ci_u32_e64 v159, null, 0, v137, vcc_lo
	v_add_co_u32 v160, vcc_lo, v138, v42
	s_wait_alu 0xfffd
	v_add_co_ci_u32_e64 v161, null, 0, v139, vcc_lo
	flat_load_b32 v157, v[12:13]
	flat_load_b32 v156, v[14:15]
	;; [unrolled: 1-line block ×4, first 2 shown]
.LBB135_119:                            ;   in Loop: Header=BB135_71 Depth=2
	ds_load_b32 v160, v43
	ds_load_b128 v[12:15], v51 offset:192
	v_cmp_gt_i32_e32 vcc_lo, s19, v41
	v_add_f32_e32 v39, 0, v39
	v_add_f32_e32 v35, 0, v35
	s_or_b32 s18, s69, vcc_lo
	s_delay_alu instid0(VALU_DEP_2) | instskip(SKIP_3) | instid1(VALU_DEP_2)
	v_add_f32_e32 v39, v39, v40
	s_wait_alu 0xfffe
	s_and_b32 s19, s17, s18
	v_add_f32_e32 v35, v35, v36
	v_add_f32_e32 v36, v39, v37
	s_wait_loadcnt_dscnt 0x1
	s_delay_alu instid0(VALU_DEP_2)
	v_dual_add_f32 v33, v35, v33 :: v_dual_mul_f32 v162, v156, v160
	v_mul_f32_e32 v161, v157, v160
	v_mul_f32_e32 v163, v159, v160
	;; [unrolled: 1-line block ×3, first 2 shown]
	ds_store_2addr_b32 v52, v161, v162 offset1:67
	ds_store_2addr_b32 v52, v163, v160 offset0:134 offset1:201
	s_wait_dscnt 0x0
	s_barrier_signal -1
	s_barrier_wait -1
	global_inv scope:SCOPE_SE
	ds_load_2addr_b32 v[160:161], v108 offset1:1
	ds_load_2addr_b32 v[162:163], v108 offset0:2 offset1:3
	v_add_f32_e32 v31, 0, v31
	s_wait_loadcnt_dscnt 0x0
	s_barrier_signal -1
	s_barrier_wait -1
	global_inv scope:SCOPE_SE
	v_add_f32_e32 v160, 0, v160
	s_delay_alu instid0(VALU_DEP_1) | instskip(NEXT) | instid1(VALU_DEP_1)
	v_dual_add_f32 v31, v31, v32 :: v_dual_add_f32 v32, v160, v161
	v_add_f32_e32 v29, v31, v29
	s_delay_alu instid0(VALU_DEP_2) | instskip(SKIP_1) | instid1(VALU_DEP_3)
	v_add_f32_e32 v31, v32, v162
	v_add_f32_e32 v33, v33, v34
	;; [unrolled: 1-line block ×4, first 2 shown]
	s_delay_alu instid0(VALU_DEP_4)
	v_add_f32_e32 v30, v31, v163
	ds_store_2addr_b32 v53, v29, v33 offset1:16
	ds_store_2addr_b32 v53, v32, v30 offset0:32 offset1:48
	s_wait_loadcnt_dscnt 0x0
	s_barrier_signal -1
	s_barrier_wait -1
	global_inv scope:SCOPE_SE
	s_wait_alu 0xfffe
	s_and_saveexec_b32 s18, s19
	s_cbranch_execz .LBB135_121
; %bb.120:                              ;   in Loop: Header=BB135_71 Depth=2
	ds_load_2addr_b32 v[29:30], v54 offset1:1
	ds_load_2addr_b32 v[31:32], v54 offset0:2 offset1:3
	ds_load_2addr_b32 v[33:34], v54 offset0:4 offset1:5
	;; [unrolled: 1-line block ×3, first 2 shown]
	s_wait_dscnt 0x3
	v_add_f32_e32 v29, v29, v30
	s_wait_dscnt 0x2
	s_delay_alu instid0(VALU_DEP_1) | instskip(NEXT) | instid1(VALU_DEP_1)
	v_add_f32_e32 v29, v29, v31
	v_add_f32_e32 v31, v29, v32
	ds_load_2addr_b32 v[29:30], v54 offset0:8 offset1:9
	s_wait_dscnt 0x2
	v_add_f32_e32 v31, v31, v33
	s_delay_alu instid0(VALU_DEP_1) | instskip(SKIP_3) | instid1(VALU_DEP_1)
	v_add_f32_e32 v33, v31, v34
	ds_load_2addr_b32 v[31:32], v54 offset0:10 offset1:11
	s_wait_dscnt 0x2
	v_add_f32_e32 v33, v33, v35
	v_add_f32_e32 v35, v33, v36
	ds_load_2addr_b32 v[33:34], v54 offset0:12 offset1:13
	ds_load_b32 v36, v54 offset:56
	s_wait_dscnt 0x3
	v_add_f32_e32 v29, v35, v29
	s_delay_alu instid0(VALU_DEP_1) | instskip(SKIP_1) | instid1(VALU_DEP_1)
	v_add_f32_e32 v29, v29, v30
	s_wait_dscnt 0x2
	v_add_f32_e32 v29, v29, v31
	ds_load_b32 v31, v55
	v_add_f32_e32 v29, v29, v32
	s_wait_dscnt 0x2
	s_delay_alu instid0(VALU_DEP_1) | instskip(NEXT) | instid1(VALU_DEP_1)
	v_add_f32_e32 v30, v29, v33
	v_dual_add_f32 v32, v30, v34 :: v_dual_add_nc_u32 v29, s68, v41
	s_delay_alu instid0(VALU_DEP_1) | instskip(SKIP_1) | instid1(VALU_DEP_2)
	v_ashrrev_i32_e32 v30, 31, v29
	s_wait_dscnt 0x1
	v_add_f32_e32 v32, v32, v36
	s_delay_alu instid0(VALU_DEP_2) | instskip(SKIP_1) | instid1(VALU_DEP_2)
	v_lshlrev_b64_e32 v[29:30], 2, v[29:30]
	s_wait_dscnt 0x0
	v_add_f32_e32 v31, v32, v31
	s_delay_alu instid0(VALU_DEP_2) | instskip(SKIP_1) | instid1(VALU_DEP_3)
	v_add_co_u32 v29, vcc_lo, s66, v29
	s_wait_alu 0xfffd
	v_add_co_ci_u32_e64 v30, null, s67, v30, vcc_lo
	global_store_b32 v[29:30], v31, off
.LBB135_121:                            ;   in Loop: Header=BB135_71 Depth=2
	s_wait_alu 0xfffe
	s_or_b32 exec_lo, exec_lo, s18
	v_fmac_f32_e32 v109, v147, v0
	v_add_co_u32 v114, vcc_lo, v114, s58
	s_wait_alu 0xfffd
	v_add_co_ci_u32_e64 v115, null, s59, v115, vcc_lo
	s_delay_alu instid0(VALU_DEP_3) | instskip(SKIP_3) | instid1(VALU_DEP_3)
	v_fmac_f32_e32 v109, v144, v1
	v_add_co_u32 v116, vcc_lo, v116, s58
	s_wait_alu 0xfffd
	v_add_co_ci_u32_e64 v117, null, s59, v117, vcc_lo
	v_fmac_f32_e32 v109, v146, v2
	v_add_co_u32 v118, vcc_lo, v118, s58
	s_wait_alu 0xfffd
	v_add_co_ci_u32_e64 v119, null, s59, v119, vcc_lo
	s_delay_alu instid0(VALU_DEP_3) | instskip(SKIP_3) | instid1(VALU_DEP_3)
	v_fmac_f32_e32 v109, v145, v3
	v_add_co_u32 v112, vcc_lo, v112, s58
	s_wait_alu 0xfffd
	v_add_co_ci_u32_e64 v113, null, s59, v113, vcc_lo
	v_fmac_f32_e32 v109, v149, v4
	v_add_co_u32 v120, vcc_lo, v120, s58
	s_wait_alu 0xfffd
	v_add_co_ci_u32_e64 v121, null, s59, v121, vcc_lo
	s_delay_alu instid0(VALU_DEP_3) | instskip(SKIP_3) | instid1(VALU_DEP_3)
	v_fmac_f32_e32 v109, v148, v5
	v_add_co_u32 v122, vcc_lo, v122, s58
	s_wait_alu 0xfffd
	v_add_co_ci_u32_e64 v123, null, s59, v123, vcc_lo
	v_fmac_f32_e32 v109, v151, v6
	v_add_co_u32 v124, vcc_lo, v124, s58
	s_wait_alu 0xfffd
	v_add_co_ci_u32_e64 v125, null, s59, v125, vcc_lo
	s_delay_alu instid0(VALU_DEP_3) | instskip(SKIP_3) | instid1(VALU_DEP_3)
	v_fmac_f32_e32 v109, v150, v7
	v_add_co_u32 v126, vcc_lo, v126, s58
	s_wait_alu 0xfffd
	v_add_co_ci_u32_e64 v127, null, s59, v127, vcc_lo
	v_fmac_f32_e32 v109, v153, v8
	v_add_co_u32 v128, vcc_lo, v128, s58
	s_wait_alu 0xfffd
	v_add_co_ci_u32_e64 v129, null, s59, v129, vcc_lo
	s_delay_alu instid0(VALU_DEP_3) | instskip(SKIP_3) | instid1(VALU_DEP_3)
	v_fmac_f32_e32 v109, v152, v9
	v_add_co_u32 v130, vcc_lo, v130, s58
	s_wait_alu 0xfffd
	v_add_co_ci_u32_e64 v131, null, s59, v131, vcc_lo
	v_fmac_f32_e32 v109, v155, v10
	v_add_co_u32 v132, vcc_lo, v132, s58
	s_wait_alu 0xfffd
	v_add_co_ci_u32_e64 v133, null, s59, v133, vcc_lo
	s_delay_alu instid0(VALU_DEP_3) | instskip(SKIP_3) | instid1(VALU_DEP_3)
	v_fmac_f32_e32 v109, v154, v11
	v_add_co_u32 v134, vcc_lo, v134, s58
	s_wait_alu 0xfffd
	v_add_co_ci_u32_e64 v135, null, s59, v135, vcc_lo
	v_fmac_f32_e32 v109, v157, v12
	v_add_co_u32 v136, vcc_lo, v136, s58
	s_wait_alu 0xfffd
	v_add_co_ci_u32_e64 v137, null, s59, v137, vcc_lo
	s_delay_alu instid0(VALU_DEP_3) | instskip(SKIP_3) | instid1(VALU_DEP_3)
	v_fmac_f32_e32 v109, v156, v13
	v_add_co_u32 v138, vcc_lo, v138, s58
	s_wait_alu 0xfffd
	v_add_co_ci_u32_e64 v139, null, s59, v139, vcc_lo
	v_fmac_f32_e32 v109, v159, v14
	v_add_co_u32 v140, vcc_lo, v140, s58
	s_wait_alu 0xfffd
	v_add_co_ci_u32_e64 v141, null, s59, v141, vcc_lo
	v_add_co_u32 v142, vcc_lo, v142, s58
	v_fmac_f32_e32 v109, v158, v15
	s_wait_alu 0xfffd
	v_add_co_ci_u32_e64 v143, null, s59, v143, vcc_lo
	s_add_co_i32 s19, s76, 2
	s_add_co_i32 s18, s76, 1
	;; [unrolled: 1-line block ×3, first 2 shown]
	s_wait_alu 0xfffe
	s_cmp_ge_u32 s19, s42
	s_wait_loadcnt 0x0
	s_wait_storecnt 0x0
	s_barrier_signal -1
	s_barrier_wait -1
	global_inv scope:SCOPE_SE
	s_cbranch_scc1 .LBB135_123
; %bb.122:                              ;   in Loop: Header=BB135_71 Depth=2
	s_mov_b32 s76, s18
	s_delay_alu instid0(SALU_CYCLE_1)
	s_cmp_eq_u32 s73, s76
	s_cselect_b32 s19, s70, 0
	s_and_saveexec_b32 s18, s0
	s_cbranch_execnz .LBB135_68
	s_branch .LBB135_71
.LBB135_123:                            ;   in Loop: Header=BB135_4 Depth=1
	ds_store_b32 v71, v109
	s_wait_loadcnt_dscnt 0x0
	s_barrier_signal -1
	s_barrier_wait -1
	global_inv scope:SCOPE_SE
	s_and_saveexec_b32 s18, s74
	s_cbranch_execz .LBB135_2
; %bb.124:                              ;   in Loop: Header=BB135_4 Depth=1
	ds_load_2addr_b32 v[0:1], v42 offset1:67
	ds_load_2addr_b32 v[2:3], v42 offset0:134 offset1:201
	s_wait_dscnt 0x1
	v_add_f32_e32 v0, v0, v1
	s_wait_dscnt 0x0
	s_delay_alu instid0(VALU_DEP_1) | instskip(NEXT) | instid1(VALU_DEP_1)
	v_add_f32_e32 v0, v0, v2
	v_add_f32_e32 v2, v0, v3
	s_wait_alu 0xfffe
	v_add_co_u32 v0, vcc_lo, s66, v25
	s_wait_alu 0xfffd
	v_add_co_ci_u32_e64 v1, null, s67, v26, vcc_lo
	global_store_b32 v[0:1], v2, off
	s_branch .LBB135_2
.LBB135_125:                            ;   in Loop: Header=BB135_4 Depth=1
	ds_load_b32 v0, v106
	s_wait_dscnt 0x0
	ds_store_b32 v45, v0
	s_wait_alu 0xfffe
	s_or_b32 exec_lo, exec_lo, s18
	s_and_saveexec_b32 s18, s7
	s_cbranch_execz .LBB135_26
.LBB135_126:                            ;   in Loop: Header=BB135_4 Depth=1
	ds_load_b32 v0, v107
	s_wait_dscnt 0x0
	ds_store_b32 v45, v0 offset:4
	s_wait_alu 0xfffe
	s_or_b32 exec_lo, exec_lo, s18
	s_and_saveexec_b32 s18, s8
	s_cbranch_execz .LBB135_27
.LBB135_127:                            ;   in Loop: Header=BB135_4 Depth=1
	ds_load_b32 v0, v107 offset:132
	s_wait_dscnt 0x0
	ds_store_b32 v45, v0 offset:8
	s_wait_alu 0xfffe
	s_or_b32 exec_lo, exec_lo, s18
	s_and_saveexec_b32 s18, s9
	s_cbranch_execnz .LBB135_28
	s_branch .LBB135_29
.LBB135_128:                            ;   in Loop: Header=BB135_4 Depth=1
	ds_load_b32 v2, v106
	s_wait_dscnt 0x0
	ds_store_b32 v45, v2
	s_wait_alu 0xfffe
	s_or_b32 exec_lo, exec_lo, s66
	s_and_saveexec_b32 s66, s7
	s_cbranch_execz .LBB135_45
.LBB135_129:                            ;   in Loop: Header=BB135_4 Depth=1
	ds_load_b32 v2, v107
	s_wait_dscnt 0x0
	ds_store_b32 v45, v2 offset:4
	s_wait_alu 0xfffe
	s_or_b32 exec_lo, exec_lo, s66
	s_and_saveexec_b32 s66, s8
	s_cbranch_execz .LBB135_46
.LBB135_130:                            ;   in Loop: Header=BB135_4 Depth=1
	ds_load_b32 v2, v107 offset:132
	s_wait_dscnt 0x0
	ds_store_b32 v45, v2 offset:8
	s_wait_alu 0xfffe
	s_or_b32 exec_lo, exec_lo, s66
	s_and_saveexec_b32 s66, s9
	s_cbranch_execnz .LBB135_47
	s_branch .LBB135_48
.LBB135_131:
	s_nop 0
	s_sendmsg sendmsg(MSG_DEALLOC_VGPRS)
	s_endpgm
	.section	.rodata,"a",@progbits
	.p2align	6, 0x0
	.amdhsa_kernel _ZL26rocblas_hemvn_kernel_upperILb0ELi64ELi4ELi33ELi32ELi16ElPKfPKS1_PfEviT6_lT7_lT5_lS6_lS7_lS5_lT8_i
		.amdhsa_group_segment_fixed_size 4800
		.amdhsa_private_segment_fixed_size 0
		.amdhsa_kernarg_size 376
		.amdhsa_user_sgpr_count 2
		.amdhsa_user_sgpr_dispatch_ptr 0
		.amdhsa_user_sgpr_queue_ptr 0
		.amdhsa_user_sgpr_kernarg_segment_ptr 1
		.amdhsa_user_sgpr_dispatch_id 0
		.amdhsa_user_sgpr_private_segment_size 0
		.amdhsa_wavefront_size32 1
		.amdhsa_uses_dynamic_stack 0
		.amdhsa_enable_private_segment 0
		.amdhsa_system_sgpr_workgroup_id_x 1
		.amdhsa_system_sgpr_workgroup_id_y 0
		.amdhsa_system_sgpr_workgroup_id_z 1
		.amdhsa_system_sgpr_workgroup_info 0
		.amdhsa_system_vgpr_workitem_id 1
		.amdhsa_next_free_vgpr 164
		.amdhsa_next_free_sgpr 80
		.amdhsa_reserve_vcc 1
		.amdhsa_float_round_mode_32 0
		.amdhsa_float_round_mode_16_64 0
		.amdhsa_float_denorm_mode_32 3
		.amdhsa_float_denorm_mode_16_64 3
		.amdhsa_fp16_overflow 0
		.amdhsa_workgroup_processor_mode 1
		.amdhsa_memory_ordered 1
		.amdhsa_forward_progress 1
		.amdhsa_inst_pref_size 73
		.amdhsa_round_robin_scheduling 0
		.amdhsa_exception_fp_ieee_invalid_op 0
		.amdhsa_exception_fp_denorm_src 0
		.amdhsa_exception_fp_ieee_div_zero 0
		.amdhsa_exception_fp_ieee_overflow 0
		.amdhsa_exception_fp_ieee_underflow 0
		.amdhsa_exception_fp_ieee_inexact 0
		.amdhsa_exception_int_div_zero 0
	.end_amdhsa_kernel
	.section	.text._ZL26rocblas_hemvn_kernel_upperILb0ELi64ELi4ELi33ELi32ELi16ElPKfPKS1_PfEviT6_lT7_lT5_lS6_lS7_lS5_lT8_i,"axG",@progbits,_ZL26rocblas_hemvn_kernel_upperILb0ELi64ELi4ELi33ELi32ELi16ElPKfPKS1_PfEviT6_lT7_lT5_lS6_lS7_lS5_lT8_i,comdat
.Lfunc_end135:
	.size	_ZL26rocblas_hemvn_kernel_upperILb0ELi64ELi4ELi33ELi32ELi16ElPKfPKS1_PfEviT6_lT7_lT5_lS6_lS7_lS5_lT8_i, .Lfunc_end135-_ZL26rocblas_hemvn_kernel_upperILb0ELi64ELi4ELi33ELi32ELi16ElPKfPKS1_PfEviT6_lT7_lT5_lS6_lS7_lS5_lT8_i
                                        ; -- End function
	.set _ZL26rocblas_hemvn_kernel_upperILb0ELi64ELi4ELi33ELi32ELi16ElPKfPKS1_PfEviT6_lT7_lT5_lS6_lS7_lS5_lT8_i.num_vgpr, 164
	.set _ZL26rocblas_hemvn_kernel_upperILb0ELi64ELi4ELi33ELi32ELi16ElPKfPKS1_PfEviT6_lT7_lT5_lS6_lS7_lS5_lT8_i.num_agpr, 0
	.set _ZL26rocblas_hemvn_kernel_upperILb0ELi64ELi4ELi33ELi32ELi16ElPKfPKS1_PfEviT6_lT7_lT5_lS6_lS7_lS5_lT8_i.numbered_sgpr, 80
	.set _ZL26rocblas_hemvn_kernel_upperILb0ELi64ELi4ELi33ELi32ELi16ElPKfPKS1_PfEviT6_lT7_lT5_lS6_lS7_lS5_lT8_i.num_named_barrier, 0
	.set _ZL26rocblas_hemvn_kernel_upperILb0ELi64ELi4ELi33ELi32ELi16ElPKfPKS1_PfEviT6_lT7_lT5_lS6_lS7_lS5_lT8_i.private_seg_size, 0
	.set _ZL26rocblas_hemvn_kernel_upperILb0ELi64ELi4ELi33ELi32ELi16ElPKfPKS1_PfEviT6_lT7_lT5_lS6_lS7_lS5_lT8_i.uses_vcc, 1
	.set _ZL26rocblas_hemvn_kernel_upperILb0ELi64ELi4ELi33ELi32ELi16ElPKfPKS1_PfEviT6_lT7_lT5_lS6_lS7_lS5_lT8_i.uses_flat_scratch, 1
	.set _ZL26rocblas_hemvn_kernel_upperILb0ELi64ELi4ELi33ELi32ELi16ElPKfPKS1_PfEviT6_lT7_lT5_lS6_lS7_lS5_lT8_i.has_dyn_sized_stack, 0
	.set _ZL26rocblas_hemvn_kernel_upperILb0ELi64ELi4ELi33ELi32ELi16ElPKfPKS1_PfEviT6_lT7_lT5_lS6_lS7_lS5_lT8_i.has_recursion, 0
	.set _ZL26rocblas_hemvn_kernel_upperILb0ELi64ELi4ELi33ELi32ELi16ElPKfPKS1_PfEviT6_lT7_lT5_lS6_lS7_lS5_lT8_i.has_indirect_call, 0
	.section	.AMDGPU.csdata,"",@progbits
; Kernel info:
; codeLenInByte = 9304
; TotalNumSgprs: 82
; NumVgprs: 164
; ScratchSize: 0
; MemoryBound: 0
; FloatMode: 240
; IeeeMode: 1
; LDSByteSize: 4800 bytes/workgroup (compile time only)
; SGPRBlocks: 0
; VGPRBlocks: 20
; NumSGPRsForWavesPerEU: 82
; NumVGPRsForWavesPerEU: 164
; Occupancy: 9
; WaveLimiterHint : 1
; COMPUTE_PGM_RSRC2:SCRATCH_EN: 0
; COMPUTE_PGM_RSRC2:USER_SGPR: 2
; COMPUTE_PGM_RSRC2:TRAP_HANDLER: 0
; COMPUTE_PGM_RSRC2:TGID_X_EN: 1
; COMPUTE_PGM_RSRC2:TGID_Y_EN: 0
; COMPUTE_PGM_RSRC2:TGID_Z_EN: 1
; COMPUTE_PGM_RSRC2:TIDIG_COMP_CNT: 1
	.section	.text._ZL36rocblas_hemvn_kernel_upper_block_sumILi64ElPKfPKPffEviT1_lS5_lT2_lT0_lPT3_i,"axG",@progbits,_ZL36rocblas_hemvn_kernel_upper_block_sumILi64ElPKfPKPffEviT1_lS5_lT2_lT0_lPT3_i,comdat
	.globl	_ZL36rocblas_hemvn_kernel_upper_block_sumILi64ElPKfPKPffEviT1_lS5_lT2_lT0_lPT3_i ; -- Begin function _ZL36rocblas_hemvn_kernel_upper_block_sumILi64ElPKfPKPffEviT1_lS5_lT2_lT0_lPT3_i
	.p2align	8
	.type	_ZL36rocblas_hemvn_kernel_upper_block_sumILi64ElPKfPKPffEviT1_lS5_lT2_lT0_lPT3_i,@function
_ZL36rocblas_hemvn_kernel_upper_block_sumILi64ElPKfPKPffEviT1_lS5_lT2_lT0_lPT3_i: ; @_ZL36rocblas_hemvn_kernel_upper_block_sumILi64ElPKfPKPffEviT1_lS5_lT2_lT0_lPT3_i
; %bb.0:
	s_load_b32 s22, s[0:1], 0x50
	s_lshr_b32 s2, ttmp7, 16
	s_wait_kmcnt 0x0
	s_cmp_ge_u32 s2, s22
	s_cbranch_scc1 .LBB136_25
; %bb.1:
	s_clause 0x1
	s_load_b128 s[12:15], s[0:1], 0x30
	s_load_b32 s18, s[0:1], 0x0
	v_lshl_or_b32 v0, ttmp9, 6, v0
	s_clause 0x2
	s_load_b64 s[20:21], s[0:1], 0x48
	s_load_b64 s[16:17], s[0:1], 0x28
	s_load_b256 s[4:11], s[0:1], 0x8
	s_mov_b32 s3, 0
	v_ashrrev_i32_e32 v1, 31, v0
	s_delay_alu instid0(VALU_DEP_1)
	v_lshlrev_b64_e32 v[4:5], 2, v[0:1]
	s_wait_kmcnt 0x0
	v_mul_lo_u32 v6, s14, v1
	v_mul_lo_u32 v7, s15, v0
	v_mad_co_u64_u32 v[2:3], null, s14, v0, 0
	s_add_nc_u64 s[14:15], s[0:1], 0x58
	v_cmp_gt_i32_e64 s0, s18, v0
	v_add_co_u32 v0, vcc_lo, s20, v4
	s_ashr_i32 s19, s18, 31
	v_add_co_ci_u32_e64 v1, null, s21, v5, vcc_lo
	v_add3_u32 v3, v3, v6, v7
	v_mov_b32_e32 v6, 0
	s_cmp_gt_i32 ttmp9, -1
	s_cselect_b32 s23, -1, 0
	s_delay_alu instid0(VALU_DEP_2)
	v_lshlrev_b64_e32 v[2:3], 2, v[2:3]
	s_add_co_i32 s24, ttmp9, 1
	s_wait_alu 0xfffe
	s_lshl_b64 s[18:19], s[18:19], 2
	s_lshl_b64 s[12:13], s[12:13], 2
	s_branch .LBB136_4
.LBB136_2:                              ;   in Loop: Header=BB136_4 Depth=1
	s_wait_alu 0xfffe
	s_or_b32 exec_lo, exec_lo, s1
.LBB136_3:                              ;   in Loop: Header=BB136_4 Depth=1
	s_add_co_i32 s2, s2, 0x10000
	s_wait_alu 0xfffe
	s_cmp_lt_u32 s2, s22
	s_cbranch_scc0 .LBB136_25
.LBB136_4:                              ; =>This Loop Header: Depth=1
                                        ;     Child Loop BB136_16 Depth 2
	s_mul_u64 s[20:21], s[6:7], s[2:3]
	s_mul_u64 s[26:27], s[10:11], s[2:3]
	s_wait_alu 0xfffe
	s_lshl_b64 s[20:21], s[20:21], 2
	s_lshl_b64 s[26:27], s[26:27], 2
	s_wait_alu 0xfffe
	s_add_nc_u64 s[20:21], s[4:5], s[20:21]
	s_add_nc_u64 s[26:27], s[8:9], s[26:27]
	s_clause 0x1
	global_load_b32 v7, v6, s[20:21]
	global_load_b32 v4, v6, s[26:27]
	s_wait_loadcnt 0x1
	v_cmp_eq_f32_e32 vcc_lo, 0, v7
	s_wait_loadcnt 0x0
	v_cmp_eq_f32_e64 s1, 1.0, v4
	s_and_b32 s20, vcc_lo, s1
	v_readfirstlane_b32 s1, v4
	s_wait_alu 0xfffe
	s_and_b32 vcc_lo, exec_lo, s20
	s_wait_alu 0xfffe
	s_cbranch_vccnz .LBB136_3
; %bb.5:                                ;   in Loop: Header=BB136_4 Depth=1
	s_lshl_b64 s[20:21], s[2:3], 3
	v_cmp_neq_f32_e32 vcc_lo, 0, v7
	s_wait_alu 0xfffe
	s_add_nc_u64 s[20:21], s[16:17], s[20:21]
	s_load_b64 s[20:21], s[20:21], 0x0
	s_wait_kmcnt 0x0
	s_add_nc_u64 s[20:21], s[20:21], s[12:13]
	s_cbranch_vccnz .LBB136_9
; %bb.6:                                ;   in Loop: Header=BB136_4 Depth=1
	s_mov_b32 s26, 0
	s_mov_b32 s25, 0
                                        ; implicit-def: $vgpr4
	s_and_saveexec_b32 s27, s0
	s_cbranch_execz .LBB136_10
; %bb.7:                                ;   in Loop: Header=BB136_4 Depth=1
	s_cmp_eq_f32 s1, 0
	s_cbranch_scc1 .LBB136_11
; %bb.8:                                ;   in Loop: Header=BB136_4 Depth=1
	s_wait_alu 0xfffe
	v_add_co_u32 v4, vcc_lo, s20, v2
	s_wait_alu 0xfffd
	v_add_co_ci_u32_e64 v5, null, s21, v3, vcc_lo
	flat_load_b32 v4, v[4:5]
	s_wait_loadcnt_dscnt 0x0
	v_mul_f32_e32 v4, s1, v4
	s_branch .LBB136_12
.LBB136_9:                              ;   in Loop: Header=BB136_4 Depth=1
	s_mov_b32 s25, 0
                                        ; implicit-def: $vgpr4
	s_cbranch_execnz .LBB136_13
	s_branch .LBB136_22
.LBB136_10:                             ;   in Loop: Header=BB136_4 Depth=1
	s_or_b32 exec_lo, exec_lo, s27
	s_delay_alu instid0(SALU_CYCLE_1)
	s_and_b32 vcc_lo, exec_lo, s26
	s_wait_alu 0xfffe
	s_cbranch_vccnz .LBB136_13
	s_branch .LBB136_22
.LBB136_11:                             ;   in Loop: Header=BB136_4 Depth=1
	v_mov_b32_e32 v4, 0
.LBB136_12:                             ;   in Loop: Header=BB136_4 Depth=1
	s_mov_b32 s25, exec_lo
	s_or_b32 exec_lo, exec_lo, s27
	s_delay_alu instid0(SALU_CYCLE_1)
	s_and_b32 vcc_lo, exec_lo, s26
	s_wait_alu 0xfffe
	s_cbranch_vccz .LBB136_22
.LBB136_13:                             ;   in Loop: Header=BB136_4 Depth=1
                                        ; implicit-def: $vgpr4
	s_and_saveexec_b32 s26, s0
	s_cbranch_execz .LBB136_21
; %bb.14:                               ;   in Loop: Header=BB136_4 Depth=1
	v_mov_b32_e32 v8, 0
	s_and_not1_b32 vcc_lo, exec_lo, s23
	s_wait_alu 0xfffe
	s_cbranch_vccnz .LBB136_17
; %bb.15:                               ;   in Loop: Header=BB136_4 Depth=1
	s_load_b32 s28, s[14:15], 0x0
	s_mov_b32 s29, s3
	s_mov_b32 s27, s24
	s_wait_kmcnt 0x0
	s_wait_alu 0xfffe
	s_mul_u64 s[28:29], s[18:19], s[28:29]
	s_wait_alu 0xfffe
	v_mad_co_u64_u32 v[4:5], null, s28, s2, v[0:1]
	s_delay_alu instid0(VALU_DEP_1) | instskip(NEXT) | instid1(VALU_DEP_1)
	v_mad_co_u64_u32 v[8:9], null, s29, s2, v[5:6]
	v_dual_mov_b32 v5, v8 :: v_dual_mov_b32 v8, 0
.LBB136_16:                             ;   Parent Loop BB136_4 Depth=1
                                        ; =>  This Inner Loop Header: Depth=2
	global_load_b32 v9, v[4:5], off
	v_add_co_u32 v4, vcc_lo, v4, s18
	s_wait_alu 0xfffd
	v_add_co_ci_u32_e64 v5, null, s19, v5, vcc_lo
	s_add_co_i32 s27, s27, -1
	s_delay_alu instid0(SALU_CYCLE_1)
	s_cmp_eq_u32 s27, 0
	s_wait_loadcnt 0x0
	v_add_f32_e32 v8, v8, v9
	s_cbranch_scc0 .LBB136_16
.LBB136_17:                             ;   in Loop: Header=BB136_4 Depth=1
	s_cmp_eq_f32 s1, 0
	s_cbranch_scc0 .LBB136_24
; %bb.18:                               ;   in Loop: Header=BB136_4 Depth=1
	s_delay_alu instid0(VALU_DEP_1)
	v_mul_f32_e32 v4, v7, v8
	s_cbranch_execnz .LBB136_20
.LBB136_19:                             ;   in Loop: Header=BB136_4 Depth=1
	v_add_co_u32 v4, vcc_lo, s20, v2
	s_wait_alu 0xfffd
	v_add_co_ci_u32_e64 v5, null, s21, v3, vcc_lo
	flat_load_b32 v4, v[4:5]
	s_wait_loadcnt_dscnt 0x0
	v_mul_f32_e32 v4, s1, v4
	s_delay_alu instid0(VALU_DEP_1)
	v_fmac_f32_e32 v4, v7, v8
.LBB136_20:                             ;   in Loop: Header=BB136_4 Depth=1
	s_or_b32 s25, s25, exec_lo
.LBB136_21:                             ;   in Loop: Header=BB136_4 Depth=1
	s_or_b32 exec_lo, exec_lo, s26
.LBB136_22:                             ;   in Loop: Header=BB136_4 Depth=1
	s_and_saveexec_b32 s1, s25
	s_cbranch_execz .LBB136_2
; %bb.23:                               ;   in Loop: Header=BB136_4 Depth=1
	s_wait_alu 0xfffe
	v_add_co_u32 v7, vcc_lo, s20, v2
	s_wait_alu 0xfffd
	v_add_co_ci_u32_e64 v8, null, s21, v3, vcc_lo
	flat_store_b32 v[7:8], v4
	s_branch .LBB136_2
.LBB136_24:                             ;   in Loop: Header=BB136_4 Depth=1
                                        ; implicit-def: $vgpr4
	s_branch .LBB136_19
.LBB136_25:
	s_endpgm
	.section	.rodata,"a",@progbits
	.p2align	6, 0x0
	.amdhsa_kernel _ZL36rocblas_hemvn_kernel_upper_block_sumILi64ElPKfPKPffEviT1_lS5_lT2_lT0_lPT3_i
		.amdhsa_group_segment_fixed_size 0
		.amdhsa_private_segment_fixed_size 0
		.amdhsa_kernarg_size 344
		.amdhsa_user_sgpr_count 2
		.amdhsa_user_sgpr_dispatch_ptr 0
		.amdhsa_user_sgpr_queue_ptr 0
		.amdhsa_user_sgpr_kernarg_segment_ptr 1
		.amdhsa_user_sgpr_dispatch_id 0
		.amdhsa_user_sgpr_private_segment_size 0
		.amdhsa_wavefront_size32 1
		.amdhsa_uses_dynamic_stack 0
		.amdhsa_enable_private_segment 0
		.amdhsa_system_sgpr_workgroup_id_x 1
		.amdhsa_system_sgpr_workgroup_id_y 0
		.amdhsa_system_sgpr_workgroup_id_z 1
		.amdhsa_system_sgpr_workgroup_info 0
		.amdhsa_system_vgpr_workitem_id 0
		.amdhsa_next_free_vgpr 10
		.amdhsa_next_free_sgpr 30
		.amdhsa_reserve_vcc 1
		.amdhsa_float_round_mode_32 0
		.amdhsa_float_round_mode_16_64 0
		.amdhsa_float_denorm_mode_32 3
		.amdhsa_float_denorm_mode_16_64 3
		.amdhsa_fp16_overflow 0
		.amdhsa_workgroup_processor_mode 1
		.amdhsa_memory_ordered 1
		.amdhsa_forward_progress 1
		.amdhsa_inst_pref_size 7
		.amdhsa_round_robin_scheduling 0
		.amdhsa_exception_fp_ieee_invalid_op 0
		.amdhsa_exception_fp_denorm_src 0
		.amdhsa_exception_fp_ieee_div_zero 0
		.amdhsa_exception_fp_ieee_overflow 0
		.amdhsa_exception_fp_ieee_underflow 0
		.amdhsa_exception_fp_ieee_inexact 0
		.amdhsa_exception_int_div_zero 0
	.end_amdhsa_kernel
	.section	.text._ZL36rocblas_hemvn_kernel_upper_block_sumILi64ElPKfPKPffEviT1_lS5_lT2_lT0_lPT3_i,"axG",@progbits,_ZL36rocblas_hemvn_kernel_upper_block_sumILi64ElPKfPKPffEviT1_lS5_lT2_lT0_lPT3_i,comdat
.Lfunc_end136:
	.size	_ZL36rocblas_hemvn_kernel_upper_block_sumILi64ElPKfPKPffEviT1_lS5_lT2_lT0_lPT3_i, .Lfunc_end136-_ZL36rocblas_hemvn_kernel_upper_block_sumILi64ElPKfPKPffEviT1_lS5_lT2_lT0_lPT3_i
                                        ; -- End function
	.set _ZL36rocblas_hemvn_kernel_upper_block_sumILi64ElPKfPKPffEviT1_lS5_lT2_lT0_lPT3_i.num_vgpr, 10
	.set _ZL36rocblas_hemvn_kernel_upper_block_sumILi64ElPKfPKPffEviT1_lS5_lT2_lT0_lPT3_i.num_agpr, 0
	.set _ZL36rocblas_hemvn_kernel_upper_block_sumILi64ElPKfPKPffEviT1_lS5_lT2_lT0_lPT3_i.numbered_sgpr, 30
	.set _ZL36rocblas_hemvn_kernel_upper_block_sumILi64ElPKfPKPffEviT1_lS5_lT2_lT0_lPT3_i.num_named_barrier, 0
	.set _ZL36rocblas_hemvn_kernel_upper_block_sumILi64ElPKfPKPffEviT1_lS5_lT2_lT0_lPT3_i.private_seg_size, 0
	.set _ZL36rocblas_hemvn_kernel_upper_block_sumILi64ElPKfPKPffEviT1_lS5_lT2_lT0_lPT3_i.uses_vcc, 1
	.set _ZL36rocblas_hemvn_kernel_upper_block_sumILi64ElPKfPKPffEviT1_lS5_lT2_lT0_lPT3_i.uses_flat_scratch, 0
	.set _ZL36rocblas_hemvn_kernel_upper_block_sumILi64ElPKfPKPffEviT1_lS5_lT2_lT0_lPT3_i.has_dyn_sized_stack, 0
	.set _ZL36rocblas_hemvn_kernel_upper_block_sumILi64ElPKfPKPffEviT1_lS5_lT2_lT0_lPT3_i.has_recursion, 0
	.set _ZL36rocblas_hemvn_kernel_upper_block_sumILi64ElPKfPKPffEviT1_lS5_lT2_lT0_lPT3_i.has_indirect_call, 0
	.section	.AMDGPU.csdata,"",@progbits
; Kernel info:
; codeLenInByte = 784
; TotalNumSgprs: 32
; NumVgprs: 10
; ScratchSize: 0
; MemoryBound: 0
; FloatMode: 240
; IeeeMode: 1
; LDSByteSize: 0 bytes/workgroup (compile time only)
; SGPRBlocks: 0
; VGPRBlocks: 1
; NumSGPRsForWavesPerEU: 32
; NumVGPRsForWavesPerEU: 10
; Occupancy: 16
; WaveLimiterHint : 1
; COMPUTE_PGM_RSRC2:SCRATCH_EN: 0
; COMPUTE_PGM_RSRC2:USER_SGPR: 2
; COMPUTE_PGM_RSRC2:TRAP_HANDLER: 0
; COMPUTE_PGM_RSRC2:TGID_X_EN: 1
; COMPUTE_PGM_RSRC2:TGID_Y_EN: 0
; COMPUTE_PGM_RSRC2:TGID_Z_EN: 1
; COMPUTE_PGM_RSRC2:TIDIG_COMP_CNT: 0
	.section	.text._ZL26rocblas_hemvn_kernel_upperILb0ELi64ELi4ELi33ELi32ELi16EiPKfPKS1_PfEviT6_lT7_lT5_lS6_lS7_lS5_lT8_i,"axG",@progbits,_ZL26rocblas_hemvn_kernel_upperILb0ELi64ELi4ELi33ELi32ELi16EiPKfPKS1_PfEviT6_lT7_lT5_lS6_lS7_lS5_lT8_i,comdat
	.globl	_ZL26rocblas_hemvn_kernel_upperILb0ELi64ELi4ELi33ELi32ELi16EiPKfPKS1_PfEviT6_lT7_lT5_lS6_lS7_lS5_lT8_i ; -- Begin function _ZL26rocblas_hemvn_kernel_upperILb0ELi64ELi4ELi33ELi32ELi16EiPKfPKS1_PfEviT6_lT7_lT5_lS6_lS7_lS5_lT8_i
	.p2align	8
	.type	_ZL26rocblas_hemvn_kernel_upperILb0ELi64ELi4ELi33ELi32ELi16EiPKfPKS1_PfEviT6_lT7_lT5_lS6_lS7_lS5_lT8_i,@function
_ZL26rocblas_hemvn_kernel_upperILb0ELi64ELi4ELi33ELi32ELi16EiPKfPKS1_PfEviT6_lT7_lT5_lS6_lS7_lS5_lT8_i: ; @_ZL26rocblas_hemvn_kernel_upperILb0ELi64ELi4ELi33ELi32ELi16EiPKfPKS1_PfEviT6_lT7_lT5_lS6_lS7_lS5_lT8_i
; %bb.0:
	s_clause 0x1
	s_load_b64 s[2:3], s[0:1], 0x84
	s_load_b32 s33, s[0:1], 0x70
	s_lshr_b32 s34, ttmp7, 16
	s_wait_kmcnt 0x0
	s_lshr_b32 s4, s2, 16
	s_and_b32 s2, s2, 0xffff
	s_and_b32 s3, s3, 0xffff
	s_mul_i32 s2, s4, s2
	s_delay_alu instid0(SALU_CYCLE_1) | instskip(NEXT) | instid1(SALU_CYCLE_1)
	s_mul_i32 s2, s2, s3
	s_cmp_lg_u32 s2, 0x100
	s_cselect_b32 s2, -1, 0
	s_cmp_ge_u32 s34, s33
	s_cselect_b32 s3, -1, 0
	s_delay_alu instid0(SALU_CYCLE_1) | instskip(NEXT) | instid1(SALU_CYCLE_1)
	s_or_b32 s2, s2, s3
	s_and_b32 vcc_lo, exec_lo, s2
	s_cbranch_vccnz .LBB137_131
; %bb.1:
	s_load_b32 s4, s[0:1], 0x0
	s_add_nc_u64 s[6:7], s[0:1], 0x78
	s_load_b32 s18, s[0:1], 0x28
	s_load_b32 s40, s[6:7], 0x0
	s_clause 0x4
	s_load_b256 s[20:27], s[0:1], 0x8
	s_load_b128 s[28:31], s[0:1], 0x38
	s_load_b32 s56, s[0:1], 0x48
	s_load_b64 s[6:7], s[0:1], 0x68
	s_load_b128 s[36:39], s[0:1], 0x58
	s_lshl_b32 s90, ttmp9, 6
	v_dual_mov_b32 v41, 0 :: v_dual_and_b32 v16, 0x3ff, v0
	v_bfe_u32 v3, v0, 10, 10
	s_mov_b32 s35, 0
	s_mov_b32 s2, ttmp9
	s_mov_b32 s41, s35
	v_and_b32_e32 v1, 31, v0
	v_lshl_add_u32 v12, v3, 6, v16
                                        ; implicit-def: $vgpr169 : SGPR spill to VGPR lane
	v_add_nc_u32_e32 v2, s90, v16
	v_lshlrev_b32_e32 v46, 2, v3
	v_lshlrev_b32_e32 v39, 2, v16
	;; [unrolled: 1-line block ×3, first 2 shown]
	s_wait_kmcnt 0x0
	s_ashr_i32 s19, s18, 31
	s_add_co_i32 s1, s40, -1
	v_lshrrev_b32_e32 v10, 5, v12
	v_mul_u32_u24_e32 v23, 33, v1
	s_ashr_i32 s5, s4, 31
	v_lshl_or_b32 v42, v1, 7, v14
	s_lshr_b32 s0, s5, 26
	v_add_nc_u32_e32 v11, 8, v10
	s_add_co_i32 s0, s4, s0
	v_add_nc_u32_e32 v13, 16, v10
	s_and_not1_b32 s0, s0, 63
	v_add_nc_u32_e32 v17, 24, v10
	s_sub_co_i32 s100, s4, s0
	s_cmp_eq_u32 ttmp9, s1
	v_mad_co_u64_u32 v[6:7], null, s18, v10, v[1:2]
	s_cselect_b32 s42, s100, 0
	v_mul_u32_u24_e32 v15, 0x84, v10
	s_cmp_lg_u32 s42, 0
	v_lshlrev_b32_e32 v18, 2, v10
	s_cselect_b32 s101, -1, 0
	s_cmp_eq_u32 s42, 0
	v_lshlrev_b32_e32 v19, 4, v10
	s_cselect_b32 s1, -1, 0
	s_ashr_i32 s3, ttmp9, 31
	v_mul_u32_u24_e32 v26, 0x210, v10
	s_mul_u64 s[2:3], s[4:5], s[2:3]
	s_mul_u64 s[4:5], s[40:41], s[4:5]
	s_lshl_b64 s[2:3], s[2:3], 2
	v_writelane_b32 v169, s4, 0
	s_add_nc_u64 s[46:47], s[6:7], s[2:3]
	v_sub_co_u32 v8, s2, 0, v1
	s_delay_alu instid0(VALU_DEP_1)
	v_sub_co_ci_u32_e64 v9, null, 0, 0, s2
	v_writelane_b32 v169, s5, 1
	v_cmp_gt_i32_e64 s2, s42, v10
	v_cmp_gt_i32_e64 s5, s42, v17
	v_cmp_eq_u32_e64 s16, 1, v10
	v_mul_i32_i24_e32 v28, -12, v10
	v_ashrrev_i32_e32 v7, 31, v6
	s_wait_alu 0xf1ff
	v_writelane_b32 v169, s2, 2
	v_cmp_gt_i32_e64 s2, s42, v11
	v_cmp_gt_u32_e64 s6, v18, v1
	v_add_nc_u32_e32 v43, v42, v19
	v_or_b32_e32 v20, 1, v18
	v_or_b32_e32 v21, 2, v18
	s_wait_alu 0xf1ff
	v_writelane_b32 v169, s2, 3
	v_cmp_gt_i32_e64 s2, s42, v13
	v_or_b32_e32 v22, 3, v18
	v_cmp_ge_u32_e64 s7, v18, v1
	v_add_nc_u32_e32 v44, 0x11c0, v19
	v_lshl_add_u32 v45, v23, 2, v18
	s_wait_alu 0xf1ff
	v_writelane_b32 v169, s2, 4
	s_sub_co_i32 s2, s42, 32
	v_or_b32_e32 v19, 32, v1
	s_wait_alu 0xfffe
	v_cmp_gt_i32_e64 s12, s2, v10
	v_cmp_gt_i32_e64 s13, s2, v11
	;; [unrolled: 1-line block ×3, first 2 shown]
	v_mad_co_u64_u32 v[10:11], null, s18, v46, v[16:17]
	v_lshrrev_b32_e32 v17, 2, v12
	v_cmp_gt_i32_e64 s14, s2, v13
	v_and_b32_e32 v13, 15, v0
	v_and_b32_e32 v0, 48, v0
	v_add_nc_u32_e32 v69, v42, v18
	v_and_b32_e32 v17, 0x1ffc, v17
	v_ashrrev_i32_e32 v11, 31, v10
	v_add_nc_u32_e32 v70, 0x11c0, v18
	v_cmp_gt_i32_e32 vcc_lo, s42, v16
	s_mul_i32 s92, s18, s90
	v_mad_u32_u24 v50, 0x10c, v13, v17
	v_lshlrev_b64_e32 v[17:18], 2, v[6:7]
	s_lshl_b32 s48, s18, 3
	s_lshl_b32 s76, s18, 4
	s_mul_i32 s50, s18, 24
	s_lshl_b32 s62, s18, 5
	s_mul_i32 s2, s56, s90
	v_cmp_gt_i32_e64 s11, s42, v19
	s_add_co_i32 s4, ttmp9, 1
	v_lshlrev_b32_e32 v0, 2, v0
	v_or_b32_e32 v19, 60, v39
	v_lshlrev_b64_e32 v[6:7], 2, v[10:11]
	s_ashr_i32 s91, s90, 31
	s_or_b32 s41, s1, vcc_lo
	s_ashr_i32 s93, s92, 31
	s_ashr_i32 s43, s42, 31
	;; [unrolled: 1-line block ×6, first 2 shown]
	s_wait_alu 0xfffe
	s_ashr_i32 s3, s2, 31
	v_sub_co_u32 v72, vcc_lo, 0, v17
	s_cmp_lt_u32 s4, s40
	v_cmp_gt_u32_e64 s10, 32, v12
	v_and_b32_e32 v30, 0x7ff0, v12
	v_cmp_gt_u32_e64 s17, 64, v12
	v_sub_co_ci_u32_e64 v73, null, 0, v18, vcc_lo
	v_add_co_u32 v12, vcc_lo, s62, v10
	v_mul_lo_u32 v4, s56, v2
	s_cselect_b32 s102, -1, 0
	s_lshl_b32 s104, s56, 6
	s_mul_i32 s56, s56, s4
	v_mul_u32_u24_e32 v29, 0x10c, v13
	v_mad_u32_u24 v51, 0x10c, v13, v0
	v_mad_u32_u24 v52, 0x10c, v13, v19
	s_wait_alu 0xfffd
	v_add_co_ci_u32_e64 v13, null, s63, v11, vcc_lo
	s_wait_alu 0xfffe
	s_sub_nc_u64 s[94:95], 0, s[2:3]
	s_lshl_b32 s2, s56, 6
	s_lshl_b64 s[56:57], s[62:63], 2
	v_sub_co_u32 v74, vcc_lo, v6, v17
	s_add_nc_u64 s[62:63], s[62:63], s[76:77]
	s_wait_alu 0xfffd
	v_sub_co_ci_u32_e64 v75, null, v7, v18, vcc_lo
	s_wait_alu 0xfffe
	v_add_co_u32 v10, vcc_lo, s62, v10
	v_lshlrev_b64_e32 v[6:7], 2, v[12:13]
	s_wait_alu 0xfffd
	v_add_co_ci_u32_e64 v11, null, s63, v11, vcc_lo
	s_lshl_b32 s64, s18, 1
	s_mul_i32 s66, s18, 3
	s_lshl_b64 s[54:55], s[18:19], 5
	s_lshl_b64 s[84:85], s[18:19], 2
	s_lshl_b64 s[74:75], s[18:19], 3
	s_mul_u64 s[70:71], s[18:19], 12
	s_add_nc_u64 s[18:19], s[18:19], s[76:77]
	v_lshlrev_b64_e32 v[10:11], 2, v[10:11]
	v_mul_u32_u24_e32 v27, 0x84, v20
	s_wait_alu 0xfffe
	v_mad_co_u64_u32 v[19:20], null, s18, 12, v[6:7]
	v_add_co_u32 v76, vcc_lo, s70, v6
	s_wait_alu 0xfffd
	v_add_co_ci_u32_e64 v77, null, s71, v7, vcc_lo
	s_lshl_b64 s[82:83], s[76:77], 3
	v_add_co_u32 v78, vcc_lo, s70, v10
	s_wait_alu 0xfffd
	v_add_co_ci_u32_e64 v79, null, s71, v11, vcc_lo
	s_add_nc_u64 s[70:71], s[70:71], s[82:83]
	s_mul_u64 s[78:79], s[76:77], 12
	v_mov_b32_e32 v0, v20
	s_wait_alu 0xfffe
	v_add_co_u32 v80, vcc_lo, s70, v6
	s_add_nc_u64 s[78:79], s[78:79], s[74:75]
	s_wait_alu 0xfffd
	v_add_co_ci_u32_e64 v81, null, s71, v7, vcc_lo
	v_add_co_u32 v82, vcc_lo, s78, v6
	v_cmp_gt_u32_e64 s8, v21, v1
	v_mad_co_i64_i32 v[20:21], null, s76, 12, v[6:7]
	s_wait_alu 0xfffd
	v_add_co_ci_u32_e64 v83, null, s79, v7, vcc_lo
	v_mad_co_u64_u32 v[6:7], null, s19, 12, v[0:1]
	s_ashr_i32 s65, s64, 31
	v_cmp_eq_u32_e64 s0, 0, v3
	v_ashrrev_i32_e32 v5, 31, v4
	v_lshl_add_u32 v48, v3, 4, 0x10c0
	s_ashr_i32 s67, s66, 31
	s_lshl_b64 s[86:87], s[64:65], 2
	v_add_co_u32 v84, vcc_lo, v20, s84
	v_mov_b32_e32 v90, v6
	v_mad_u32_u24 v49, 0x430, v3, v39
	v_mad_u32_u24 v68, 0x10c, v3, v39
	v_ashrrev_i32_e32 v3, 31, v2
	s_lshl_b64 s[88:89], s[66:67], 2
	s_wait_alu 0xfffd
	v_add_co_ci_u32_e64 v85, null, s85, v21, vcc_lo
	v_add_co_u32 v86, vcc_lo, v20, s86
	s_wait_alu 0xfffd
	v_add_co_ci_u32_e64 v87, null, s87, v21, vcc_lo
	v_add_co_u32 v88, vcc_lo, v20, s88
	v_cmp_gt_u32_e64 s9, v22, v1
	s_lshl_b64 s[68:69], s[76:77], 2
	v_lshlrev_b64_e32 v[22:23], 2, v[4:5]
	v_lshlrev_b64_e32 v[24:25], 2, v[8:9]
	v_add_nc_u32_e32 v92, v14, v26
	v_add_nc_u32_e32 v93, v14, v27
	v_lshlrev_b64_e32 v[26:27], 2, v[2:3]
	v_add_nc_u32_e32 v40, 0x11c0, v39
	v_cmp_gt_i32_e64 s1, s42, v1
	v_add_nc_u32_e32 v47, 0x10c0, v39
	v_or_b32_e32 v53, 1, v46
	v_or_b32_e32 v54, 2, v46
	;; [unrolled: 1-line block ×3, first 2 shown]
	v_add_nc_u32_e32 v56, 16, v46
	v_add_nc_u32_e32 v57, 17, v46
	;; [unrolled: 1-line block ×13, first 2 shown]
	s_wait_alu 0xfffd
	v_add_co_ci_u32_e64 v89, null, s89, v21, vcc_lo
	v_add_nc_u32_e32 v91, v14, v15
	v_lshlrev_b32_e32 v94, 2, v1
	v_add_nc_u32_e32 v95, v43, v28
	v_add_nc_u32_e32 v96, v44, v28
	;; [unrolled: 1-line block ×3, first 2 shown]
	s_add_nc_u64 s[58:59], s[74:75], s[56:57]
	s_add_nc_u64 s[62:63], s[84:85], s[56:57]
	;; [unrolled: 1-line block ×4, first 2 shown]
	s_add_co_i32 s103, s40, -2
	s_and_b32 vcc_hi, s0, s41
	s_sub_nc_u64 s[52:53], 0, s[42:43]
	s_lshl_b64 s[60:61], s[76:77], 4
	s_add_nc_u64 s[64:65], s[56:57], s[86:87]
	s_add_nc_u64 s[66:67], s[56:57], s[88:89]
	;; [unrolled: 1-line block ×3, first 2 shown]
	s_wait_alu 0xfffe
	s_add_nc_u64 s[72:73], s[62:63], s[68:69]
	s_add_nc_u64 s[76:77], s[74:75], s[86:87]
	;; [unrolled: 1-line block ×7, first 2 shown]
	s_lshl_b64 s[90:91], s[90:91], 2
	s_lshl_b64 s[92:93], s[92:93], 2
	;; [unrolled: 1-line block ×5, first 2 shown]
	s_branch .LBB137_4
.LBB137_2:                              ;   in Loop: Header=BB137_4 Depth=1
	s_wait_alu 0xfffe
	s_or_b32 exec_lo, exec_lo, s3
.LBB137_3:                              ;   in Loop: Header=BB137_4 Depth=1
	s_add_co_i32 s34, s34, 0x10000
	s_delay_alu instid0(SALU_CYCLE_1)
	s_cmp_lt_u32 s34, s33
	s_cbranch_scc0 .LBB137_131
.LBB137_4:                              ; =>This Loop Header: Depth=1
                                        ;     Child Loop BB137_71 Depth 2
	s_mul_u64 s[18:19], s[22:23], s[34:35]
	s_mul_u64 s[96:97], s[38:39], s[34:35]
	s_wait_alu 0xfffe
	s_lshl_b64 s[18:19], s[18:19], 2
	s_lshl_b64 s[96:97], s[96:97], 2
	s_wait_alu 0xfffe
	s_add_nc_u64 s[18:19], s[20:21], s[18:19]
	s_add_nc_u64 s[96:97], s[36:37], s[96:97]
	s_clause 0x1
	global_load_b32 v0, v41, s[18:19]
	global_load_b32 v1, v41, s[96:97]
	s_wait_loadcnt 0x1
	v_cmp_eq_f32_e64 s18, 0, v0
	s_wait_loadcnt 0x0
	v_cmp_eq_f32_e32 vcc_lo, 1.0, v1
	s_wait_alu 0xfffe
	s_and_b32 s3, s18, vcc_lo
	s_wait_alu 0xfffe
	s_and_b32 vcc_lo, exec_lo, s3
	s_wait_alu 0xfffe
	s_cbranch_vccnz .LBB137_3
; %bb.5:                                ;   in Loop: Header=BB137_4 Depth=1
	s_and_b32 vcc_lo, exec_lo, s18
	s_wait_alu 0xfffe
	s_cbranch_vccz .LBB137_7
; %bb.6:                                ;   in Loop: Header=BB137_4 Depth=1
	s_cbranch_execnz .LBB137_3
	s_branch .LBB137_8
.LBB137_7:                              ;   in Loop: Header=BB137_4 Depth=1
.LBB137_8:                              ;   in Loop: Header=BB137_4 Depth=1
	s_lshl_b64 s[18:19], s[34:35], 3
	s_wait_alu 0xfffe
	s_add_nc_u64 s[96:97], s[28:29], s[18:19]
	s_add_nc_u64 s[18:19], s[24:25], s[18:19]
	s_clause 0x1
	global_load_b64 v[2:3], v41, s[96:97]
	global_load_b64 v[0:1], v41, s[18:19]
	s_wait_loadcnt 0x1
	v_add_co_u32 v2, vcc_lo, v2, s30
	s_wait_alu 0xfffd
	v_add_co_ci_u32_e64 v3, null, s31, v3, vcc_lo
	s_delay_alu instid0(VALU_DEP_2) | instskip(SKIP_1) | instid1(VALU_DEP_2)
	v_add_co_u32 v4, vcc_lo, v2, v22
	s_wait_alu 0xfffd
	v_add_co_ci_u32_e64 v5, null, v3, v23, vcc_lo
	s_and_saveexec_b32 s3, s0
	s_cbranch_execz .LBB137_12
; %bb.9:                                ;   in Loop: Header=BB137_4 Depth=1
	v_mov_b32_e32 v2, 0
	s_and_saveexec_b32 s4, s41
	s_cbranch_execz .LBB137_11
; %bb.10:                               ;   in Loop: Header=BB137_4 Depth=1
	flat_load_b32 v2, v[4:5]
.LBB137_11:                             ;   in Loop: Header=BB137_4 Depth=1
	s_wait_alu 0xfffe
	s_or_b32 exec_lo, exec_lo, s4
	s_wait_loadcnt_dscnt 0x0
	ds_store_b32 v40, v2
.LBB137_12:                             ;   in Loop: Header=BB137_4 Depth=1
	s_wait_alu 0xfffe
	s_or_b32 exec_lo, exec_lo, s3
	s_wait_loadcnt 0x0
	v_add_co_u32 v0, vcc_lo, v0, s26
	s_wait_alu 0xfffd
	v_add_co_ci_u32_e64 v1, null, s27, v1, vcc_lo
	s_mov_b32 s3, -1
	v_add_co_u32 v0, vcc_lo, v0, s90
	s_wait_alu 0xfffd
	v_add_co_ci_u32_e64 v1, null, s91, v1, vcc_lo
                                        ; implicit-def: $vgpr2_vgpr3
	s_delay_alu instid0(VALU_DEP_2) | instskip(SKIP_1) | instid1(VALU_DEP_2)
	v_add_co_u32 v0, vcc_lo, v0, v17
	s_wait_alu 0xfffd
	v_add_co_ci_u32_e64 v1, null, v1, v18, vcc_lo
	s_delay_alu instid0(VALU_DEP_2) | instskip(SKIP_1) | instid1(VALU_DEP_2)
	v_add_co_u32 v0, vcc_lo, v0, s92
	s_wait_alu 0xfffd
	v_add_co_ci_u32_e64 v1, null, s93, v1, vcc_lo
	s_and_b32 vcc_lo, exec_lo, s101
	s_wait_alu 0xfffe
	s_cbranch_vccz .LBB137_22
; %bb.13:                               ;   in Loop: Header=BB137_4 Depth=1
	v_add_co_u32 v2, vcc_lo, v0, v24
	s_wait_alu 0xfffd
	v_add_co_ci_u32_e64 v3, null, v1, v25, vcc_lo
	s_lshl_b64 s[18:19], s[42:43], 2
	v_dual_mov_b32 v7, 0 :: v_dual_mov_b32 v6, 0
	s_wait_alu 0xfffe
	v_add_co_u32 v2, vcc_lo, v2, s18
	s_wait_alu 0xfffd
	v_add_co_ci_u32_e64 v3, null, s19, v3, vcc_lo
	s_delay_alu instid0(VALU_DEP_2) | instskip(SKIP_1) | instid1(VALU_DEP_2)
	v_add_co_u32 v2, vcc_lo, v2, -4
	s_wait_alu 0xfffd
	v_add_co_ci_u32_e64 v3, null, -1, v3, vcc_lo
	s_delay_alu instid0(VALU_DEP_2) | instskip(NEXT) | instid1(VALU_DEP_2)
	v_cndmask_b32_e64 v2, v2, v0, s1
	v_cndmask_b32_e64 v3, v3, v1, s1
	s_mov_b32 s3, exec_lo
	v_readlane_b32 s4, v169, 2
	s_wait_alu 0xfffe
	s_and_b32 s4, s3, s4
	s_wait_alu 0xfffe
	s_mov_b32 exec_lo, s4
	s_cbranch_execz .LBB137_15
; %bb.14:                               ;   in Loop: Header=BB137_4 Depth=1
	flat_load_b32 v6, v[2:3]
.LBB137_15:                             ;   in Loop: Header=BB137_4 Depth=1
	s_or_b32 exec_lo, exec_lo, s3
	s_wait_loadcnt_dscnt 0x0
	ds_store_b32 v91, v6
	s_mov_b32 s3, exec_lo
	v_readlane_b32 s4, v169, 3
	s_wait_alu 0xfffe
	s_and_b32 s4, s3, s4
	s_wait_alu 0xfffe
	s_mov_b32 exec_lo, s4
	s_cbranch_execz .LBB137_17
; %bb.16:                               ;   in Loop: Header=BB137_4 Depth=1
	s_lshl_b64 s[18:19], s[48:49], 2
	s_wait_alu 0xfffe
	v_add_co_u32 v6, vcc_lo, v2, s18
	s_wait_alu 0xfffd
	v_add_co_ci_u32_e64 v7, null, s19, v3, vcc_lo
	flat_load_b32 v7, v[6:7]
.LBB137_17:                             ;   in Loop: Header=BB137_4 Depth=1
	s_or_b32 exec_lo, exec_lo, s3
	v_mov_b32_e32 v6, 0
	v_mov_b32_e32 v8, 0
	s_wait_loadcnt_dscnt 0x0
	ds_store_b32 v91, v7 offset:1056
	s_mov_b32 s3, exec_lo
	v_readlane_b32 s4, v169, 4
	s_wait_alu 0xfffe
	s_and_b32 s4, s3, s4
	s_wait_alu 0xfffe
	s_mov_b32 exec_lo, s4
	s_cbranch_execz .LBB137_19
; %bb.18:                               ;   in Loop: Header=BB137_4 Depth=1
	v_add_co_u32 v7, vcc_lo, v2, s68
	s_wait_alu 0xfffd
	v_add_co_ci_u32_e64 v8, null, s69, v3, vcc_lo
	flat_load_b32 v8, v[7:8]
.LBB137_19:                             ;   in Loop: Header=BB137_4 Depth=1
	s_or_b32 exec_lo, exec_lo, s3
	s_wait_loadcnt_dscnt 0x0
	ds_store_b32 v91, v8 offset:2112
	s_and_saveexec_b32 s3, s5
	s_cbranch_execz .LBB137_21
; %bb.20:                               ;   in Loop: Header=BB137_4 Depth=1
	s_lshl_b64 s[18:19], s[50:51], 2
	s_wait_alu 0xfffe
	v_add_co_u32 v6, vcc_lo, v2, s18
	s_wait_alu 0xfffd
	v_add_co_ci_u32_e64 v7, null, s19, v3, vcc_lo
	flat_load_b32 v6, v[6:7]
.LBB137_21:                             ;   in Loop: Header=BB137_4 Depth=1
	s_wait_alu 0xfffe
	s_or_b32 exec_lo, exec_lo, s3
	v_add_co_u32 v2, vcc_lo, v2, v94
	s_wait_alu 0xfffd
	v_add_co_ci_u32_e64 v3, null, 0, v3, vcc_lo
	s_lshl_b64 s[18:19], s[52:53], 2
	s_mov_b32 s3, 0
	s_wait_alu 0xfffe
	v_add_co_u32 v2, vcc_lo, v2, s18
	s_wait_alu 0xfffd
	v_add_co_ci_u32_e64 v3, null, s19, v3, vcc_lo
	s_wait_loadcnt_dscnt 0x0
	ds_store_b32 v91, v6 offset:3168
	v_add_co_u32 v2, vcc_lo, v2, 4
	s_wait_alu 0xfffd
	v_add_co_ci_u32_e64 v3, null, 0, v3, vcc_lo
	s_delay_alu instid0(VALU_DEP_2) | instskip(NEXT) | instid1(VALU_DEP_2)
	v_cndmask_b32_e64 v2, v2, v0, s1
	v_cndmask_b32_e64 v3, v3, v1, s1
.LBB137_22:                             ;   in Loop: Header=BB137_4 Depth=1
	s_and_b32 vcc_lo, exec_lo, s3
	s_wait_alu 0xfffe
	s_cbranch_vccz .LBB137_24
; %bb.23:                               ;   in Loop: Header=BB137_4 Depth=1
	s_lshl_b64 s[18:19], s[48:49], 2
	s_wait_alu 0xfffe
	v_add_co_u32 v2, vcc_lo, v0, s18
	s_wait_alu 0xfffd
	v_add_co_ci_u32_e64 v3, null, s19, v1, vcc_lo
	s_delay_alu instid0(VALU_DEP_2) | instskip(SKIP_1) | instid1(VALU_DEP_2)
	v_add_co_u32 v6, vcc_lo, v2, s54
	s_wait_alu 0xfffd
	v_add_co_ci_u32_e64 v7, null, s55, v3, vcc_lo
	s_delay_alu instid0(VALU_DEP_2) | instskip(SKIP_1) | instid1(VALU_DEP_2)
	v_add_co_u32 v8, vcc_lo, v6, s54
	s_wait_alu 0xfffd
	v_add_co_ci_u32_e64 v9, null, s55, v7, vcc_lo
	s_clause 0x3
	flat_load_b32 v10, v[0:1]
	flat_load_b32 v11, v[2:3]
	;; [unrolled: 1-line block ×4, first 2 shown]
	v_dual_mov_b32 v3, v1 :: v_dual_mov_b32 v2, v0
	s_wait_loadcnt_dscnt 0x303
	ds_store_b32 v91, v10
	s_wait_loadcnt_dscnt 0x203
	ds_store_b32 v91, v11 offset:1056
	s_wait_loadcnt_dscnt 0x103
	ds_store_b32 v91, v6 offset:2112
	;; [unrolled: 2-line block ×3, first 2 shown]
.LBB137_24:                             ;   in Loop: Header=BB137_4 Depth=1
	s_wait_dscnt 0x0
	s_barrier_signal -1
	s_barrier_wait -1
	global_inv scope:SCOPE_SE
	s_and_saveexec_b32 s3, s6
	s_cbranch_execnz .LBB137_125
; %bb.25:                               ;   in Loop: Header=BB137_4 Depth=1
	s_wait_alu 0xfffe
	s_or_b32 exec_lo, exec_lo, s3
	s_and_saveexec_b32 s3, s7
	s_cbranch_execnz .LBB137_126
.LBB137_26:                             ;   in Loop: Header=BB137_4 Depth=1
	s_wait_alu 0xfffe
	s_or_b32 exec_lo, exec_lo, s3
	s_and_saveexec_b32 s3, s8
	s_cbranch_execnz .LBB137_127
.LBB137_27:                             ;   in Loop: Header=BB137_4 Depth=1
	s_wait_alu 0xfffe
	s_or_b32 exec_lo, exec_lo, s3
	s_and_saveexec_b32 s3, s9
	s_cbranch_execz .LBB137_29
.LBB137_28:                             ;   in Loop: Header=BB137_4 Depth=1
	ds_load_b32 v0, v93 offset:264
	s_wait_dscnt 0x0
	ds_store_b32 v43, v0 offset:12
.LBB137_29:                             ;   in Loop: Header=BB137_4 Depth=1
	s_wait_alu 0xfffe
	s_or_b32 exec_lo, exec_lo, s3
	s_wait_loadcnt_dscnt 0x0
	s_barrier_signal -1
	s_barrier_wait -1
	global_inv scope:SCOPE_SE
	ds_load_b32 v10, v92
	ds_load_b32 v11, v93 offset:264
	ds_load_b128 v[6:9], v44
	ds_load_2addr_b32 v[0:1], v93 offset1:33
	v_mov_b32_e32 v98, 0
	s_wait_loadcnt_dscnt 0x0
	s_barrier_signal -1
	s_barrier_wait -1
	global_inv scope:SCOPE_SE
	v_fma_f32 v6, v10, v6, 0
	s_delay_alu instid0(VALU_DEP_1) | instskip(NEXT) | instid1(VALU_DEP_1)
	v_fmac_f32_e32 v6, v0, v7
	v_fmac_f32_e32 v6, v1, v8
	s_delay_alu instid0(VALU_DEP_1)
	v_fmac_f32_e32 v6, v11, v9
	ds_store_b32 v45, v6
	s_wait_loadcnt_dscnt 0x0
	s_barrier_signal -1
	s_barrier_wait -1
	global_inv scope:SCOPE_SE
	s_and_saveexec_b32 s3, s10
	s_cbranch_execz .LBB137_31
; %bb.30:                               ;   in Loop: Header=BB137_4 Depth=1
	ds_load_2addr_b32 v[0:1], v42 offset1:1
	ds_load_2addr_b32 v[6:7], v42 offset0:2 offset1:3
	ds_load_2addr_b32 v[8:9], v42 offset0:4 offset1:5
	ds_load_2addr_b32 v[10:11], v42 offset0:6 offset1:7
	s_wait_dscnt 0x3
	v_add_f32_e32 v0, v0, v1
	s_wait_dscnt 0x2
	s_delay_alu instid0(VALU_DEP_1) | instskip(NEXT) | instid1(VALU_DEP_1)
	v_add_f32_e32 v0, v0, v6
	v_add_f32_e32 v0, v0, v7
	s_wait_dscnt 0x1
	s_delay_alu instid0(VALU_DEP_1) | instskip(NEXT) | instid1(VALU_DEP_1)
	v_add_f32_e32 v0, v0, v8
	;; [unrolled: 4-line block ×3, first 2 shown]
	v_add_f32_e32 v98, v0, v11
.LBB137_31:                             ;   in Loop: Header=BB137_4 Depth=1
	s_wait_alu 0xfffe
	s_or_b32 exec_lo, exec_lo, s3
	v_add_co_u32 v6, vcc_lo, v2, s56
	s_wait_alu 0xfffd
	v_add_co_ci_u32_e64 v7, null, s57, v3, vcc_lo
	s_mov_b32 s3, -1
	v_add_co_u32 v2, vcc_lo, 0x80, v6
	s_wait_alu 0xfffd
	v_add_co_ci_u32_e64 v3, null, 0, v7, vcc_lo
	s_and_b32 vcc_lo, exec_lo, s101
	s_wait_loadcnt 0x0
	s_barrier_signal -1
	s_barrier_wait -1
	global_inv scope:SCOPE_SE
                                        ; implicit-def: $vgpr0_vgpr1
	s_wait_alu 0xfffe
	s_cbranch_vccz .LBB137_41
; %bb.32:                               ;   in Loop: Header=BB137_4 Depth=1
	v_add_co_u32 v0, vcc_lo, v6, v24
	s_wait_alu 0xfffd
	v_add_co_ci_u32_e64 v1, null, v7, v25, vcc_lo
	s_lshl_b64 s[18:19], s[42:43], 2
	v_dual_mov_b32 v9, 0 :: v_dual_mov_b32 v8, 0
	s_wait_alu 0xfffe
	v_add_co_u32 v0, vcc_lo, v0, s18
	s_wait_alu 0xfffd
	v_add_co_ci_u32_e64 v1, null, s19, v1, vcc_lo
	s_delay_alu instid0(VALU_DEP_2) | instskip(SKIP_1) | instid1(VALU_DEP_2)
	v_add_co_u32 v0, vcc_lo, v0, -4
	s_wait_alu 0xfffd
	v_add_co_ci_u32_e64 v1, null, -1, v1, vcc_lo
	s_delay_alu instid0(VALU_DEP_2) | instskip(NEXT) | instid1(VALU_DEP_2)
	v_cndmask_b32_e64 v0, v0, v2, s11
	v_cndmask_b32_e64 v1, v1, v3, s11
	s_and_saveexec_b32 s3, s12
	s_cbranch_execz .LBB137_34
; %bb.33:                               ;   in Loop: Header=BB137_4 Depth=1
	flat_load_b32 v8, v[0:1]
.LBB137_34:                             ;   in Loop: Header=BB137_4 Depth=1
	s_wait_alu 0xfffe
	s_or_b32 exec_lo, exec_lo, s3
	s_wait_loadcnt_dscnt 0x0
	ds_store_b32 v91, v8
	s_and_saveexec_b32 s3, s13
	s_cbranch_execz .LBB137_36
; %bb.35:                               ;   in Loop: Header=BB137_4 Depth=1
	s_lshl_b64 s[18:19], s[48:49], 2
	s_wait_alu 0xfffe
	v_add_co_u32 v8, vcc_lo, v0, s18
	s_wait_alu 0xfffd
	v_add_co_ci_u32_e64 v9, null, s19, v1, vcc_lo
	flat_load_b32 v9, v[8:9]
.LBB137_36:                             ;   in Loop: Header=BB137_4 Depth=1
	s_wait_alu 0xfffe
	s_or_b32 exec_lo, exec_lo, s3
	v_mov_b32_e32 v8, 0
	v_mov_b32_e32 v10, 0
	s_wait_loadcnt_dscnt 0x0
	ds_store_b32 v91, v9 offset:1056
	s_and_saveexec_b32 s3, s14
	s_cbranch_execz .LBB137_38
; %bb.37:                               ;   in Loop: Header=BB137_4 Depth=1
	v_add_co_u32 v9, vcc_lo, v0, s68
	s_wait_alu 0xfffd
	v_add_co_ci_u32_e64 v10, null, s69, v1, vcc_lo
	flat_load_b32 v10, v[9:10]
.LBB137_38:                             ;   in Loop: Header=BB137_4 Depth=1
	s_wait_alu 0xfffe
	s_or_b32 exec_lo, exec_lo, s3
	s_wait_loadcnt_dscnt 0x0
	ds_store_b32 v91, v10 offset:2112
	s_and_saveexec_b32 s3, s15
	s_cbranch_execz .LBB137_40
; %bb.39:                               ;   in Loop: Header=BB137_4 Depth=1
	s_lshl_b64 s[18:19], s[50:51], 2
	s_wait_alu 0xfffe
	v_add_co_u32 v8, vcc_lo, v0, s18
	s_wait_alu 0xfffd
	v_add_co_ci_u32_e64 v9, null, s19, v1, vcc_lo
	flat_load_b32 v8, v[8:9]
.LBB137_40:                             ;   in Loop: Header=BB137_4 Depth=1
	s_wait_alu 0xfffe
	s_or_b32 exec_lo, exec_lo, s3
	v_add_co_u32 v0, vcc_lo, v0, v94
	s_wait_alu 0xfffd
	v_add_co_ci_u32_e64 v1, null, 0, v1, vcc_lo
	s_lshl_b64 s[18:19], s[52:53], 2
	s_mov_b32 s3, 0
	s_wait_alu 0xfffe
	v_add_co_u32 v0, vcc_lo, v0, s18
	s_wait_alu 0xfffd
	v_add_co_ci_u32_e64 v1, null, s19, v1, vcc_lo
	s_wait_loadcnt_dscnt 0x0
	ds_store_b32 v91, v8 offset:3168
	v_add_co_u32 v0, vcc_lo, 0x84, v0
	s_wait_alu 0xfffd
	v_add_co_ci_u32_e64 v1, null, 0, v1, vcc_lo
	s_delay_alu instid0(VALU_DEP_2) | instskip(NEXT) | instid1(VALU_DEP_2)
	v_cndmask_b32_e64 v0, v0, v2, s11
	v_cndmask_b32_e64 v1, v1, v3, s11
.LBB137_41:                             ;   in Loop: Header=BB137_4 Depth=1
	s_and_b32 vcc_lo, exec_lo, s3
	s_wait_alu 0xfffe
	s_cbranch_vccz .LBB137_43
; %bb.42:                               ;   in Loop: Header=BB137_4 Depth=1
	s_lshl_b64 s[18:19], s[48:49], 2
	s_wait_alu 0xfffe
	v_add_co_u32 v0, vcc_lo, v6, s18
	s_wait_alu 0xfffd
	v_add_co_ci_u32_e64 v1, null, s19, v7, vcc_lo
	s_delay_alu instid0(VALU_DEP_2) | instskip(SKIP_1) | instid1(VALU_DEP_2)
	v_add_co_u32 v8, vcc_lo, v0, s54
	s_wait_alu 0xfffd
	v_add_co_ci_u32_e64 v9, null, s55, v1, vcc_lo
	s_delay_alu instid0(VALU_DEP_2) | instskip(SKIP_1) | instid1(VALU_DEP_2)
	v_add_co_u32 v10, vcc_lo, v8, s54
	s_wait_alu 0xfffd
	v_add_co_ci_u32_e64 v11, null, s55, v9, vcc_lo
	s_clause 0x3
	flat_load_b32 v6, v[6:7] offset:128
	flat_load_b32 v7, v[0:1] offset:128
	;; [unrolled: 1-line block ×4, first 2 shown]
	v_dual_mov_b32 v0, v2 :: v_dual_mov_b32 v1, v3
	s_wait_loadcnt_dscnt 0x303
	ds_store_b32 v91, v6
	s_wait_loadcnt_dscnt 0x203
	ds_store_b32 v91, v7 offset:1056
	s_wait_loadcnt_dscnt 0x103
	ds_store_b32 v91, v8 offset:2112
	;; [unrolled: 2-line block ×3, first 2 shown]
.LBB137_43:                             ;   in Loop: Header=BB137_4 Depth=1
	s_wait_loadcnt_dscnt 0x0
	s_barrier_signal -1
	s_barrier_wait -1
	global_inv scope:SCOPE_SE
	s_and_saveexec_b32 s3, s6
	s_cbranch_execnz .LBB137_128
; %bb.44:                               ;   in Loop: Header=BB137_4 Depth=1
	s_wait_alu 0xfffe
	s_or_b32 exec_lo, exec_lo, s3
	s_and_saveexec_b32 s3, s7
	s_cbranch_execnz .LBB137_129
.LBB137_45:                             ;   in Loop: Header=BB137_4 Depth=1
	s_wait_alu 0xfffe
	s_or_b32 exec_lo, exec_lo, s3
	s_and_saveexec_b32 s3, s8
	s_cbranch_execnz .LBB137_130
.LBB137_46:                             ;   in Loop: Header=BB137_4 Depth=1
	s_wait_alu 0xfffe
	s_or_b32 exec_lo, exec_lo, s3
	s_and_saveexec_b32 s3, s9
	s_cbranch_execz .LBB137_48
.LBB137_47:                             ;   in Loop: Header=BB137_4 Depth=1
	ds_load_b32 v2, v93 offset:264
	s_wait_dscnt 0x0
	ds_store_b32 v43, v2 offset:12
.LBB137_48:                             ;   in Loop: Header=BB137_4 Depth=1
	s_wait_alu 0xfffe
	s_or_b32 exec_lo, exec_lo, s3
	s_wait_loadcnt_dscnt 0x0
	s_barrier_signal -1
	s_barrier_wait -1
	global_inv scope:SCOPE_SE
	ds_load_b32 v10, v92
	ds_load_b32 v11, v93 offset:264
	ds_load_b128 v[6:9], v44 offset:128
	ds_load_2addr_b32 v[2:3], v93 offset1:33
	s_wait_loadcnt_dscnt 0x0
	s_barrier_signal -1
	s_barrier_wait -1
	global_inv scope:SCOPE_SE
	v_fma_f32 v6, v10, v6, 0
	s_delay_alu instid0(VALU_DEP_1) | instskip(NEXT) | instid1(VALU_DEP_1)
	v_fmac_f32_e32 v6, v2, v7
	v_fmac_f32_e32 v6, v3, v8
	s_delay_alu instid0(VALU_DEP_1)
	v_fmac_f32_e32 v6, v11, v9
	ds_store_b32 v45, v6
	s_wait_loadcnt_dscnt 0x0
	s_barrier_signal -1
	s_barrier_wait -1
	global_inv scope:SCOPE_SE
	s_and_saveexec_b32 s3, s16
	s_cbranch_execz .LBB137_50
; %bb.49:                               ;   in Loop: Header=BB137_4 Depth=1
	ds_load_2addr_b32 v[2:3], v42 offset1:1
	ds_load_2addr_b32 v[6:7], v42 offset0:2 offset1:3
	ds_load_2addr_b32 v[8:9], v42 offset0:4 offset1:5
	;; [unrolled: 1-line block ×3, first 2 shown]
	s_wait_dscnt 0x3
	v_add_f32_e32 v2, v2, v3
	s_wait_dscnt 0x2
	s_delay_alu instid0(VALU_DEP_1) | instskip(NEXT) | instid1(VALU_DEP_1)
	v_add_f32_e32 v2, v2, v6
	v_add_f32_e32 v2, v2, v7
	s_wait_dscnt 0x1
	s_delay_alu instid0(VALU_DEP_1) | instskip(NEXT) | instid1(VALU_DEP_1)
	v_add_f32_e32 v2, v2, v8
	;; [unrolled: 4-line block ×3, first 2 shown]
	v_add_f32_e32 v98, v2, v11
.LBB137_50:                             ;   in Loop: Header=BB137_4 Depth=1
	s_wait_alu 0xfffe
	s_or_b32 exec_lo, exec_lo, s3
	v_add_co_u32 v2, vcc_lo, 0xffffff80, v0
	s_wait_alu 0xfffd
	v_add_co_ci_u32_e64 v3, null, -1, v1, vcc_lo
	s_and_b32 vcc_lo, exec_lo, s101
	s_mov_b32 s3, -1
	s_wait_loadcnt 0x0
	s_barrier_signal -1
	s_barrier_wait -1
	global_inv scope:SCOPE_SE
                                        ; implicit-def: $vgpr6_vgpr7
	s_wait_alu 0xfffe
	s_cbranch_vccz .LBB137_60
; %bb.51:                               ;   in Loop: Header=BB137_4 Depth=1
	v_add_co_u32 v6, vcc_lo, v0, v24
	s_wait_alu 0xfffd
	v_add_co_ci_u32_e64 v7, null, v1, v25, vcc_lo
	s_lshl_b64 s[18:19], s[42:43], 2
	v_dual_mov_b32 v9, 0 :: v_dual_mov_b32 v8, 0
	s_wait_alu 0xfffe
	v_add_co_u32 v6, vcc_lo, v6, s18
	s_wait_alu 0xfffd
	v_add_co_ci_u32_e64 v7, null, s19, v7, vcc_lo
	s_delay_alu instid0(VALU_DEP_2) | instskip(SKIP_1) | instid1(VALU_DEP_2)
	v_add_co_u32 v6, vcc_lo, 0xffffff7c, v6
	s_wait_alu 0xfffd
	v_add_co_ci_u32_e64 v7, null, -1, v7, vcc_lo
	s_delay_alu instid0(VALU_DEP_2) | instskip(NEXT) | instid1(VALU_DEP_2)
	v_cndmask_b32_e64 v6, v6, v2, s1
	v_cndmask_b32_e64 v7, v7, v3, s1
	s_and_saveexec_b32 s3, s12
	s_cbranch_execz .LBB137_53
; %bb.52:                               ;   in Loop: Header=BB137_4 Depth=1
	flat_load_b32 v8, v[6:7]
.LBB137_53:                             ;   in Loop: Header=BB137_4 Depth=1
	s_wait_alu 0xfffe
	s_or_b32 exec_lo, exec_lo, s3
	s_wait_loadcnt_dscnt 0x0
	ds_store_b32 v91, v8
	s_and_saveexec_b32 s3, s13
	s_cbranch_execz .LBB137_55
; %bb.54:                               ;   in Loop: Header=BB137_4 Depth=1
	s_lshl_b64 s[18:19], s[48:49], 2
	s_wait_alu 0xfffe
	v_add_co_u32 v8, vcc_lo, v6, s18
	s_wait_alu 0xfffd
	v_add_co_ci_u32_e64 v9, null, s19, v7, vcc_lo
	flat_load_b32 v9, v[8:9]
.LBB137_55:                             ;   in Loop: Header=BB137_4 Depth=1
	s_wait_alu 0xfffe
	s_or_b32 exec_lo, exec_lo, s3
	v_mov_b32_e32 v8, 0
	v_mov_b32_e32 v10, 0
	s_wait_loadcnt_dscnt 0x0
	ds_store_b32 v91, v9 offset:1056
	s_and_saveexec_b32 s3, s14
	s_cbranch_execz .LBB137_57
; %bb.56:                               ;   in Loop: Header=BB137_4 Depth=1
	v_add_co_u32 v9, vcc_lo, v6, s68
	s_wait_alu 0xfffd
	v_add_co_ci_u32_e64 v10, null, s69, v7, vcc_lo
	flat_load_b32 v10, v[9:10]
.LBB137_57:                             ;   in Loop: Header=BB137_4 Depth=1
	s_wait_alu 0xfffe
	s_or_b32 exec_lo, exec_lo, s3
	s_wait_loadcnt_dscnt 0x0
	ds_store_b32 v91, v10 offset:2112
	s_and_saveexec_b32 s3, s15
	s_cbranch_execz .LBB137_59
; %bb.58:                               ;   in Loop: Header=BB137_4 Depth=1
	s_lshl_b64 s[18:19], s[50:51], 2
	s_wait_alu 0xfffe
	v_add_co_u32 v8, vcc_lo, v6, s18
	s_wait_alu 0xfffd
	v_add_co_ci_u32_e64 v9, null, s19, v7, vcc_lo
	flat_load_b32 v8, v[8:9]
.LBB137_59:                             ;   in Loop: Header=BB137_4 Depth=1
	s_wait_alu 0xfffe
	s_or_b32 exec_lo, exec_lo, s3
	v_add_co_u32 v6, vcc_lo, v6, v94
	s_wait_alu 0xfffd
	v_add_co_ci_u32_e64 v7, null, 0, v7, vcc_lo
	s_lshl_b64 s[18:19], s[52:53], 2
	s_mov_b32 s3, 0
	s_wait_alu 0xfffe
	v_add_co_u32 v6, vcc_lo, v6, s18
	s_wait_alu 0xfffd
	v_add_co_ci_u32_e64 v7, null, s19, v7, vcc_lo
	s_wait_loadcnt_dscnt 0x0
	ds_store_b32 v91, v8 offset:3168
	v_add_co_u32 v6, vcc_lo, v6, 4
	s_wait_alu 0xfffd
	v_add_co_ci_u32_e64 v7, null, 0, v7, vcc_lo
	s_delay_alu instid0(VALU_DEP_2) | instskip(NEXT) | instid1(VALU_DEP_2)
	v_cndmask_b32_e64 v6, v6, v2, s1
	v_cndmask_b32_e64 v7, v7, v3, s1
.LBB137_60:                             ;   in Loop: Header=BB137_4 Depth=1
	s_and_b32 vcc_lo, exec_lo, s3
	s_wait_alu 0xfffe
	s_cbranch_vccz .LBB137_62
; %bb.61:                               ;   in Loop: Header=BB137_4 Depth=1
	s_lshl_b64 s[18:19], s[48:49], 2
	s_wait_alu 0xfffe
	v_add_co_u32 v6, vcc_lo, v0, s18
	s_wait_alu 0xfffd
	v_add_co_ci_u32_e64 v7, null, s19, v1, vcc_lo
	s_delay_alu instid0(VALU_DEP_2) | instskip(SKIP_1) | instid1(VALU_DEP_2)
	v_add_co_u32 v8, vcc_lo, v6, s54
	s_wait_alu 0xfffd
	v_add_co_ci_u32_e64 v9, null, s55, v7, vcc_lo
	s_delay_alu instid0(VALU_DEP_2) | instskip(SKIP_1) | instid1(VALU_DEP_2)
	v_add_co_u32 v10, vcc_lo, v8, s54
	s_wait_alu 0xfffd
	v_add_co_ci_u32_e64 v11, null, s55, v9, vcc_lo
	s_clause 0x3
	flat_load_b32 v0, v[0:1] offset:-128
	flat_load_b32 v1, v[6:7] offset:-128
	;; [unrolled: 1-line block ×4, first 2 shown]
	v_dual_mov_b32 v7, v3 :: v_dual_mov_b32 v6, v2
	s_wait_loadcnt_dscnt 0x303
	ds_store_b32 v91, v0
	s_wait_loadcnt_dscnt 0x203
	ds_store_b32 v91, v1 offset:1056
	s_wait_loadcnt_dscnt 0x103
	ds_store_b32 v91, v8 offset:2112
	;; [unrolled: 2-line block ×3, first 2 shown]
.LBB137_62:                             ;   in Loop: Header=BB137_4 Depth=1
	s_wait_loadcnt_dscnt 0x0
	s_barrier_signal -1
	s_barrier_wait -1
	global_inv scope:SCOPE_SE
	ds_load_b32 v0, v95
	ds_load_b32 v1, v96
	ds_load_2addr_b32 v[12:13], v69 offset0:8 offset1:16
	ds_load_2addr_b32 v[14:15], v70 offset0:8 offset1:16
	ds_load_b32 v28, v69 offset:96
	ds_load_b32 v29, v70 offset:96
	;; [unrolled: 1-line block ×3, first 2 shown]
	s_wait_dscnt 0x5
	v_fma_f32 v30, v0, v1, 0
	ds_load_b32 v11, v92
	ds_load_b128 v[0:3], v44 offset:128
	ds_load_2addr_b32 v[8:9], v93 offset1:33
	s_wait_loadcnt_dscnt 0x0
	s_barrier_signal -1
	s_barrier_wait -1
	v_fmac_f32_e32 v30, v12, v14
	global_inv scope:SCOPE_SE
	v_fmac_f32_e32 v30, v13, v15
	s_delay_alu instid0(VALU_DEP_1)
	v_fmac_f32_e32 v30, v28, v29
	ds_store_b32 v45, v30
	s_wait_loadcnt_dscnt 0x0
	s_barrier_signal -1
	s_barrier_wait -1
	global_inv scope:SCOPE_SE
	s_and_saveexec_b32 s3, s16
	s_cbranch_execz .LBB137_64
; %bb.63:                               ;   in Loop: Header=BB137_4 Depth=1
	ds_load_2addr_b32 v[12:13], v42 offset1:1
	ds_load_2addr_b32 v[14:15], v42 offset0:2 offset1:3
	ds_load_2addr_b32 v[28:29], v42 offset0:4 offset1:5
	;; [unrolled: 1-line block ×3, first 2 shown]
	s_wait_dscnt 0x3
	v_add_f32_e32 v12, v98, v12
	s_delay_alu instid0(VALU_DEP_1) | instskip(SKIP_1) | instid1(VALU_DEP_1)
	v_add_f32_e32 v12, v12, v13
	s_wait_dscnt 0x2
	v_add_f32_e32 v12, v12, v14
	s_delay_alu instid0(VALU_DEP_1) | instskip(SKIP_1) | instid1(VALU_DEP_1)
	v_add_f32_e32 v12, v12, v15
	s_wait_dscnt 0x1
	v_add_f32_e32 v12, v12, v28
	s_delay_alu instid0(VALU_DEP_1) | instskip(SKIP_1) | instid1(VALU_DEP_1)
	v_add_f32_e32 v12, v12, v29
	s_wait_dscnt 0x0
	v_add_f32_e32 v12, v12, v30
	s_delay_alu instid0(VALU_DEP_1)
	v_add_f32_e32 v98, v12, v31
.LBB137_64:                             ;   in Loop: Header=BB137_4 Depth=1
	s_wait_alu 0xfffe
	s_or_b32 exec_lo, exec_lo, s3
	v_fma_f32 v0, v11, v0, 0
	s_wait_loadcnt 0x0
	s_barrier_signal -1
	s_barrier_wait -1
	global_inv scope:SCOPE_SE
	v_fmac_f32_e32 v0, v8, v1
	s_delay_alu instid0(VALU_DEP_1) | instskip(NEXT) | instid1(VALU_DEP_1)
	v_fmac_f32_e32 v0, v9, v2
	v_fmac_f32_e32 v0, v10, v3
	ds_store_b32 v45, v0
	s_wait_loadcnt_dscnt 0x0
	s_barrier_signal -1
	s_barrier_wait -1
	global_inv scope:SCOPE_SE
	s_and_saveexec_b32 s3, s10
	s_cbranch_execz .LBB137_66
; %bb.65:                               ;   in Loop: Header=BB137_4 Depth=1
	ds_load_2addr_b32 v[0:1], v42 offset1:1
	ds_load_2addr_b32 v[2:3], v42 offset0:2 offset1:3
	ds_load_2addr_b32 v[8:9], v42 offset0:4 offset1:5
	;; [unrolled: 1-line block ×3, first 2 shown]
	s_wait_dscnt 0x3
	v_add_f32_e32 v0, v98, v0
	s_delay_alu instid0(VALU_DEP_1) | instskip(SKIP_1) | instid1(VALU_DEP_1)
	v_add_f32_e32 v0, v0, v1
	s_wait_dscnt 0x2
	v_add_f32_e32 v0, v0, v2
	s_delay_alu instid0(VALU_DEP_1) | instskip(SKIP_1) | instid1(VALU_DEP_1)
	v_add_f32_e32 v0, v0, v3
	;; [unrolled: 4-line block ×3, first 2 shown]
	s_wait_dscnt 0x0
	v_add_f32_e32 v0, v0, v10
	s_delay_alu instid0(VALU_DEP_1)
	v_add_f32_e32 v98, v0, v11
.LBB137_66:                             ;   in Loop: Header=BB137_4 Depth=1
	s_wait_alu 0xfffe
	s_or_b32 exec_lo, exec_lo, s3
	v_readlane_b32 s18, v169, 0
	v_readlane_b32 s19, v169, 1
	s_and_not1_b32 vcc_lo, exec_lo, s102
	s_wait_loadcnt 0x0
	s_barrier_signal -1
	s_barrier_wait -1
	s_mul_u64 s[18:19], s[18:19], s[34:35]
	global_inv scope:SCOPE_SE
	s_wait_alu 0xfffe
	s_lshl_b64 s[18:19], s[18:19], 2
	s_wait_alu 0xfffe
	s_add_nc_u64 s[96:97], s[46:47], s[18:19]
	s_cbranch_vccnz .LBB137_123
; %bb.67:                               ;   in Loop: Header=BB137_4 Depth=1
	v_add_co_u32 v99, vcc_lo, v4, s94
	s_wait_alu 0xfffd
	v_add_co_ci_u32_e64 v100, null, s95, v5, vcc_lo
	v_add_co_u32 v101, vcc_lo, v6, s56
	s_wait_alu 0xfffd
	v_add_co_ci_u32_e64 v102, null, s57, v7, vcc_lo
	;; [unrolled: 3-line block ×25, first 2 shown]
	v_mov_b32_e32 v28, v71
	s_mov_b32 s19, ttmp9
	s_mov_b32 s98, s2
	s_wait_alu 0xfffe
	s_cmp_eq_u32 s103, s19
	s_cselect_b32 s3, s100, 0
	s_and_saveexec_b32 s18, s0
	s_cbranch_execz .LBB137_71
.LBB137_68:                             ;   in Loop: Header=BB137_4 Depth=1
	s_wait_alu 0xfffe
	v_cmp_gt_i32_e32 vcc_lo, s3, v16
	s_cmp_eq_u32 s3, 0
	v_mov_b32_e32 v0, 0
	s_cselect_b32 s4, -1, 0
	s_wait_alu 0xfffe
	s_or_b32 s44, s4, vcc_lo
	s_wait_alu 0xfffe
	s_and_saveexec_b32 s4, s44
	s_cbranch_execz .LBB137_70
; %bb.69:                               ;   in Loop: Header=BB137_4 Depth=1
	s_ashr_i32 s99, s98, 31
	s_delay_alu instid0(SALU_CYCLE_1)
	s_lshl_b64 s[44:45], s[98:99], 2
	s_wait_alu 0xfffe
	v_add_co_u32 v0, vcc_lo, v99, s44
	s_wait_alu 0xfffd
	v_add_co_ci_u32_e64 v1, null, s45, v100, vcc_lo
	flat_load_b32 v0, v[0:1]
.LBB137_70:                             ;   in Loop: Header=BB137_4 Depth=1
	s_wait_alu 0xfffe
	s_or_b32 exec_lo, exec_lo, s4
	s_wait_loadcnt_dscnt 0x0
	ds_store_b32 v47, v0
.LBB137_71:                             ;   Parent Loop BB137_4 Depth=1
                                        ; =>  This Inner Loop Header: Depth=2
	s_wait_alu 0xfffe
	s_or_b32 exec_lo, exec_lo, s18
	s_cmp_eq_u32 s3, 0
	v_add_co_u32 v0, vcc_lo, v101, v74
	s_cselect_b32 s99, -1, 0
	s_cmp_lg_u32 s3, 0
	s_wait_alu 0xfffd
	v_add_co_ci_u32_e64 v1, null, v102, v75, vcc_lo
	s_cselect_b32 s18, -1, 0
	s_mov_b32 s4, -1
	s_wait_alu 0xfffe
	s_and_b32 vcc_lo, exec_lo, s18
	s_wait_loadcnt_dscnt 0x0
	s_barrier_signal -1
	s_barrier_wait -1
	global_inv scope:SCOPE_SE
                                        ; implicit-def: $vgpr150
                                        ; implicit-def: $vgpr151
                                        ; implicit-def: $vgpr149
                                        ; implicit-def: $vgpr152
	s_wait_alu 0xfffe
	s_cbranch_vccz .LBB137_81
; %bb.72:                               ;   in Loop: Header=BB137_71 Depth=2
	v_dual_mov_b32 v149, 0 :: v_dual_mov_b32 v152, 0
	s_mov_b32 s4, exec_lo
	v_cmpx_gt_i32_e64 s3, v46
	s_cbranch_execz .LBB137_74
; %bb.73:                               ;   in Loop: Header=BB137_71 Depth=2
	flat_load_b32 v152, v[0:1]
.LBB137_74:                             ;   in Loop: Header=BB137_71 Depth=2
	s_wait_alu 0xfffe
	s_or_b32 exec_lo, exec_lo, s4
	s_delay_alu instid0(SALU_CYCLE_1)
	s_mov_b32 s4, exec_lo
	v_cmpx_gt_i32_e64 s3, v53
	s_cbranch_execz .LBB137_76
; %bb.75:                               ;   in Loop: Header=BB137_71 Depth=2
	v_add_co_u32 v2, vcc_lo, v107, v74
	s_wait_alu 0xfffd
	v_add_co_ci_u32_e64 v3, null, v108, v75, vcc_lo
	flat_load_b32 v149, v[2:3]
.LBB137_76:                             ;   in Loop: Header=BB137_71 Depth=2
	s_wait_alu 0xfffe
	s_or_b32 exec_lo, exec_lo, s4
	v_dual_mov_b32 v150, 0 :: v_dual_mov_b32 v151, 0
	s_mov_b32 s4, exec_lo
	v_cmpx_gt_i32_e64 s3, v54
	s_cbranch_execz .LBB137_78
; %bb.77:                               ;   in Loop: Header=BB137_71 Depth=2
	v_add_co_u32 v2, vcc_lo, v109, v74
	s_wait_alu 0xfffd
	v_add_co_ci_u32_e64 v3, null, v110, v75, vcc_lo
	flat_load_b32 v151, v[2:3]
.LBB137_78:                             ;   in Loop: Header=BB137_71 Depth=2
	s_wait_alu 0xfffe
	s_or_b32 exec_lo, exec_lo, s4
	s_delay_alu instid0(SALU_CYCLE_1)
	s_mov_b32 s4, exec_lo
	v_cmpx_gt_i32_e64 s3, v55
	s_cbranch_execz .LBB137_80
; %bb.79:                               ;   in Loop: Header=BB137_71 Depth=2
	v_add_co_u32 v2, vcc_lo, v111, v74
	s_wait_alu 0xfffd
	v_add_co_ci_u32_e64 v3, null, v112, v75, vcc_lo
	flat_load_b32 v150, v[2:3]
.LBB137_80:                             ;   in Loop: Header=BB137_71 Depth=2
	s_wait_alu 0xfffe
	s_or_b32 exec_lo, exec_lo, s4
	s_mov_b32 s4, 0
.LBB137_81:                             ;   in Loop: Header=BB137_71 Depth=2
	s_wait_alu 0xfffe
	s_and_b32 vcc_lo, exec_lo, s4
	s_wait_alu 0xfffe
	s_cbranch_vccz .LBB137_83
; %bb.82:                               ;   in Loop: Header=BB137_71 Depth=2
	v_add_co_u32 v2, vcc_lo, v107, v74
	s_wait_alu 0xfffd
	v_add_co_ci_u32_e64 v3, null, v108, v75, vcc_lo
	v_add_co_u32 v4, vcc_lo, v103, v74
	s_wait_alu 0xfffd
	v_add_co_ci_u32_e64 v5, null, v104, v75, vcc_lo
	;; [unrolled: 3-line block ×3, first 2 shown]
	s_wait_loadcnt_dscnt 0x0
	flat_load_b32 v152, v[0:1]
	flat_load_b32 v149, v[2:3]
	;; [unrolled: 1-line block ×4, first 2 shown]
.LBB137_83:                             ;   in Loop: Header=BB137_71 Depth=2
	ds_load_b32 v4, v40
	ds_load_b128 v[0:3], v48
	v_cndmask_b32_e64 v10, 0, 1, s18
	s_mov_b32 s4, -1
                                        ; implicit-def: $vgpr155
                                        ; implicit-def: $vgpr156
                                        ; implicit-def: $vgpr153
                                        ; implicit-def: $vgpr154
	s_wait_loadcnt_dscnt 0x1
	v_mul_f32_e32 v5, v152, v4
	v_mul_f32_e32 v6, v149, v4
	;; [unrolled: 1-line block ×4, first 2 shown]
	ds_store_2addr_b32 v49, v5, v6 offset1:67
	ds_store_2addr_b32 v49, v7, v4 offset0:134 offset1:201
	s_wait_dscnt 0x0
	s_barrier_signal -1
	s_barrier_wait -1
	global_inv scope:SCOPE_SE
	ds_load_2addr_b32 v[12:13], v97 offset1:1
	ds_load_2addr_b32 v[29:30], v97 offset0:2 offset1:3
	v_add_co_u32 v4, vcc_lo, v119, v74
	s_wait_alu 0xfffd
	v_add_co_ci_u32_e64 v5, null, v120, v75, vcc_lo
	s_and_not1_b32 vcc_lo, exec_lo, s18
	s_wait_loadcnt_dscnt 0x0
	s_barrier_signal -1
	s_barrier_wait -1
	global_inv scope:SCOPE_SE
	s_wait_alu 0xfffe
	s_cbranch_vccnz .LBB137_93
; %bb.84:                               ;   in Loop: Header=BB137_71 Depth=2
	v_dual_mov_b32 v153, 0 :: v_dual_mov_b32 v154, 0
	s_mov_b32 s4, exec_lo
	v_cmpx_gt_i32_e64 s3, v56
	s_cbranch_execz .LBB137_86
; %bb.85:                               ;   in Loop: Header=BB137_71 Depth=2
	flat_load_b32 v154, v[4:5]
.LBB137_86:                             ;   in Loop: Header=BB137_71 Depth=2
	s_wait_alu 0xfffe
	s_or_b32 exec_lo, exec_lo, s4
	s_delay_alu instid0(SALU_CYCLE_1)
	s_mov_b32 s4, exec_lo
	v_cmpx_gt_i32_e64 s3, v57
	s_cbranch_execz .LBB137_88
; %bb.87:                               ;   in Loop: Header=BB137_71 Depth=2
	v_add_co_u32 v6, vcc_lo, v117, v74
	s_wait_alu 0xfffd
	v_add_co_ci_u32_e64 v7, null, v118, v75, vcc_lo
	flat_load_b32 v153, v[6:7]
.LBB137_88:                             ;   in Loop: Header=BB137_71 Depth=2
	s_wait_alu 0xfffe
	s_or_b32 exec_lo, exec_lo, s4
	v_dual_mov_b32 v155, 0 :: v_dual_mov_b32 v156, 0
	s_mov_b32 s4, exec_lo
	v_cmpx_gt_i32_e64 s3, v58
	s_cbranch_execz .LBB137_90
; %bb.89:                               ;   in Loop: Header=BB137_71 Depth=2
	v_add_co_u32 v6, vcc_lo, v121, v74
	s_wait_alu 0xfffd
	v_add_co_ci_u32_e64 v7, null, v122, v75, vcc_lo
	flat_load_b32 v156, v[6:7]
.LBB137_90:                             ;   in Loop: Header=BB137_71 Depth=2
	s_wait_alu 0xfffe
	s_or_b32 exec_lo, exec_lo, s4
	s_delay_alu instid0(SALU_CYCLE_1)
	s_mov_b32 s4, exec_lo
	v_cmpx_gt_i32_e64 s3, v59
	s_cbranch_execz .LBB137_92
; %bb.91:                               ;   in Loop: Header=BB137_71 Depth=2
	v_add_co_u32 v6, vcc_lo, v123, v74
	s_wait_alu 0xfffd
	v_add_co_ci_u32_e64 v7, null, v124, v75, vcc_lo
	flat_load_b32 v155, v[6:7]
.LBB137_92:                             ;   in Loop: Header=BB137_71 Depth=2
	s_wait_alu 0xfffe
	s_or_b32 exec_lo, exec_lo, s4
	s_mov_b32 s4, 0
.LBB137_93:                             ;   in Loop: Header=BB137_71 Depth=2
	s_wait_alu 0xfffe
	s_and_b32 vcc_lo, exec_lo, s4
	s_wait_alu 0xfffe
	s_cbranch_vccz .LBB137_95
; %bb.94:                               ;   in Loop: Header=BB137_71 Depth=2
	v_add_co_u32 v6, vcc_lo, v117, v74
	s_wait_alu 0xfffd
	v_add_co_ci_u32_e64 v7, null, v118, v75, vcc_lo
	v_add_co_u32 v8, vcc_lo, v113, v74
	s_wait_alu 0xfffd
	v_add_co_ci_u32_e64 v9, null, v114, v75, vcc_lo
	;; [unrolled: 3-line block ×3, first 2 shown]
	s_wait_loadcnt_dscnt 0x0
	flat_load_b32 v154, v[4:5]
	flat_load_b32 v153, v[6:7]
	;; [unrolled: 1-line block ×4, first 2 shown]
.LBB137_95:                             ;   in Loop: Header=BB137_71 Depth=2
	ds_load_b32 v8, v40
	ds_load_b128 v[4:7], v48 offset:64
	v_cmp_ne_u32_e32 vcc_lo, 1, v10
	s_mov_b32 s4, -1
                                        ; implicit-def: $vgpr159
                                        ; implicit-def: $vgpr160
                                        ; implicit-def: $vgpr157
                                        ; implicit-def: $vgpr158
	s_and_b32 vcc_lo, exec_lo, vcc_lo
	s_wait_loadcnt_dscnt 0x1
	v_mul_f32_e32 v9, v154, v8
	v_mul_f32_e32 v11, v153, v8
	ds_store_2addr_b32 v49, v9, v11 offset1:67
	v_mul_f32_e32 v9, v156, v8
	v_mul_f32_e32 v8, v155, v8
	ds_store_2addr_b32 v49, v9, v8 offset0:134 offset1:201
	s_wait_dscnt 0x0
	s_barrier_signal -1
	s_barrier_wait -1
	global_inv scope:SCOPE_SE
	ds_load_2addr_b32 v[31:32], v97 offset1:1
	ds_load_2addr_b32 v[14:15], v97 offset0:2 offset1:3
	v_add_co_u32 v8, s18, v131, v74
	s_wait_alu 0xf1ff
	v_add_co_ci_u32_e64 v9, null, v132, v75, s18
	s_wait_loadcnt_dscnt 0x0
	s_barrier_signal -1
	s_barrier_wait -1
	global_inv scope:SCOPE_SE
	s_wait_alu 0xfffe
	s_cbranch_vccnz .LBB137_105
; %bb.96:                               ;   in Loop: Header=BB137_71 Depth=2
	v_dual_mov_b32 v157, 0 :: v_dual_mov_b32 v158, 0
	s_mov_b32 s4, exec_lo
	v_cmpx_gt_i32_e64 s3, v60
	s_cbranch_execz .LBB137_98
; %bb.97:                               ;   in Loop: Header=BB137_71 Depth=2
	flat_load_b32 v158, v[8:9]
.LBB137_98:                             ;   in Loop: Header=BB137_71 Depth=2
	s_wait_alu 0xfffe
	s_or_b32 exec_lo, exec_lo, s4
	s_delay_alu instid0(SALU_CYCLE_1)
	s_mov_b32 s4, exec_lo
	v_cmpx_gt_i32_e64 s3, v61
	s_cbranch_execz .LBB137_100
; %bb.99:                               ;   in Loop: Header=BB137_71 Depth=2
	v_add_co_u32 v33, vcc_lo, v129, v74
	s_wait_alu 0xfffd
	v_add_co_ci_u32_e64 v34, null, v130, v75, vcc_lo
	flat_load_b32 v157, v[33:34]
.LBB137_100:                            ;   in Loop: Header=BB137_71 Depth=2
	s_wait_alu 0xfffe
	s_or_b32 exec_lo, exec_lo, s4
	v_dual_mov_b32 v159, 0 :: v_dual_mov_b32 v160, 0
	s_mov_b32 s4, exec_lo
	v_cmpx_gt_i32_e64 s3, v62
	s_cbranch_execz .LBB137_102
; %bb.101:                              ;   in Loop: Header=BB137_71 Depth=2
	v_add_co_u32 v33, vcc_lo, v133, v74
	s_wait_alu 0xfffd
	v_add_co_ci_u32_e64 v34, null, v134, v75, vcc_lo
	flat_load_b32 v160, v[33:34]
.LBB137_102:                            ;   in Loop: Header=BB137_71 Depth=2
	s_wait_alu 0xfffe
	s_or_b32 exec_lo, exec_lo, s4
	s_delay_alu instid0(SALU_CYCLE_1)
	s_mov_b32 s4, exec_lo
	v_cmpx_gt_i32_e64 s3, v63
	s_cbranch_execz .LBB137_104
; %bb.103:                              ;   in Loop: Header=BB137_71 Depth=2
	v_add_co_u32 v33, vcc_lo, v135, v74
	s_wait_alu 0xfffd
	v_add_co_ci_u32_e64 v34, null, v136, v75, vcc_lo
	flat_load_b32 v159, v[33:34]
.LBB137_104:                            ;   in Loop: Header=BB137_71 Depth=2
	s_wait_alu 0xfffe
	s_or_b32 exec_lo, exec_lo, s4
	s_mov_b32 s4, 0
.LBB137_105:                            ;   in Loop: Header=BB137_71 Depth=2
	s_wait_alu 0xfffe
	s_and_b32 vcc_lo, exec_lo, s4
	s_wait_alu 0xfffe
	s_cbranch_vccz .LBB137_107
; %bb.106:                              ;   in Loop: Header=BB137_71 Depth=2
	v_add_co_u32 v33, vcc_lo, v129, v74
	s_wait_alu 0xfffd
	v_add_co_ci_u32_e64 v34, null, v130, v75, vcc_lo
	v_add_co_u32 v35, vcc_lo, v125, v74
	s_wait_alu 0xfffd
	v_add_co_ci_u32_e64 v36, null, v126, v75, vcc_lo
	;; [unrolled: 3-line block ×3, first 2 shown]
	s_wait_loadcnt_dscnt 0x0
	flat_load_b32 v158, v[8:9]
	flat_load_b32 v157, v[33:34]
	;; [unrolled: 1-line block ×4, first 2 shown]
.LBB137_107:                            ;   in Loop: Header=BB137_71 Depth=2
	ds_load_b32 v33, v40
	v_cmp_ne_u32_e32 vcc_lo, 1, v10
	ds_load_b128 v[8:11], v48 offset:128
	v_add_co_u32 v37, s18, v143, v72
	s_wait_alu 0xf1ff
	v_add_co_ci_u32_e64 v38, null, v144, v73, s18
	s_and_b32 vcc_lo, exec_lo, vcc_lo
	s_mov_b32 s4, -1
                                        ; implicit-def: $vgpr163
                                        ; implicit-def: $vgpr164
                                        ; implicit-def: $vgpr161
                                        ; implicit-def: $vgpr162
	s_wait_loadcnt_dscnt 0x1
	v_mul_f32_e32 v34, v158, v33
	v_mul_f32_e32 v35, v157, v33
	;; [unrolled: 1-line block ×4, first 2 shown]
	ds_store_2addr_b32 v49, v34, v35 offset1:67
	ds_store_2addr_b32 v49, v36, v33 offset0:134 offset1:201
	s_wait_dscnt 0x0
	s_barrier_signal -1
	s_barrier_wait -1
	global_inv scope:SCOPE_SE
	ds_load_2addr_b32 v[35:36], v97 offset1:1
	ds_load_2addr_b32 v[33:34], v97 offset0:2 offset1:3
	s_wait_loadcnt_dscnt 0x0
	s_barrier_signal -1
	s_barrier_wait -1
	global_inv scope:SCOPE_SE
	s_wait_alu 0xfffe
	s_cbranch_vccnz .LBB137_117
; %bb.108:                              ;   in Loop: Header=BB137_71 Depth=2
	v_dual_mov_b32 v161, 0 :: v_dual_mov_b32 v162, 0
	s_mov_b32 s4, exec_lo
	v_cmpx_gt_i32_e64 s3, v64
	s_cbranch_execz .LBB137_110
; %bb.109:                              ;   in Loop: Header=BB137_71 Depth=2
	flat_load_b32 v162, v[37:38]
.LBB137_110:                            ;   in Loop: Header=BB137_71 Depth=2
	s_wait_alu 0xfffe
	s_or_b32 exec_lo, exec_lo, s4
	s_delay_alu instid0(SALU_CYCLE_1)
	s_mov_b32 s4, exec_lo
	v_cmpx_gt_i32_e64 s3, v65
	s_cbranch_execz .LBB137_112
; %bb.111:                              ;   in Loop: Header=BB137_71 Depth=2
	v_add_co_u32 v163, vcc_lo, v141, v72
	s_wait_alu 0xfffd
	v_add_co_ci_u32_e64 v164, null, v142, v73, vcc_lo
	flat_load_b32 v161, v[163:164]
.LBB137_112:                            ;   in Loop: Header=BB137_71 Depth=2
	s_wait_alu 0xfffe
	s_or_b32 exec_lo, exec_lo, s4
	v_dual_mov_b32 v163, 0 :: v_dual_mov_b32 v164, 0
	s_mov_b32 s4, exec_lo
	v_cmpx_gt_i32_e64 s3, v66
	s_cbranch_execz .LBB137_114
; %bb.113:                              ;   in Loop: Header=BB137_71 Depth=2
	v_add_co_u32 v164, vcc_lo, v145, v72
	s_wait_alu 0xfffd
	v_add_co_ci_u32_e64 v165, null, v146, v73, vcc_lo
	flat_load_b32 v164, v[164:165]
.LBB137_114:                            ;   in Loop: Header=BB137_71 Depth=2
	s_wait_alu 0xfffe
	s_or_b32 exec_lo, exec_lo, s4
	s_delay_alu instid0(SALU_CYCLE_1)
	s_mov_b32 s4, exec_lo
	v_cmpx_gt_i32_e64 s3, v67
	s_cbranch_execz .LBB137_116
; %bb.115:                              ;   in Loop: Header=BB137_71 Depth=2
	v_add_co_u32 v165, vcc_lo, v147, v72
	s_wait_alu 0xfffd
	v_add_co_ci_u32_e64 v166, null, v148, v73, vcc_lo
	flat_load_b32 v163, v[165:166]
.LBB137_116:                            ;   in Loop: Header=BB137_71 Depth=2
	s_wait_alu 0xfffe
	s_or_b32 exec_lo, exec_lo, s4
	s_mov_b32 s4, 0
.LBB137_117:                            ;   in Loop: Header=BB137_71 Depth=2
	s_wait_alu 0xfffe
	s_and_b32 vcc_lo, exec_lo, s4
	s_wait_alu 0xfffe
	s_cbranch_vccz .LBB137_119
; %bb.118:                              ;   in Loop: Header=BB137_71 Depth=2
	s_wait_loadcnt_dscnt 0x0
	v_add_co_u32 v163, vcc_lo, v141, v72
	s_wait_alu 0xfffd
	v_add_co_ci_u32_e64 v164, null, v142, v73, vcc_lo
	v_add_co_u32 v165, vcc_lo, v137, v72
	s_wait_alu 0xfffd
	v_add_co_ci_u32_e64 v166, null, v138, v73, vcc_lo
	;; [unrolled: 3-line block ×3, first 2 shown]
	flat_load_b32 v162, v[37:38]
	flat_load_b32 v161, v[163:164]
	;; [unrolled: 1-line block ×4, first 2 shown]
.LBB137_119:                            ;   in Loop: Header=BB137_71 Depth=2
	v_dual_add_f32 v35, 0, v35 :: v_dual_add_f32 v12, 0, v12
	v_cmp_gt_i32_e32 vcc_lo, s3, v16
	s_delay_alu instid0(VALU_DEP_2)
	v_dual_add_f32 v35, v35, v36 :: v_dual_add_f32 v36, v12, v13
	v_add_f32_e32 v31, 0, v31
	s_or_b32 s3, s99, vcc_lo
	s_wait_alu 0xfffe
	s_and_b32 s4, s17, s3
	v_add_f32_e32 v12, v35, v33
	v_add_f32_e32 v31, v31, v32
	ds_load_b32 v32, v40
	v_add_f32_e32 v29, v36, v29
	v_add_f32_e32 v35, v12, v34
	;; [unrolled: 1-line block ×3, first 2 shown]
	s_delay_alu instid0(VALU_DEP_3) | instskip(NEXT) | instid1(VALU_DEP_2)
	v_add_f32_e32 v29, v29, v30
	v_add_f32_e32 v37, v12, v15
	ds_load_b128 v[12:15], v48 offset:192
	s_wait_loadcnt_dscnt 0x1
	v_mul_f32_e32 v31, v162, v32
	v_mul_f32_e32 v33, v161, v32
	ds_store_2addr_b32 v49, v31, v33 offset1:67
	v_mul_f32_e32 v31, v164, v32
	v_mul_f32_e32 v32, v163, v32
	ds_store_2addr_b32 v49, v31, v32 offset0:134 offset1:201
	s_wait_dscnt 0x0
	s_barrier_signal -1
	s_barrier_wait -1
	global_inv scope:SCOPE_SE
	ds_load_2addr_b32 v[31:32], v97 offset1:1
	ds_load_2addr_b32 v[33:34], v97 offset0:2 offset1:3
	s_wait_loadcnt_dscnt 0x0
	s_barrier_signal -1
	s_barrier_wait -1
	global_inv scope:SCOPE_SE
	v_add_f32_e32 v31, 0, v31
	s_delay_alu instid0(VALU_DEP_1) | instskip(NEXT) | instid1(VALU_DEP_1)
	v_add_f32_e32 v31, v31, v32
	v_add_f32_e32 v30, v31, v33
	s_delay_alu instid0(VALU_DEP_1)
	v_add_f32_e32 v30, v30, v34
	ds_store_2addr_b32 v50, v29, v37 offset1:16
	ds_store_2addr_b32 v50, v35, v30 offset0:32 offset1:48
	s_wait_loadcnt_dscnt 0x0
	s_barrier_signal -1
	s_barrier_wait -1
	global_inv scope:SCOPE_SE
	s_wait_alu 0xfffe
	s_and_saveexec_b32 s3, s4
	s_cbranch_execz .LBB137_121
; %bb.120:                              ;   in Loop: Header=BB137_71 Depth=2
	ds_load_2addr_b32 v[29:30], v51 offset1:1
	ds_load_2addr_b32 v[31:32], v51 offset0:2 offset1:3
	ds_load_2addr_b32 v[33:34], v51 offset0:4 offset1:5
	;; [unrolled: 1-line block ×3, first 2 shown]
	s_wait_dscnt 0x3
	v_add_f32_e32 v29, v29, v30
	s_wait_dscnt 0x2
	s_delay_alu instid0(VALU_DEP_1) | instskip(NEXT) | instid1(VALU_DEP_1)
	v_add_f32_e32 v29, v29, v31
	v_add_f32_e32 v31, v29, v32
	ds_load_2addr_b32 v[29:30], v51 offset0:8 offset1:9
	s_wait_dscnt 0x2
	v_add_f32_e32 v31, v31, v33
	s_delay_alu instid0(VALU_DEP_1) | instskip(SKIP_3) | instid1(VALU_DEP_1)
	v_add_f32_e32 v33, v31, v34
	ds_load_2addr_b32 v[31:32], v51 offset0:10 offset1:11
	s_wait_dscnt 0x2
	v_add_f32_e32 v33, v33, v35
	v_add_f32_e32 v35, v33, v36
	ds_load_2addr_b32 v[33:34], v51 offset0:12 offset1:13
	ds_load_b32 v36, v51 offset:56
	s_wait_dscnt 0x3
	v_add_f32_e32 v29, v35, v29
	s_delay_alu instid0(VALU_DEP_1) | instskip(SKIP_1) | instid1(VALU_DEP_1)
	v_add_f32_e32 v29, v29, v30
	s_wait_dscnt 0x2
	v_add_f32_e32 v29, v29, v31
	ds_load_b32 v31, v52
	v_add_f32_e32 v29, v29, v32
	s_wait_dscnt 0x2
	s_delay_alu instid0(VALU_DEP_1) | instskip(NEXT) | instid1(VALU_DEP_1)
	v_add_f32_e32 v29, v29, v33
	v_add_f32_e32 v30, v29, v34
	v_ashrrev_i32_e32 v29, 31, v28
	s_wait_dscnt 0x1
	s_delay_alu instid0(VALU_DEP_2) | instskip(NEXT) | instid1(VALU_DEP_2)
	v_add_f32_e32 v32, v30, v36
	v_lshlrev_b64_e32 v[29:30], 2, v[28:29]
	s_wait_dscnt 0x0
	s_delay_alu instid0(VALU_DEP_2) | instskip(NEXT) | instid1(VALU_DEP_2)
	v_add_f32_e32 v31, v32, v31
	v_add_co_u32 v29, vcc_lo, s96, v29
	s_wait_alu 0xfffd
	s_delay_alu instid0(VALU_DEP_3)
	v_add_co_ci_u32_e64 v30, null, s97, v30, vcc_lo
	global_store_b32 v[29:30], v31, off
.LBB137_121:                            ;   in Loop: Header=BB137_71 Depth=2
	s_wait_alu 0xfffe
	s_or_b32 exec_lo, exec_lo, s3
	v_fmac_f32_e32 v98, v152, v0
	v_add_co_u32 v103, vcc_lo, v103, s60
	s_wait_alu 0xfffd
	v_add_co_ci_u32_e64 v104, null, s61, v104, vcc_lo
	s_delay_alu instid0(VALU_DEP_3) | instskip(SKIP_3) | instid1(VALU_DEP_3)
	v_fmac_f32_e32 v98, v149, v1
	v_add_co_u32 v105, vcc_lo, v105, s60
	s_wait_alu 0xfffd
	v_add_co_ci_u32_e64 v106, null, s61, v106, vcc_lo
	v_fmac_f32_e32 v98, v151, v2
	v_add_co_u32 v107, vcc_lo, v107, s60
	s_wait_alu 0xfffd
	v_add_co_ci_u32_e64 v108, null, s61, v108, vcc_lo
	s_delay_alu instid0(VALU_DEP_3) | instskip(SKIP_3) | instid1(VALU_DEP_3)
	v_fmac_f32_e32 v98, v150, v3
	v_add_co_u32 v101, vcc_lo, v101, s60
	s_wait_alu 0xfffd
	v_add_co_ci_u32_e64 v102, null, s61, v102, vcc_lo
	;; [unrolled: 9-line block ×4, first 2 shown]
	v_fmac_f32_e32 v98, v158, v8
	v_add_co_u32 v117, vcc_lo, v117, s60
	s_wait_alu 0xfffd
	v_add_co_ci_u32_e64 v118, null, s61, v118, vcc_lo
	s_delay_alu instid0(VALU_DEP_3)
	v_fmac_f32_e32 v98, v157, v9
	v_add_co_u32 v119, vcc_lo, v119, s60
	s_wait_alu 0xfffd
	v_add_co_ci_u32_e64 v120, null, s61, v120, vcc_lo
	v_add_co_u32 v121, vcc_lo, v121, s60
	s_wait_alu 0xfffd
	v_add_co_ci_u32_e64 v122, null, s61, v122, vcc_lo
	v_add_co_u32 v123, vcc_lo, v123, s60
	v_fmac_f32_e32 v98, v160, v10
	s_wait_alu 0xfffd
	v_add_co_ci_u32_e64 v124, null, s61, v124, vcc_lo
	v_add_co_u32 v125, vcc_lo, v125, s60
	s_wait_alu 0xfffd
	v_add_co_ci_u32_e64 v126, null, s61, v126, vcc_lo
	v_add_co_u32 v127, vcc_lo, v127, s60
	v_fmac_f32_e32 v98, v159, v11
	s_wait_alu 0xfffd
	v_add_co_ci_u32_e64 v128, null, s61, v128, vcc_lo
	v_add_co_u32 v129, vcc_lo, v129, s60
	s_wait_alu 0xfffd
	v_add_co_ci_u32_e64 v130, null, s61, v130, vcc_lo
	v_add_co_u32 v131, vcc_lo, v131, s60
	s_wait_alu 0xfffd
	v_add_co_ci_u32_e64 v132, null, s61, v132, vcc_lo
	v_add_co_u32 v133, vcc_lo, v133, s60
	v_fmac_f32_e32 v98, v162, v12
	s_wait_alu 0xfffd
	v_add_co_ci_u32_e64 v134, null, s61, v134, vcc_lo
	v_add_co_u32 v135, vcc_lo, v135, s60
	s_wait_alu 0xfffd
	v_add_co_ci_u32_e64 v136, null, s61, v136, vcc_lo
	v_add_co_u32 v137, vcc_lo, v137, s60
	v_fmac_f32_e32 v98, v161, v13
	s_wait_alu 0xfffd
	v_add_co_ci_u32_e64 v138, null, s61, v138, vcc_lo
	v_add_co_u32 v139, vcc_lo, v139, s60
	s_wait_alu 0xfffd
	v_add_co_ci_u32_e64 v140, null, s61, v140, vcc_lo
	v_add_co_u32 v141, vcc_lo, v141, s60
	;; [unrolled: 3-line block ×3, first 2 shown]
	v_fmac_f32_e32 v98, v164, v14
	s_wait_alu 0xfffd
	v_add_co_ci_u32_e64 v144, null, s61, v144, vcc_lo
	v_add_co_u32 v145, vcc_lo, v145, s60
	s_wait_alu 0xfffd
	v_add_co_ci_u32_e64 v146, null, s61, v146, vcc_lo
	v_add_co_u32 v147, vcc_lo, v147, s60
	v_add_nc_u32_e32 v28, 64, v28
	v_fmac_f32_e32 v98, v163, v15
	s_wait_alu 0xfffd
	v_add_co_ci_u32_e64 v148, null, s61, v148, vcc_lo
	s_add_co_i32 s4, s19, 2
	s_add_co_i32 s3, s19, 1
	;; [unrolled: 1-line block ×3, first 2 shown]
	s_wait_alu 0xfffe
	s_cmp_ge_u32 s4, s40
	s_wait_loadcnt 0x0
	s_wait_storecnt 0x0
	s_barrier_signal -1
	s_barrier_wait -1
	global_inv scope:SCOPE_SE
	s_cbranch_scc1 .LBB137_123
; %bb.122:                              ;   in Loop: Header=BB137_71 Depth=2
	s_mov_b32 s19, s3
	s_wait_alu 0xfffe
	s_cmp_eq_u32 s103, s19
	s_cselect_b32 s3, s100, 0
	s_and_saveexec_b32 s18, s0
	s_cbranch_execnz .LBB137_68
	s_branch .LBB137_71
.LBB137_123:                            ;   in Loop: Header=BB137_4 Depth=1
	ds_store_b32 v68, v98
	s_wait_loadcnt_dscnt 0x0
	s_barrier_signal -1
	s_barrier_wait -1
	global_inv scope:SCOPE_SE
	s_and_saveexec_b32 s3, vcc_hi
	s_cbranch_execz .LBB137_2
; %bb.124:                              ;   in Loop: Header=BB137_4 Depth=1
	ds_load_2addr_b32 v[0:1], v39 offset1:67
	ds_load_2addr_b32 v[2:3], v39 offset0:134 offset1:201
	s_wait_dscnt 0x1
	v_add_f32_e32 v0, v0, v1
	s_wait_dscnt 0x0
	s_delay_alu instid0(VALU_DEP_1) | instskip(NEXT) | instid1(VALU_DEP_1)
	v_add_f32_e32 v0, v0, v2
	v_add_f32_e32 v2, v0, v3
	s_wait_alu 0xfffe
	v_add_co_u32 v0, vcc_lo, s96, v26
	s_wait_alu 0xfffd
	v_add_co_ci_u32_e64 v1, null, s97, v27, vcc_lo
	global_store_b32 v[0:1], v2, off
	s_branch .LBB137_2
.LBB137_125:                            ;   in Loop: Header=BB137_4 Depth=1
	ds_load_b32 v0, v92
	s_wait_dscnt 0x0
	ds_store_b32 v43, v0
	s_wait_alu 0xfffe
	s_or_b32 exec_lo, exec_lo, s3
	s_and_saveexec_b32 s3, s7
	s_cbranch_execz .LBB137_26
.LBB137_126:                            ;   in Loop: Header=BB137_4 Depth=1
	ds_load_b32 v0, v93
	s_wait_dscnt 0x0
	ds_store_b32 v43, v0 offset:4
	s_wait_alu 0xfffe
	s_or_b32 exec_lo, exec_lo, s3
	s_and_saveexec_b32 s3, s8
	s_cbranch_execz .LBB137_27
.LBB137_127:                            ;   in Loop: Header=BB137_4 Depth=1
	ds_load_b32 v0, v93 offset:132
	s_wait_dscnt 0x0
	ds_store_b32 v43, v0 offset:8
	s_wait_alu 0xfffe
	s_or_b32 exec_lo, exec_lo, s3
	s_and_saveexec_b32 s3, s9
	s_cbranch_execnz .LBB137_28
	s_branch .LBB137_29
.LBB137_128:                            ;   in Loop: Header=BB137_4 Depth=1
	ds_load_b32 v2, v92
	s_wait_dscnt 0x0
	ds_store_b32 v43, v2
	s_wait_alu 0xfffe
	s_or_b32 exec_lo, exec_lo, s3
	s_and_saveexec_b32 s3, s7
	s_cbranch_execz .LBB137_45
.LBB137_129:                            ;   in Loop: Header=BB137_4 Depth=1
	ds_load_b32 v2, v93
	s_wait_dscnt 0x0
	ds_store_b32 v43, v2 offset:4
	s_wait_alu 0xfffe
	s_or_b32 exec_lo, exec_lo, s3
	s_and_saveexec_b32 s3, s8
	s_cbranch_execz .LBB137_46
.LBB137_130:                            ;   in Loop: Header=BB137_4 Depth=1
	ds_load_b32 v2, v93 offset:132
	s_wait_dscnt 0x0
	ds_store_b32 v43, v2 offset:8
	s_wait_alu 0xfffe
	s_or_b32 exec_lo, exec_lo, s3
	s_and_saveexec_b32 s3, s9
	s_cbranch_execnz .LBB137_47
	s_branch .LBB137_48
.LBB137_131:
	s_nop 0
	s_sendmsg sendmsg(MSG_DEALLOC_VGPRS)
	s_endpgm
	.section	.rodata,"a",@progbits
	.p2align	6, 0x0
	.amdhsa_kernel _ZL26rocblas_hemvn_kernel_upperILb0ELi64ELi4ELi33ELi32ELi16EiPKfPKS1_PfEviT6_lT7_lT5_lS6_lS7_lS5_lT8_i
		.amdhsa_group_segment_fixed_size 4800
		.amdhsa_private_segment_fixed_size 0
		.amdhsa_kernarg_size 376
		.amdhsa_user_sgpr_count 2
		.amdhsa_user_sgpr_dispatch_ptr 0
		.amdhsa_user_sgpr_queue_ptr 0
		.amdhsa_user_sgpr_kernarg_segment_ptr 1
		.amdhsa_user_sgpr_dispatch_id 0
		.amdhsa_user_sgpr_private_segment_size 0
		.amdhsa_wavefront_size32 1
		.amdhsa_uses_dynamic_stack 0
		.amdhsa_enable_private_segment 0
		.amdhsa_system_sgpr_workgroup_id_x 1
		.amdhsa_system_sgpr_workgroup_id_y 0
		.amdhsa_system_sgpr_workgroup_id_z 1
		.amdhsa_system_sgpr_workgroup_info 0
		.amdhsa_system_vgpr_workitem_id 1
		.amdhsa_next_free_vgpr 170
		.amdhsa_next_free_sgpr 105
		.amdhsa_reserve_vcc 1
		.amdhsa_float_round_mode_32 0
		.amdhsa_float_round_mode_16_64 0
		.amdhsa_float_denorm_mode_32 3
		.amdhsa_float_denorm_mode_16_64 3
		.amdhsa_fp16_overflow 0
		.amdhsa_workgroup_processor_mode 1
		.amdhsa_memory_ordered 1
		.amdhsa_forward_progress 1
		.amdhsa_inst_pref_size 74
		.amdhsa_round_robin_scheduling 0
		.amdhsa_exception_fp_ieee_invalid_op 0
		.amdhsa_exception_fp_denorm_src 0
		.amdhsa_exception_fp_ieee_div_zero 0
		.amdhsa_exception_fp_ieee_overflow 0
		.amdhsa_exception_fp_ieee_underflow 0
		.amdhsa_exception_fp_ieee_inexact 0
		.amdhsa_exception_int_div_zero 0
	.end_amdhsa_kernel
	.section	.text._ZL26rocblas_hemvn_kernel_upperILb0ELi64ELi4ELi33ELi32ELi16EiPKfPKS1_PfEviT6_lT7_lT5_lS6_lS7_lS5_lT8_i,"axG",@progbits,_ZL26rocblas_hemvn_kernel_upperILb0ELi64ELi4ELi33ELi32ELi16EiPKfPKS1_PfEviT6_lT7_lT5_lS6_lS7_lS5_lT8_i,comdat
.Lfunc_end137:
	.size	_ZL26rocblas_hemvn_kernel_upperILb0ELi64ELi4ELi33ELi32ELi16EiPKfPKS1_PfEviT6_lT7_lT5_lS6_lS7_lS5_lT8_i, .Lfunc_end137-_ZL26rocblas_hemvn_kernel_upperILb0ELi64ELi4ELi33ELi32ELi16EiPKfPKS1_PfEviT6_lT7_lT5_lS6_lS7_lS5_lT8_i
                                        ; -- End function
	.set _ZL26rocblas_hemvn_kernel_upperILb0ELi64ELi4ELi33ELi32ELi16EiPKfPKS1_PfEviT6_lT7_lT5_lS6_lS7_lS5_lT8_i.num_vgpr, 170
	.set _ZL26rocblas_hemvn_kernel_upperILb0ELi64ELi4ELi33ELi32ELi16EiPKfPKS1_PfEviT6_lT7_lT5_lS6_lS7_lS5_lT8_i.num_agpr, 0
	.set _ZL26rocblas_hemvn_kernel_upperILb0ELi64ELi4ELi33ELi32ELi16EiPKfPKS1_PfEviT6_lT7_lT5_lS6_lS7_lS5_lT8_i.numbered_sgpr, 105
	.set _ZL26rocblas_hemvn_kernel_upperILb0ELi64ELi4ELi33ELi32ELi16EiPKfPKS1_PfEviT6_lT7_lT5_lS6_lS7_lS5_lT8_i.num_named_barrier, 0
	.set _ZL26rocblas_hemvn_kernel_upperILb0ELi64ELi4ELi33ELi32ELi16EiPKfPKS1_PfEviT6_lT7_lT5_lS6_lS7_lS5_lT8_i.private_seg_size, 0
	.set _ZL26rocblas_hemvn_kernel_upperILb0ELi64ELi4ELi33ELi32ELi16EiPKfPKS1_PfEviT6_lT7_lT5_lS6_lS7_lS5_lT8_i.uses_vcc, 1
	.set _ZL26rocblas_hemvn_kernel_upperILb0ELi64ELi4ELi33ELi32ELi16EiPKfPKS1_PfEviT6_lT7_lT5_lS6_lS7_lS5_lT8_i.uses_flat_scratch, 1
	.set _ZL26rocblas_hemvn_kernel_upperILb0ELi64ELi4ELi33ELi32ELi16EiPKfPKS1_PfEviT6_lT7_lT5_lS6_lS7_lS5_lT8_i.has_dyn_sized_stack, 0
	.set _ZL26rocblas_hemvn_kernel_upperILb0ELi64ELi4ELi33ELi32ELi16EiPKfPKS1_PfEviT6_lT7_lT5_lS6_lS7_lS5_lT8_i.has_recursion, 0
	.set _ZL26rocblas_hemvn_kernel_upperILb0ELi64ELi4ELi33ELi32ELi16EiPKfPKS1_PfEviT6_lT7_lT5_lS6_lS7_lS5_lT8_i.has_indirect_call, 0
	.section	.AMDGPU.csdata,"",@progbits
; Kernel info:
; codeLenInByte = 9416
; TotalNumSgprs: 107
; NumVgprs: 170
; ScratchSize: 0
; MemoryBound: 0
; FloatMode: 240
; IeeeMode: 1
; LDSByteSize: 4800 bytes/workgroup (compile time only)
; SGPRBlocks: 0
; VGPRBlocks: 21
; NumSGPRsForWavesPerEU: 107
; NumVGPRsForWavesPerEU: 170
; Occupancy: 8
; WaveLimiterHint : 1
; COMPUTE_PGM_RSRC2:SCRATCH_EN: 0
; COMPUTE_PGM_RSRC2:USER_SGPR: 2
; COMPUTE_PGM_RSRC2:TRAP_HANDLER: 0
; COMPUTE_PGM_RSRC2:TGID_X_EN: 1
; COMPUTE_PGM_RSRC2:TGID_Y_EN: 0
; COMPUTE_PGM_RSRC2:TGID_Z_EN: 1
; COMPUTE_PGM_RSRC2:TIDIG_COMP_CNT: 1
	.section	.text._ZL36rocblas_hemvn_kernel_upper_block_sumILi64EiPKfPKPffEviT1_lS5_lT2_lT0_lPT3_i,"axG",@progbits,_ZL36rocblas_hemvn_kernel_upper_block_sumILi64EiPKfPKPffEviT1_lS5_lT2_lT0_lPT3_i,comdat
	.globl	_ZL36rocblas_hemvn_kernel_upper_block_sumILi64EiPKfPKPffEviT1_lS5_lT2_lT0_lPT3_i ; -- Begin function _ZL36rocblas_hemvn_kernel_upper_block_sumILi64EiPKfPKPffEviT1_lS5_lT2_lT0_lPT3_i
	.p2align	8
	.type	_ZL36rocblas_hemvn_kernel_upper_block_sumILi64EiPKfPKPffEviT1_lS5_lT2_lT0_lPT3_i,@function
_ZL36rocblas_hemvn_kernel_upper_block_sumILi64EiPKfPKPffEviT1_lS5_lT2_lT0_lPT3_i: ; @_ZL36rocblas_hemvn_kernel_upper_block_sumILi64EiPKfPKPffEviT1_lS5_lT2_lT0_lPT3_i
; %bb.0:
	s_load_b32 s22, s[0:1], 0x50
	s_lshr_b32 s2, ttmp7, 16
	s_wait_kmcnt 0x0
	s_cmp_ge_u32 s2, s22
	s_cbranch_scc1 .LBB138_25
; %bb.1:
	s_clause 0x2
	s_load_b32 s3, s[0:1], 0x38
	s_load_b32 s18, s[0:1], 0x0
	s_load_b64 s[20:21], s[0:1], 0x48
	v_lshl_or_b32 v0, ttmp9, 6, v0
	s_clause 0x1
	s_load_b128 s[12:15], s[0:1], 0x28
	s_load_b256 s[4:11], s[0:1], 0x8
	s_add_nc_u64 s[16:17], s[0:1], 0x58
	v_mov_b32_e32 v6, 0
	v_ashrrev_i32_e32 v1, 31, v0
	s_delay_alu instid0(VALU_DEP_1) | instskip(SKIP_3) | instid1(VALU_DEP_3)
	v_lshlrev_b64_e32 v[4:5], 2, v[0:1]
	s_wait_kmcnt 0x0
	v_mul_lo_u32 v2, s3, v0
	v_cmp_gt_i32_e64 s0, s18, v0
	v_add_co_u32 v0, vcc_lo, s20, v4
	s_ashr_i32 s19, s18, 31
	v_add_co_ci_u32_e64 v1, null, s21, v5, vcc_lo
	s_cmp_gt_i32 ttmp9, -1
	v_ashrrev_i32_e32 v3, 31, v2
	s_cselect_b32 s23, -1, 0
	s_add_co_i32 s24, ttmp9, 1
	s_wait_alu 0xfffe
	s_lshl_b64 s[18:19], s[18:19], 2
	s_mov_b32 s3, 0
	v_lshlrev_b64_e32 v[2:3], 2, v[2:3]
	s_lshl_b64 s[14:15], s[14:15], 2
	s_branch .LBB138_4
.LBB138_2:                              ;   in Loop: Header=BB138_4 Depth=1
	s_wait_alu 0xfffe
	s_or_b32 exec_lo, exec_lo, s1
.LBB138_3:                              ;   in Loop: Header=BB138_4 Depth=1
	s_add_co_i32 s2, s2, 0x10000
	s_wait_alu 0xfffe
	s_cmp_lt_u32 s2, s22
	s_cbranch_scc0 .LBB138_25
.LBB138_4:                              ; =>This Loop Header: Depth=1
                                        ;     Child Loop BB138_16 Depth 2
	s_wait_alu 0xfffe
	s_mul_u64 s[20:21], s[6:7], s[2:3]
	s_mul_u64 s[26:27], s[10:11], s[2:3]
	s_wait_alu 0xfffe
	s_lshl_b64 s[20:21], s[20:21], 2
	s_lshl_b64 s[26:27], s[26:27], 2
	s_wait_alu 0xfffe
	s_add_nc_u64 s[20:21], s[4:5], s[20:21]
	s_add_nc_u64 s[26:27], s[8:9], s[26:27]
	s_clause 0x1
	global_load_b32 v7, v6, s[20:21]
	global_load_b32 v4, v6, s[26:27]
	s_wait_loadcnt 0x1
	v_cmp_eq_f32_e32 vcc_lo, 0, v7
	s_wait_loadcnt 0x0
	v_cmp_eq_f32_e64 s1, 1.0, v4
	s_and_b32 s20, vcc_lo, s1
	v_readfirstlane_b32 s1, v4
	s_wait_alu 0xfffe
	s_and_b32 vcc_lo, exec_lo, s20
	s_wait_alu 0xfffe
	s_cbranch_vccnz .LBB138_3
; %bb.5:                                ;   in Loop: Header=BB138_4 Depth=1
	s_lshl_b64 s[20:21], s[2:3], 3
	v_cmp_neq_f32_e32 vcc_lo, 0, v7
	s_wait_alu 0xfffe
	s_add_nc_u64 s[20:21], s[12:13], s[20:21]
	s_load_b64 s[20:21], s[20:21], 0x0
	s_wait_kmcnt 0x0
	s_add_nc_u64 s[20:21], s[20:21], s[14:15]
	s_cbranch_vccnz .LBB138_9
; %bb.6:                                ;   in Loop: Header=BB138_4 Depth=1
	s_mov_b32 s26, 0
	s_mov_b32 s25, 0
                                        ; implicit-def: $vgpr4
	s_and_saveexec_b32 s27, s0
	s_cbranch_execz .LBB138_10
; %bb.7:                                ;   in Loop: Header=BB138_4 Depth=1
	s_cmp_eq_f32 s1, 0
	s_cbranch_scc1 .LBB138_11
; %bb.8:                                ;   in Loop: Header=BB138_4 Depth=1
	s_wait_alu 0xfffe
	v_add_co_u32 v4, vcc_lo, s20, v2
	s_wait_alu 0xfffd
	v_add_co_ci_u32_e64 v5, null, s21, v3, vcc_lo
	flat_load_b32 v4, v[4:5]
	s_wait_loadcnt_dscnt 0x0
	v_mul_f32_e32 v4, s1, v4
	s_branch .LBB138_12
.LBB138_9:                              ;   in Loop: Header=BB138_4 Depth=1
	s_mov_b32 s25, 0
                                        ; implicit-def: $vgpr4
	s_cbranch_execnz .LBB138_13
	s_branch .LBB138_22
.LBB138_10:                             ;   in Loop: Header=BB138_4 Depth=1
	s_or_b32 exec_lo, exec_lo, s27
	s_delay_alu instid0(SALU_CYCLE_1)
	s_and_b32 vcc_lo, exec_lo, s26
	s_wait_alu 0xfffe
	s_cbranch_vccnz .LBB138_13
	s_branch .LBB138_22
.LBB138_11:                             ;   in Loop: Header=BB138_4 Depth=1
	v_mov_b32_e32 v4, 0
.LBB138_12:                             ;   in Loop: Header=BB138_4 Depth=1
	s_mov_b32 s25, exec_lo
	s_or_b32 exec_lo, exec_lo, s27
	s_delay_alu instid0(SALU_CYCLE_1)
	s_and_b32 vcc_lo, exec_lo, s26
	s_wait_alu 0xfffe
	s_cbranch_vccz .LBB138_22
.LBB138_13:                             ;   in Loop: Header=BB138_4 Depth=1
                                        ; implicit-def: $vgpr4
	s_and_saveexec_b32 s26, s0
	s_cbranch_execz .LBB138_21
; %bb.14:                               ;   in Loop: Header=BB138_4 Depth=1
	v_mov_b32_e32 v8, 0
	s_and_not1_b32 vcc_lo, exec_lo, s23
	s_wait_alu 0xfffe
	s_cbranch_vccnz .LBB138_17
; %bb.15:                               ;   in Loop: Header=BB138_4 Depth=1
	s_load_b32 s28, s[16:17], 0x0
	s_mov_b32 s29, s3
	s_mov_b32 s27, s24
	s_wait_kmcnt 0x0
	s_wait_alu 0xfffe
	s_mul_u64 s[28:29], s[18:19], s[28:29]
	s_wait_alu 0xfffe
	v_mad_co_u64_u32 v[4:5], null, s28, s2, v[0:1]
	s_delay_alu instid0(VALU_DEP_1) | instskip(NEXT) | instid1(VALU_DEP_1)
	v_mad_co_u64_u32 v[8:9], null, s29, s2, v[5:6]
	v_dual_mov_b32 v5, v8 :: v_dual_mov_b32 v8, 0
.LBB138_16:                             ;   Parent Loop BB138_4 Depth=1
                                        ; =>  This Inner Loop Header: Depth=2
	global_load_b32 v9, v[4:5], off
	v_add_co_u32 v4, vcc_lo, v4, s18
	s_wait_alu 0xfffd
	v_add_co_ci_u32_e64 v5, null, s19, v5, vcc_lo
	s_add_co_i32 s27, s27, -1
	s_delay_alu instid0(SALU_CYCLE_1)
	s_cmp_eq_u32 s27, 0
	s_wait_loadcnt 0x0
	v_add_f32_e32 v8, v8, v9
	s_cbranch_scc0 .LBB138_16
.LBB138_17:                             ;   in Loop: Header=BB138_4 Depth=1
	s_cmp_eq_f32 s1, 0
	s_cbranch_scc0 .LBB138_24
; %bb.18:                               ;   in Loop: Header=BB138_4 Depth=1
	s_delay_alu instid0(VALU_DEP_1)
	v_mul_f32_e32 v4, v7, v8
	s_cbranch_execnz .LBB138_20
.LBB138_19:                             ;   in Loop: Header=BB138_4 Depth=1
	v_add_co_u32 v4, vcc_lo, s20, v2
	s_wait_alu 0xfffd
	v_add_co_ci_u32_e64 v5, null, s21, v3, vcc_lo
	flat_load_b32 v4, v[4:5]
	s_wait_loadcnt_dscnt 0x0
	v_mul_f32_e32 v4, s1, v4
	s_delay_alu instid0(VALU_DEP_1)
	v_fmac_f32_e32 v4, v7, v8
.LBB138_20:                             ;   in Loop: Header=BB138_4 Depth=1
	s_or_b32 s25, s25, exec_lo
.LBB138_21:                             ;   in Loop: Header=BB138_4 Depth=1
	s_or_b32 exec_lo, exec_lo, s26
.LBB138_22:                             ;   in Loop: Header=BB138_4 Depth=1
	s_and_saveexec_b32 s1, s25
	s_cbranch_execz .LBB138_2
; %bb.23:                               ;   in Loop: Header=BB138_4 Depth=1
	s_wait_alu 0xfffe
	v_add_co_u32 v7, vcc_lo, s20, v2
	s_wait_alu 0xfffd
	v_add_co_ci_u32_e64 v8, null, s21, v3, vcc_lo
	flat_store_b32 v[7:8], v4
	s_branch .LBB138_2
.LBB138_24:                             ;   in Loop: Header=BB138_4 Depth=1
                                        ; implicit-def: $vgpr4
	s_branch .LBB138_19
.LBB138_25:
	s_endpgm
	.section	.rodata,"a",@progbits
	.p2align	6, 0x0
	.amdhsa_kernel _ZL36rocblas_hemvn_kernel_upper_block_sumILi64EiPKfPKPffEviT1_lS5_lT2_lT0_lPT3_i
		.amdhsa_group_segment_fixed_size 0
		.amdhsa_private_segment_fixed_size 0
		.amdhsa_kernarg_size 344
		.amdhsa_user_sgpr_count 2
		.amdhsa_user_sgpr_dispatch_ptr 0
		.amdhsa_user_sgpr_queue_ptr 0
		.amdhsa_user_sgpr_kernarg_segment_ptr 1
		.amdhsa_user_sgpr_dispatch_id 0
		.amdhsa_user_sgpr_private_segment_size 0
		.amdhsa_wavefront_size32 1
		.amdhsa_uses_dynamic_stack 0
		.amdhsa_enable_private_segment 0
		.amdhsa_system_sgpr_workgroup_id_x 1
		.amdhsa_system_sgpr_workgroup_id_y 0
		.amdhsa_system_sgpr_workgroup_id_z 1
		.amdhsa_system_sgpr_workgroup_info 0
		.amdhsa_system_vgpr_workitem_id 0
		.amdhsa_next_free_vgpr 10
		.amdhsa_next_free_sgpr 30
		.amdhsa_reserve_vcc 1
		.amdhsa_float_round_mode_32 0
		.amdhsa_float_round_mode_16_64 0
		.amdhsa_float_denorm_mode_32 3
		.amdhsa_float_denorm_mode_16_64 3
		.amdhsa_fp16_overflow 0
		.amdhsa_workgroup_processor_mode 1
		.amdhsa_memory_ordered 1
		.amdhsa_forward_progress 1
		.amdhsa_inst_pref_size 6
		.amdhsa_round_robin_scheduling 0
		.amdhsa_exception_fp_ieee_invalid_op 0
		.amdhsa_exception_fp_denorm_src 0
		.amdhsa_exception_fp_ieee_div_zero 0
		.amdhsa_exception_fp_ieee_overflow 0
		.amdhsa_exception_fp_ieee_underflow 0
		.amdhsa_exception_fp_ieee_inexact 0
		.amdhsa_exception_int_div_zero 0
	.end_amdhsa_kernel
	.section	.text._ZL36rocblas_hemvn_kernel_upper_block_sumILi64EiPKfPKPffEviT1_lS5_lT2_lT0_lPT3_i,"axG",@progbits,_ZL36rocblas_hemvn_kernel_upper_block_sumILi64EiPKfPKPffEviT1_lS5_lT2_lT0_lPT3_i,comdat
.Lfunc_end138:
	.size	_ZL36rocblas_hemvn_kernel_upper_block_sumILi64EiPKfPKPffEviT1_lS5_lT2_lT0_lPT3_i, .Lfunc_end138-_ZL36rocblas_hemvn_kernel_upper_block_sumILi64EiPKfPKPffEviT1_lS5_lT2_lT0_lPT3_i
                                        ; -- End function
	.set _ZL36rocblas_hemvn_kernel_upper_block_sumILi64EiPKfPKPffEviT1_lS5_lT2_lT0_lPT3_i.num_vgpr, 10
	.set _ZL36rocblas_hemvn_kernel_upper_block_sumILi64EiPKfPKPffEviT1_lS5_lT2_lT0_lPT3_i.num_agpr, 0
	.set _ZL36rocblas_hemvn_kernel_upper_block_sumILi64EiPKfPKPffEviT1_lS5_lT2_lT0_lPT3_i.numbered_sgpr, 30
	.set _ZL36rocblas_hemvn_kernel_upper_block_sumILi64EiPKfPKPffEviT1_lS5_lT2_lT0_lPT3_i.num_named_barrier, 0
	.set _ZL36rocblas_hemvn_kernel_upper_block_sumILi64EiPKfPKPffEviT1_lS5_lT2_lT0_lPT3_i.private_seg_size, 0
	.set _ZL36rocblas_hemvn_kernel_upper_block_sumILi64EiPKfPKPffEviT1_lS5_lT2_lT0_lPT3_i.uses_vcc, 1
	.set _ZL36rocblas_hemvn_kernel_upper_block_sumILi64EiPKfPKPffEviT1_lS5_lT2_lT0_lPT3_i.uses_flat_scratch, 0
	.set _ZL36rocblas_hemvn_kernel_upper_block_sumILi64EiPKfPKPffEviT1_lS5_lT2_lT0_lPT3_i.has_dyn_sized_stack, 0
	.set _ZL36rocblas_hemvn_kernel_upper_block_sumILi64EiPKfPKPffEviT1_lS5_lT2_lT0_lPT3_i.has_recursion, 0
	.set _ZL36rocblas_hemvn_kernel_upper_block_sumILi64EiPKfPKPffEviT1_lS5_lT2_lT0_lPT3_i.has_indirect_call, 0
	.section	.AMDGPU.csdata,"",@progbits
; Kernel info:
; codeLenInByte = 764
; TotalNumSgprs: 32
; NumVgprs: 10
; ScratchSize: 0
; MemoryBound: 0
; FloatMode: 240
; IeeeMode: 1
; LDSByteSize: 0 bytes/workgroup (compile time only)
; SGPRBlocks: 0
; VGPRBlocks: 1
; NumSGPRsForWavesPerEU: 32
; NumVGPRsForWavesPerEU: 10
; Occupancy: 16
; WaveLimiterHint : 1
; COMPUTE_PGM_RSRC2:SCRATCH_EN: 0
; COMPUTE_PGM_RSRC2:USER_SGPR: 2
; COMPUTE_PGM_RSRC2:TRAP_HANDLER: 0
; COMPUTE_PGM_RSRC2:TGID_X_EN: 1
; COMPUTE_PGM_RSRC2:TGID_Y_EN: 0
; COMPUTE_PGM_RSRC2:TGID_Z_EN: 1
; COMPUTE_PGM_RSRC2:TIDIG_COMP_CNT: 0
	.section	.text._ZL26rocblas_hemvn_kernel_upperILb0ELi64ELi4ELi33ELi32ELi16ElfPKPKfPfEviT6_lT7_lT5_lS6_lS7_lS5_lT8_i,"axG",@progbits,_ZL26rocblas_hemvn_kernel_upperILb0ELi64ELi4ELi33ELi32ELi16ElfPKPKfPfEviT6_lT7_lT5_lS6_lS7_lS5_lT8_i,comdat
	.globl	_ZL26rocblas_hemvn_kernel_upperILb0ELi64ELi4ELi33ELi32ELi16ElfPKPKfPfEviT6_lT7_lT5_lS6_lS7_lS5_lT8_i ; -- Begin function _ZL26rocblas_hemvn_kernel_upperILb0ELi64ELi4ELi33ELi32ELi16ElfPKPKfPfEviT6_lT7_lT5_lS6_lS7_lS5_lT8_i
	.p2align	8
	.type	_ZL26rocblas_hemvn_kernel_upperILb0ELi64ELi4ELi33ELi32ELi16ElfPKPKfPfEviT6_lT7_lT5_lS6_lS7_lS5_lT8_i,@function
_ZL26rocblas_hemvn_kernel_upperILb0ELi64ELi4ELi33ELi32ELi16ElfPKPKfPfEviT6_lT7_lT5_lS6_lS7_lS5_lT8_i: ; @_ZL26rocblas_hemvn_kernel_upperILb0ELi64ELi4ELi33ELi32ELi16ElfPKPKfPfEviT6_lT7_lT5_lS6_lS7_lS5_lT8_i
; %bb.0:
	s_clause 0x1
	s_load_b64 s[2:3], s[0:1], 0x7c
	s_load_b32 s33, s[0:1], 0x68
	s_lshr_b32 s28, ttmp7, 16
	s_wait_kmcnt 0x0
	s_lshr_b32 s4, s2, 16
	s_and_b32 s2, s2, 0xffff
	s_and_b32 s3, s3, 0xffff
	s_mul_i32 s2, s4, s2
	s_delay_alu instid0(SALU_CYCLE_1) | instskip(NEXT) | instid1(SALU_CYCLE_1)
	s_mul_i32 s2, s2, s3
	s_cmp_lg_u32 s2, 0x100
	s_cselect_b32 s2, -1, 0
	s_cmp_ge_u32 s28, s33
	s_cselect_b32 s3, -1, 0
	s_delay_alu instid0(SALU_CYCLE_1) | instskip(NEXT) | instid1(SALU_CYCLE_1)
	s_or_b32 s2, s2, s3
	s_and_b32 vcc_lo, exec_lo, s2
	s_cbranch_vccnz .LBB139_131
; %bb.1:
	s_clause 0x6
	s_load_b64 s[2:3], s[0:1], 0x0
	s_load_b32 s5, s[0:1], 0x50
	s_load_b128 s[20:23], s[0:1], 0x10
	s_load_b64 s[18:19], s[0:1], 0x20
	s_load_b128 s[24:27], s[0:1], 0x30
	s_load_b64 s[6:7], s[0:1], 0x60
	s_load_b64 s[30:31], s[0:1], 0x40
	s_add_nc_u64 s[8:9], s[0:1], 0x70
	v_dual_mov_b32 v16, 0 :: v_dual_and_b32 v41, 0x3ff, v0
	v_bfe_u32 v14, v0, 10, 10
	v_and_b32_e32 v15, 31, v0
	s_load_b32 s34, s[8:9], 0x0
	s_mov_b32 s29, 0
	s_mov_b32 s4, ttmp9
	v_lshl_add_u32 v17, v14, 6, v41
	v_lshlrev_b32_e32 v48, 2, v14
	s_mov_b32 s35, s29
	v_lshlrev_b32_e32 v42, 2, v41
	v_cmp_eq_u32_e64 s0, 0, v14
	v_lshrrev_b32_e32 v12, 5, v17
	v_cmp_gt_u32_e64 s10, 32, v17
	v_and_b32_e32 v34, 0x7ff0, v17
	v_mad_u32_u24 v52, 0x430, v14, v42
	s_wait_kmcnt 0x0
	s_cmp_eq_f32 s3, 0
	v_mad_co_u64_u32 v[1:2], null, s18, v12, v[15:16]
	v_lshlrev_b32_e32 v21, 2, v12
	s_cselect_b32 s62, -1, 0
	s_cmp_neq_f32 s3, 0
	v_lshlrev_b32_e32 v10, 4, v12
	v_add_nc_u32_e32 v13, 8, v12
	v_or_b32_e32 v11, 1, v21
	s_cselect_b32 s1, -1, 0
	s_cmp_neq_f32 s5, 1.0
	v_add_nc_u32_e32 v46, 0x11c0, v10
	v_add_nc_u32_e32 v18, 16, v12
	v_mul_u32_u24_e32 v32, 0x84, v11
	s_cselect_b32 s5, -1, 0
	s_lshl_b32 s52, ttmp9, 6
	s_ashr_i32 s3, s2, 31
	v_add_nc_u32_e32 v3, s52, v41
	s_lshr_b32 s8, s3, 26
	s_add_co_i32 s9, s34, -1
	s_add_co_i32 s8, s2, s8
	s_or_b32 s63, s1, s5
	v_ashrrev_i32_e32 v4, 31, v3
	v_mul_lo_u32 v7, s31, v3
	v_mad_co_u64_u32 v[5:6], null, s30, v3, 0
	s_and_not1_b32 s8, s8, 63
	v_mul_lo_u32 v8, s30, v4
	s_sub_co_i32 s64, s2, s8
	s_cmp_eq_u32 ttmp9, s9
	s_mul_u64 s[38:39], s[34:35], s[2:3]
	s_cselect_b32 s36, s64, 0
	v_add_nc_u32_e32 v19, 24, v12
	s_cmp_lg_u32 s36, 0
	v_cmp_gt_i32_e32 vcc_lo, s36, v41
	v_add3_u32 v6, v6, v8, v7
	v_mad_co_u64_u32 v[7:8], null, s19, v12, v[2:3]
	s_cselect_b32 s65, -1, 0
	s_cmp_eq_u32 s36, 0
	v_or_b32_e32 v20, 2, v21
	s_cselect_b32 s1, -1, 0
	s_ashr_i32 s5, ttmp9, 31
	s_sub_co_i32 s15, s36, 32
	v_dual_mov_b32 v2, v7 :: v_dual_lshlrev_b32 v29, 2, v15
	s_mul_u64 s[4:5], s[2:3], s[4:5]
	v_sub_co_u32 v8, s2, 0, v15
	s_delay_alu instid0(VALU_DEP_1) | instskip(NEXT) | instid1(VALU_DEP_3)
	v_sub_co_ci_u32_e64 v9, null, 0, 0, s2
	v_lshl_or_b32 v44, v15, 7, v29
	v_cmp_gt_i32_e64 s2, s36, v12
	v_mul_u32_u24_e32 v30, 0x84, v12
	v_mul_u32_u24_e32 v31, 0x210, v12
	v_cmp_gt_i32_e64 s12, s15, v12
	v_add_nc_u32_e32 v45, v44, v10
	v_mad_co_u64_u32 v[10:11], null, s18, v48, 0
	v_cmp_eq_u32_e64 s16, 1, v12
	v_mul_i32_i24_e32 v49, -12, v12
	s_or_b32 s66, s1, vcc_lo
	s_lshl_b64 s[4:5], s[4:5], 2
	v_cmp_gt_i32_e64 s3, s36, v13
	s_add_nc_u64 s[40:41], s[6:7], s[4:5]
	v_mad_co_u64_u32 v[11:12], null, s19, v48, v[11:12]
	v_sub_co_u32 v12, vcc_lo, 0, v1
	v_cmp_gt_i32_e64 s5, s36, v19
	v_cmp_gt_u32_e64 s8, v20, v15
	v_or_b32_e32 v20, 32, v15
	v_cmp_gt_i32_e64 s13, s15, v13
	v_cmp_gt_i32_e64 s14, s15, v18
	;; [unrolled: 1-line block ×3, first 2 shown]
	v_sub_co_ci_u32_e64 v13, null, 0, v7, vcc_lo
	v_lshlrev_b32_e32 v7, 4, v14
	v_lshrrev_b32_e32 v19, 2, v17
	s_add_co_i32 s17, ttmp9, 1
	s_ashr_i32 s53, s52, 31
	s_ashr_i32 s37, s36, 31
	s_lshl_b64 s[42:43], s[18:19], 5
	s_lshl_b64 s[44:45], s[18:19], 6
	v_cmp_gt_i32_e64 s4, s36, v18
	v_cmp_gt_i32_e64 s11, s36, v20
	s_cmp_lt_u32 s17, s34
	v_and_b32_e32 v18, 15, v0
	v_and_b32_e32 v19, 0x1ffc, v19
	v_or_b32_e32 v20, 60, v42
	v_cmp_gt_u32_e64 s17, 64, v17
	v_add_nc_u32_e32 v17, 0x88, v7
	v_and_b32_e32 v0, 48, v0
	v_mad_u32_u24 v53, 0x10c, v18, v19
	v_mad_u32_u24 v55, 0x10c, v18, v20
	v_mul_u32_u24_e32 v23, 33, v15
	v_mad_co_u64_u32 v[19:20], null, s18, v17, 0
	v_lshlrev_b32_e32 v0, 2, v0
	v_or_b32_e32 v22, 3, v21
	v_add_nc_u32_e32 v24, 0x84, v7
	v_cmp_gt_u32_e64 s6, v21, v15
	v_cmp_ge_u32_e64 s7, v21, v15
	v_mad_u32_u24 v54, 0x10c, v18, v0
	v_mov_b32_e32 v0, v20
	v_lshl_add_u32 v47, v23, 2, v21
	v_add_nc_u32_e32 v72, v44, v21
	v_add_nc_u32_e32 v73, 0x11c0, v21
	v_cmp_gt_u32_e64 s9, v22, v15
	v_mad_co_u64_u32 v[20:21], null, s19, v17, v[0:1]
	v_mad_u32_u24 v71, 0x10c, v14, v42
	v_add_nc_u32_e32 v14, 0x8c, v7
	v_mad_co_u64_u32 v[21:22], null, s18, v24, 0
	v_mul_u32_u24_e32 v33, 0x10c, v18
	v_lshlrev_b64_e32 v[17:18], 2, v[1:2]
	s_delay_alu instid0(VALU_DEP_4)
	v_mad_co_u64_u32 v[0:1], null, s18, v14, 0
	v_add_nc_u32_e32 v25, 0xc8, v7
	v_add_nc_u32_e32 v26, 0xc0, v7
	v_mov_b32_e32 v2, v22
	v_sub_co_u32 v74, vcc_lo, v19, v17
	s_wait_alu 0xfffd
	v_sub_co_ci_u32_e64 v75, null, v20, v18, vcc_lo
	s_delay_alu instid0(VALU_DEP_3)
	v_mad_co_u64_u32 v[19:20], null, s19, v14, v[1:2]
	v_mad_co_u64_u32 v[22:23], null, s18, v25, 0
	;; [unrolled: 1-line block ×3, first 2 shown]
	v_add_nc_u32_e32 v2, 0xcc, v7
	v_sub_co_u32 v76, vcc_lo, v0, v17
	s_wait_alu 0xfffd
	v_sub_co_ci_u32_e64 v77, null, v19, v18, vcc_lo
	s_delay_alu instid0(VALU_DEP_3) | instskip(SKIP_4) | instid1(VALU_DEP_3)
	v_mad_co_u64_u32 v[19:20], null, s18, v2, 0
	v_mov_b32_e32 v0, v23
	v_sub_co_u32 v78, vcc_lo, v21, v17
	s_wait_alu 0xfffd
	v_sub_co_ci_u32_e64 v79, null, v1, v18, vcc_lo
	v_mad_co_u64_u32 v[0:1], null, s19, v25, v[0:1]
	v_dual_mov_b32 v1, v20 :: v_dual_add_nc_u32 v14, 0xc4, v7
	v_mad_co_u64_u32 v[23:24], null, s18, v26, 0
	v_sub_co_u32 v80, vcc_lo, v22, v17
	s_delay_alu instid0(VALU_DEP_3) | instskip(NEXT) | instid1(VALU_DEP_4)
	v_mad_co_u64_u32 v[20:21], null, s18, v14, 0
	v_mad_co_u64_u32 v[1:2], null, s19, v2, v[1:2]
	s_wait_alu 0xfffd
	v_sub_co_ci_u32_e64 v81, null, v0, v18, vcc_lo
	v_sub_co_u32 v82, vcc_lo, v19, v17
	v_add_nc_u32_e32 v2, 0x108, v7
	v_dual_mov_b32 v0, v21 :: v_dual_add_nc_u32 v43, 0x11c0, v42
	s_wait_alu 0xfffd
	v_sub_co_ci_u32_e64 v83, null, v1, v18, vcc_lo
	v_mov_b32_e32 v1, v24
	v_mad_co_u64_u32 v[24:25], null, s18, v2, 0
	v_sub_co_u32 v84, vcc_lo, v20, v17
	s_delay_alu instid0(VALU_DEP_3) | instskip(SKIP_4) | instid1(VALU_DEP_4)
	v_mad_co_u64_u32 v[21:22], null, s19, v14, v[0:1]
	v_add_nc_u32_e32 v14, 0x10c, v7
	v_mad_co_u64_u32 v[0:1], null, s19, v26, v[1:2]
	v_mov_b32_e32 v1, v25
	v_add_nc_u32_e32 v25, 0x104, v7
	v_mad_co_u64_u32 v[19:20], null, s18, v14, 0
	s_wait_alu 0xfffd
	v_sub_co_ci_u32_e64 v85, null, v21, v18, vcc_lo
	v_sub_co_u32 v86, vcc_lo, v23, v17
	s_wait_alu 0xfffd
	v_sub_co_ci_u32_e64 v87, null, v0, v18, vcc_lo
	v_mad_co_u64_u32 v[0:1], null, s19, v2, v[1:2]
	v_dual_mov_b32 v1, v20 :: v_dual_add_nc_u32 v26, 0x100, v7
	v_mad_co_u64_u32 v[20:21], null, s18, v25, 0
	v_sub_co_u32 v88, vcc_lo, v24, v17
	s_delay_alu instid0(VALU_DEP_3) | instskip(NEXT) | instid1(VALU_DEP_4)
	v_mad_co_u64_u32 v[1:2], null, s19, v14, v[1:2]
	v_mad_co_u64_u32 v[22:23], null, s18, v26, 0
	s_wait_alu 0xfffd
	v_sub_co_ci_u32_e64 v89, null, v0, v18, vcc_lo
	v_sub_co_u32 v90, vcc_lo, v19, v17
	v_mov_b32_e32 v0, v21
	s_wait_alu 0xfffd
	v_sub_co_ci_u32_e64 v91, null, v1, v18, vcc_lo
	v_dual_mov_b32 v1, v23 :: v_dual_add_nc_u32 v14, 0x148, v7
	v_add_nc_u32_e32 v28, 0x144, v7
	v_sub_co_u32 v92, vcc_lo, v20, v17
	s_delay_alu instid0(VALU_DEP_3) | instskip(SKIP_4) | instid1(VALU_DEP_4)
	v_mad_co_u64_u32 v[23:24], null, s19, v25, v[0:1]
	v_mad_co_u64_u32 v[0:1], null, s19, v26, v[1:2]
	;; [unrolled: 1-line block ×4, first 2 shown]
	s_wait_alu 0xfffd
	v_sub_co_ci_u32_e64 v93, null, v23, v18, vcc_lo
	v_sub_co_u32 v94, vcc_lo, v22, v17
	s_wait_alu 0xfffd
	v_sub_co_ci_u32_e64 v95, null, v0, v18, vcc_lo
	v_mov_b32_e32 v0, v2
	v_sub_co_u32 v96, vcc_lo, v1, v17
	s_wait_alu 0xfffe
	s_mul_u64 s[48:49], s[30:31], s[52:53]
	v_cmp_gt_i32_e64 s1, s36, v15
	v_mad_co_u64_u32 v[21:22], null, s19, v14, v[0:1]
	v_dual_mov_b32 v0, v20 :: v_dual_add_nc_u32 v27, 0x14c, v7
	v_add_nc_u32_e32 v51, 0x10c0, v7
	v_add_nc_u32_e32 v7, 0x140, v7
	;; [unrolled: 1-line block ×3, first 2 shown]
	s_delay_alu instid0(VALU_DEP_4)
	v_mad_co_u64_u32 v[0:1], null, s19, v28, v[0:1]
	v_mad_co_u64_u32 v[24:25], null, s18, v27, 0
	s_wait_alu 0xfffd
	v_sub_co_ci_u32_e64 v97, null, v21, v18, vcc_lo
	v_or_b32_e32 v56, 1, v48
	v_or_b32_e32 v57, 2, v48
	;; [unrolled: 1-line block ×3, first 2 shown]
	v_dual_mov_b32 v2, v25 :: v_dual_add_nc_u32 v59, 16, v48
	v_mad_co_u64_u32 v[25:26], null, s18, v7, 0
	v_sub_co_u32 v98, vcc_lo, v24, v17
	s_delay_alu instid0(VALU_DEP_3)
	v_mad_co_u64_u32 v[22:23], null, s19, v27, v[2:3]
	v_lshlrev_b64_e32 v[23:24], 2, v[10:11]
	v_lshlrev_b64_e32 v[27:28], 2, v[8:9]
	v_dual_mov_b32 v1, v26 :: v_dual_add_nc_u32 v60, 17, v48
	v_add_nc_u32_e32 v61, 18, v48
	v_add_nc_u32_e32 v62, 19, v48
	s_wait_alu 0xfffd
	v_sub_co_ci_u32_e64 v99, null, v22, v18, vcc_lo
	v_mad_co_u64_u32 v[1:2], null, s19, v7, v[1:2]
	v_sub_co_u32 v100, vcc_lo, v19, v17
	s_wait_alu 0xfffd
	v_sub_co_ci_u32_e64 v101, null, v0, v18, vcc_lo
	v_sub_co_u32 v102, vcc_lo, v25, v17
	v_lshlrev_b64_e32 v[19:20], 2, v[5:6]
	v_lshlrev_b64_e32 v[21:22], 2, v[12:13]
	;; [unrolled: 1-line block ×3, first 2 shown]
	v_add_nc_u32_e32 v63, 32, v48
	v_add_nc_u32_e32 v64, 33, v48
	;; [unrolled: 1-line block ×8, first 2 shown]
	s_wait_alu 0xfffd
	v_sub_co_ci_u32_e64 v103, null, v1, v18, vcc_lo
	v_add_nc_u32_e32 v104, v29, v30
	v_lshlrev_b32_e32 v105, 2, v15
	v_add_nc_u32_e32 v106, v29, v31
	v_add_nc_u32_e32 v107, v29, v32
	;; [unrolled: 1-line block ×3, first 2 shown]
	s_mul_u64 s[54:55], s[18:19], s[52:53]
	s_sub_nc_u64 s[56:57], 0, s[48:49]
	s_mul_u64 s[46:47], s[18:19], 0x60
	s_cselect_b32 s35, -1, 0
	s_add_co_i32 s67, s34, -2
	s_and_b32 s68, s0, s66
	s_sub_nc_u64 s[48:49], 0, s[36:37]
	s_add_co_i32 s69, s52, 64
	s_lshl_b64 s[50:51], s[18:19], 8
	s_lshl_b64 s[26:27], s[26:27], 2
	;; [unrolled: 1-line block ×6, first 2 shown]
	s_branch .LBB139_4
.LBB139_2:                              ;   in Loop: Header=BB139_4 Depth=1
	s_wait_alu 0xfffe
	s_or_b32 exec_lo, exec_lo, s18
.LBB139_3:                              ;   in Loop: Header=BB139_4 Depth=1
	s_add_co_i32 s28, s28, 0x10000
	s_delay_alu instid0(SALU_CYCLE_1)
	s_cmp_lt_u32 s28, s33
	s_cbranch_scc0 .LBB139_131
.LBB139_4:                              ; =>This Loop Header: Depth=1
                                        ;     Child Loop BB139_71 Depth 2
	s_and_not1_b32 vcc_lo, exec_lo, s63
	s_wait_alu 0xfffe
	s_cbranch_vccnz .LBB139_3
; %bb.5:                                ;   in Loop: Header=BB139_4 Depth=1
	s_and_b32 vcc_lo, exec_lo, s62
	s_wait_alu 0xfffe
	s_cbranch_vccz .LBB139_7
; %bb.6:                                ;   in Loop: Header=BB139_4 Depth=1
	s_cbranch_execnz .LBB139_3
	s_branch .LBB139_8
.LBB139_7:                              ;   in Loop: Header=BB139_4 Depth=1
.LBB139_8:                              ;   in Loop: Header=BB139_4 Depth=1
	s_lshl_b64 s[18:19], s[28:29], 3
	s_wait_alu 0xfffe
	s_add_nc_u64 s[58:59], s[24:25], s[18:19]
	s_add_nc_u64 s[18:19], s[20:21], s[18:19]
	s_clause 0x1
	global_load_b64 v[2:3], v16, s[58:59]
	global_load_b64 v[0:1], v16, s[18:19]
	s_wait_loadcnt 0x1
	v_add_co_u32 v2, vcc_lo, v2, s26
	s_wait_alu 0xfffd
	v_add_co_ci_u32_e64 v3, null, s27, v3, vcc_lo
	s_delay_alu instid0(VALU_DEP_2) | instskip(SKIP_1) | instid1(VALU_DEP_2)
	v_add_co_u32 v4, vcc_lo, v2, v19
	s_wait_alu 0xfffd
	v_add_co_ci_u32_e64 v5, null, v3, v20, vcc_lo
	s_and_saveexec_b32 s18, s0
	s_cbranch_execz .LBB139_12
; %bb.9:                                ;   in Loop: Header=BB139_4 Depth=1
	v_mov_b32_e32 v2, 0
	s_and_saveexec_b32 s19, s66
	s_cbranch_execz .LBB139_11
; %bb.10:                               ;   in Loop: Header=BB139_4 Depth=1
	flat_load_b32 v2, v[4:5]
.LBB139_11:                             ;   in Loop: Header=BB139_4 Depth=1
	s_wait_alu 0xfffe
	s_or_b32 exec_lo, exec_lo, s19
	s_wait_loadcnt_dscnt 0x0
	ds_store_b32 v43, v2
.LBB139_12:                             ;   in Loop: Header=BB139_4 Depth=1
	s_wait_alu 0xfffe
	s_or_b32 exec_lo, exec_lo, s18
	s_wait_loadcnt 0x0
	v_add_co_u32 v0, vcc_lo, v0, s22
	s_wait_alu 0xfffd
	v_add_co_ci_u32_e64 v1, null, s23, v1, vcc_lo
	s_mov_b32 s18, -1
	v_add_co_u32 v0, vcc_lo, v0, s52
	s_wait_alu 0xfffd
	v_add_co_ci_u32_e64 v1, null, s53, v1, vcc_lo
                                        ; implicit-def: $vgpr2_vgpr3
	s_delay_alu instid0(VALU_DEP_2) | instskip(SKIP_1) | instid1(VALU_DEP_2)
	v_add_co_u32 v0, vcc_lo, v0, v17
	s_wait_alu 0xfffd
	v_add_co_ci_u32_e64 v1, null, v1, v18, vcc_lo
	s_delay_alu instid0(VALU_DEP_2) | instskip(SKIP_1) | instid1(VALU_DEP_2)
	v_add_co_u32 v0, vcc_lo, v0, s54
	s_wait_alu 0xfffd
	v_add_co_ci_u32_e64 v1, null, s55, v1, vcc_lo
	s_and_b32 vcc_lo, exec_lo, s65
	s_wait_alu 0xfffe
	s_cbranch_vccz .LBB139_22
; %bb.13:                               ;   in Loop: Header=BB139_4 Depth=1
	v_add_co_u32 v2, vcc_lo, v0, v27
	s_wait_alu 0xfffd
	v_add_co_ci_u32_e64 v3, null, v1, v28, vcc_lo
	s_lshl_b64 s[18:19], s[36:37], 2
	v_dual_mov_b32 v7, 0 :: v_dual_mov_b32 v6, 0
	s_wait_alu 0xfffe
	v_add_co_u32 v2, vcc_lo, v2, s18
	s_wait_alu 0xfffd
	v_add_co_ci_u32_e64 v3, null, s19, v3, vcc_lo
	s_delay_alu instid0(VALU_DEP_2) | instskip(SKIP_1) | instid1(VALU_DEP_2)
	v_add_co_u32 v2, vcc_lo, v2, -4
	s_wait_alu 0xfffd
	v_add_co_ci_u32_e64 v3, null, -1, v3, vcc_lo
	s_delay_alu instid0(VALU_DEP_2) | instskip(NEXT) | instid1(VALU_DEP_2)
	v_cndmask_b32_e64 v2, v2, v0, s1
	v_cndmask_b32_e64 v3, v3, v1, s1
	s_and_saveexec_b32 s18, s2
	s_cbranch_execz .LBB139_15
; %bb.14:                               ;   in Loop: Header=BB139_4 Depth=1
	flat_load_b32 v6, v[2:3]
.LBB139_15:                             ;   in Loop: Header=BB139_4 Depth=1
	s_wait_alu 0xfffe
	s_or_b32 exec_lo, exec_lo, s18
	s_wait_loadcnt_dscnt 0x0
	ds_store_b32 v104, v6
	s_and_saveexec_b32 s18, s3
	s_cbranch_execz .LBB139_17
; %bb.16:                               ;   in Loop: Header=BB139_4 Depth=1
	v_add_co_u32 v6, vcc_lo, v2, s42
	s_wait_alu 0xfffd
	v_add_co_ci_u32_e64 v7, null, s43, v3, vcc_lo
	flat_load_b32 v7, v[6:7]
.LBB139_17:                             ;   in Loop: Header=BB139_4 Depth=1
	s_wait_alu 0xfffe
	s_or_b32 exec_lo, exec_lo, s18
	v_mov_b32_e32 v6, 0
	v_mov_b32_e32 v8, 0
	s_wait_loadcnt_dscnt 0x0
	ds_store_b32 v104, v7 offset:1056
	s_and_saveexec_b32 s18, s4
	s_cbranch_execz .LBB139_19
; %bb.18:                               ;   in Loop: Header=BB139_4 Depth=1
	v_add_co_u32 v7, vcc_lo, v2, s44
	s_wait_alu 0xfffd
	v_add_co_ci_u32_e64 v8, null, s45, v3, vcc_lo
	flat_load_b32 v8, v[7:8]
.LBB139_19:                             ;   in Loop: Header=BB139_4 Depth=1
	s_wait_alu 0xfffe
	s_or_b32 exec_lo, exec_lo, s18
	s_wait_loadcnt_dscnt 0x0
	ds_store_b32 v104, v8 offset:2112
	s_and_saveexec_b32 s18, s5
	s_cbranch_execz .LBB139_21
; %bb.20:                               ;   in Loop: Header=BB139_4 Depth=1
	v_add_co_u32 v6, vcc_lo, v2, s46
	s_wait_alu 0xfffd
	v_add_co_ci_u32_e64 v7, null, s47, v3, vcc_lo
	flat_load_b32 v6, v[6:7]
.LBB139_21:                             ;   in Loop: Header=BB139_4 Depth=1
	s_wait_alu 0xfffe
	s_or_b32 exec_lo, exec_lo, s18
	v_add_co_u32 v2, vcc_lo, v2, v105
	s_wait_alu 0xfffd
	v_add_co_ci_u32_e64 v3, null, 0, v3, vcc_lo
	s_lshl_b64 s[18:19], s[48:49], 2
	s_wait_loadcnt_dscnt 0x0
	ds_store_b32 v104, v6 offset:3168
	s_wait_alu 0xfffe
	v_add_co_u32 v2, vcc_lo, v2, s18
	s_wait_alu 0xfffd
	v_add_co_ci_u32_e64 v3, null, s19, v3, vcc_lo
	s_mov_b32 s18, 0
	v_add_co_u32 v2, vcc_lo, v2, 4
	s_wait_alu 0xfffd
	v_add_co_ci_u32_e64 v3, null, 0, v3, vcc_lo
	s_delay_alu instid0(VALU_DEP_2) | instskip(NEXT) | instid1(VALU_DEP_2)
	v_cndmask_b32_e64 v2, v2, v0, s1
	v_cndmask_b32_e64 v3, v3, v1, s1
.LBB139_22:                             ;   in Loop: Header=BB139_4 Depth=1
	s_wait_alu 0xfffe
	s_and_b32 vcc_lo, exec_lo, s18
	s_wait_alu 0xfffe
	s_cbranch_vccz .LBB139_24
; %bb.23:                               ;   in Loop: Header=BB139_4 Depth=1
	v_add_co_u32 v2, vcc_lo, v0, s42
	s_wait_alu 0xfffd
	v_add_co_ci_u32_e64 v3, null, s43, v1, vcc_lo
	s_delay_alu instid0(VALU_DEP_2) | instskip(SKIP_1) | instid1(VALU_DEP_2)
	v_add_co_u32 v6, vcc_lo, v2, s42
	s_wait_alu 0xfffd
	v_add_co_ci_u32_e64 v7, null, s43, v3, vcc_lo
	s_delay_alu instid0(VALU_DEP_2) | instskip(SKIP_1) | instid1(VALU_DEP_2)
	v_add_co_u32 v8, vcc_lo, v6, s42
	s_wait_alu 0xfffd
	v_add_co_ci_u32_e64 v9, null, s43, v7, vcc_lo
	s_clause 0x3
	flat_load_b32 v10, v[0:1]
	flat_load_b32 v11, v[2:3]
	;; [unrolled: 1-line block ×4, first 2 shown]
	v_dual_mov_b32 v3, v1 :: v_dual_mov_b32 v2, v0
	s_wait_loadcnt_dscnt 0x303
	ds_store_b32 v104, v10
	s_wait_loadcnt_dscnt 0x203
	ds_store_b32 v104, v11 offset:1056
	s_wait_loadcnt_dscnt 0x103
	ds_store_b32 v104, v6 offset:2112
	;; [unrolled: 2-line block ×3, first 2 shown]
.LBB139_24:                             ;   in Loop: Header=BB139_4 Depth=1
	s_wait_dscnt 0x0
	s_barrier_signal -1
	s_barrier_wait -1
	global_inv scope:SCOPE_SE
	s_and_saveexec_b32 s18, s6
	s_cbranch_execnz .LBB139_125
; %bb.25:                               ;   in Loop: Header=BB139_4 Depth=1
	s_wait_alu 0xfffe
	s_or_b32 exec_lo, exec_lo, s18
	s_and_saveexec_b32 s18, s7
	s_cbranch_execnz .LBB139_126
.LBB139_26:                             ;   in Loop: Header=BB139_4 Depth=1
	s_wait_alu 0xfffe
	s_or_b32 exec_lo, exec_lo, s18
	s_and_saveexec_b32 s18, s8
	s_cbranch_execnz .LBB139_127
.LBB139_27:                             ;   in Loop: Header=BB139_4 Depth=1
	s_wait_alu 0xfffe
	s_or_b32 exec_lo, exec_lo, s18
	s_and_saveexec_b32 s18, s9
	s_cbranch_execz .LBB139_29
.LBB139_28:                             ;   in Loop: Header=BB139_4 Depth=1
	ds_load_b32 v0, v107 offset:264
	s_wait_dscnt 0x0
	ds_store_b32 v45, v0 offset:12
.LBB139_29:                             ;   in Loop: Header=BB139_4 Depth=1
	s_wait_alu 0xfffe
	s_or_b32 exec_lo, exec_lo, s18
	s_wait_loadcnt_dscnt 0x0
	s_barrier_signal -1
	s_barrier_wait -1
	global_inv scope:SCOPE_SE
	ds_load_b32 v10, v106
	ds_load_b128 v[6:9], v46
	ds_load_2addr_b32 v[0:1], v107 offset1:33
	ds_load_b32 v11, v107 offset:264
	s_wait_loadcnt_dscnt 0x0
	s_barrier_signal -1
	s_barrier_wait -1
	global_inv scope:SCOPE_SE
	v_mov_b32_e32 v109, 0
	v_fma_f32 v6, v10, v6, 0
	s_delay_alu instid0(VALU_DEP_1) | instskip(NEXT) | instid1(VALU_DEP_1)
	v_fmac_f32_e32 v6, v0, v7
	v_fmac_f32_e32 v6, v1, v8
	s_delay_alu instid0(VALU_DEP_1)
	v_fmac_f32_e32 v6, v11, v9
	ds_store_b32 v47, v6
	s_wait_loadcnt_dscnt 0x0
	s_barrier_signal -1
	s_barrier_wait -1
	global_inv scope:SCOPE_SE
	s_and_saveexec_b32 s18, s10
	s_cbranch_execz .LBB139_31
; %bb.30:                               ;   in Loop: Header=BB139_4 Depth=1
	ds_load_2addr_b32 v[0:1], v44 offset1:1
	ds_load_2addr_b32 v[6:7], v44 offset0:2 offset1:3
	ds_load_2addr_b32 v[8:9], v44 offset0:4 offset1:5
	;; [unrolled: 1-line block ×3, first 2 shown]
	s_wait_dscnt 0x3
	v_add_f32_e32 v0, v0, v1
	s_wait_dscnt 0x2
	s_delay_alu instid0(VALU_DEP_1) | instskip(NEXT) | instid1(VALU_DEP_1)
	v_add_f32_e32 v0, v0, v6
	v_add_f32_e32 v0, v0, v7
	s_wait_dscnt 0x1
	s_delay_alu instid0(VALU_DEP_1) | instskip(NEXT) | instid1(VALU_DEP_1)
	v_add_f32_e32 v0, v0, v8
	;; [unrolled: 4-line block ×3, first 2 shown]
	v_add_f32_e32 v109, v0, v11
.LBB139_31:                             ;   in Loop: Header=BB139_4 Depth=1
	s_wait_alu 0xfffe
	s_or_b32 exec_lo, exec_lo, s18
	s_lshl_b64 s[18:19], s[42:43], 2
	s_mov_b32 s58, -1
	s_wait_alu 0xfffe
	v_add_co_u32 v6, vcc_lo, v2, s18
	s_wait_alu 0xfffd
	v_add_co_ci_u32_e64 v7, null, s19, v3, vcc_lo
	s_wait_loadcnt 0x0
	s_delay_alu instid0(VALU_DEP_2) | instskip(SKIP_1) | instid1(VALU_DEP_2)
	v_add_co_u32 v2, vcc_lo, 0x80, v6
	s_wait_alu 0xfffd
	v_add_co_ci_u32_e64 v3, null, 0, v7, vcc_lo
	s_and_b32 vcc_lo, exec_lo, s65
	s_barrier_signal -1
	s_barrier_wait -1
	global_inv scope:SCOPE_SE
                                        ; implicit-def: $vgpr0_vgpr1
	s_wait_alu 0xfffe
	s_cbranch_vccz .LBB139_41
; %bb.32:                               ;   in Loop: Header=BB139_4 Depth=1
	v_add_co_u32 v0, vcc_lo, v6, v27
	s_wait_alu 0xfffd
	v_add_co_ci_u32_e64 v1, null, v7, v28, vcc_lo
	s_lshl_b64 s[58:59], s[36:37], 2
	v_dual_mov_b32 v9, 0 :: v_dual_mov_b32 v8, 0
	s_wait_alu 0xfffe
	v_add_co_u32 v0, vcc_lo, v0, s58
	s_wait_alu 0xfffd
	v_add_co_ci_u32_e64 v1, null, s59, v1, vcc_lo
	s_delay_alu instid0(VALU_DEP_2) | instskip(SKIP_1) | instid1(VALU_DEP_2)
	v_add_co_u32 v0, vcc_lo, v0, -4
	s_wait_alu 0xfffd
	v_add_co_ci_u32_e64 v1, null, -1, v1, vcc_lo
	s_delay_alu instid0(VALU_DEP_2) | instskip(NEXT) | instid1(VALU_DEP_2)
	v_cndmask_b32_e64 v0, v0, v2, s11
	v_cndmask_b32_e64 v1, v1, v3, s11
	s_and_saveexec_b32 s58, s12
	s_cbranch_execz .LBB139_34
; %bb.33:                               ;   in Loop: Header=BB139_4 Depth=1
	flat_load_b32 v8, v[0:1]
.LBB139_34:                             ;   in Loop: Header=BB139_4 Depth=1
	s_wait_alu 0xfffe
	s_or_b32 exec_lo, exec_lo, s58
	s_wait_loadcnt_dscnt 0x0
	ds_store_b32 v104, v8
	s_and_saveexec_b32 s58, s13
	s_cbranch_execz .LBB139_36
; %bb.35:                               ;   in Loop: Header=BB139_4 Depth=1
	v_add_co_u32 v8, vcc_lo, v0, s42
	s_wait_alu 0xfffd
	v_add_co_ci_u32_e64 v9, null, s43, v1, vcc_lo
	flat_load_b32 v9, v[8:9]
.LBB139_36:                             ;   in Loop: Header=BB139_4 Depth=1
	s_wait_alu 0xfffe
	s_or_b32 exec_lo, exec_lo, s58
	v_mov_b32_e32 v8, 0
	v_mov_b32_e32 v10, 0
	s_wait_loadcnt_dscnt 0x0
	ds_store_b32 v104, v9 offset:1056
	s_and_saveexec_b32 s58, s14
	s_cbranch_execz .LBB139_38
; %bb.37:                               ;   in Loop: Header=BB139_4 Depth=1
	v_add_co_u32 v9, vcc_lo, v0, s44
	s_wait_alu 0xfffd
	v_add_co_ci_u32_e64 v10, null, s45, v1, vcc_lo
	flat_load_b32 v10, v[9:10]
.LBB139_38:                             ;   in Loop: Header=BB139_4 Depth=1
	s_wait_alu 0xfffe
	s_or_b32 exec_lo, exec_lo, s58
	s_wait_loadcnt_dscnt 0x0
	ds_store_b32 v104, v10 offset:2112
	s_and_saveexec_b32 s58, s15
	s_cbranch_execz .LBB139_40
; %bb.39:                               ;   in Loop: Header=BB139_4 Depth=1
	v_add_co_u32 v8, vcc_lo, v0, s46
	s_wait_alu 0xfffd
	v_add_co_ci_u32_e64 v9, null, s47, v1, vcc_lo
	flat_load_b32 v8, v[8:9]
.LBB139_40:                             ;   in Loop: Header=BB139_4 Depth=1
	s_wait_alu 0xfffe
	s_or_b32 exec_lo, exec_lo, s58
	v_add_co_u32 v0, vcc_lo, v0, v105
	s_wait_alu 0xfffd
	v_add_co_ci_u32_e64 v1, null, 0, v1, vcc_lo
	s_lshl_b64 s[58:59], s[48:49], 2
	s_wait_loadcnt_dscnt 0x0
	ds_store_b32 v104, v8 offset:3168
	s_wait_alu 0xfffe
	v_add_co_u32 v0, vcc_lo, v0, s58
	s_wait_alu 0xfffd
	v_add_co_ci_u32_e64 v1, null, s59, v1, vcc_lo
	s_mov_b32 s58, 0
	v_add_co_u32 v0, vcc_lo, 0x84, v0
	s_wait_alu 0xfffd
	v_add_co_ci_u32_e64 v1, null, 0, v1, vcc_lo
	s_delay_alu instid0(VALU_DEP_2) | instskip(NEXT) | instid1(VALU_DEP_2)
	v_cndmask_b32_e64 v0, v0, v2, s11
	v_cndmask_b32_e64 v1, v1, v3, s11
.LBB139_41:                             ;   in Loop: Header=BB139_4 Depth=1
	s_wait_alu 0xfffe
	s_and_b32 vcc_lo, exec_lo, s58
	s_wait_alu 0xfffe
	s_cbranch_vccz .LBB139_43
; %bb.42:                               ;   in Loop: Header=BB139_4 Depth=1
	v_add_co_u32 v0, vcc_lo, v6, s42
	s_wait_alu 0xfffd
	v_add_co_ci_u32_e64 v1, null, s43, v7, vcc_lo
	s_delay_alu instid0(VALU_DEP_2) | instskip(SKIP_1) | instid1(VALU_DEP_2)
	v_add_co_u32 v8, vcc_lo, v0, s42
	s_wait_alu 0xfffd
	v_add_co_ci_u32_e64 v9, null, s43, v1, vcc_lo
	s_delay_alu instid0(VALU_DEP_2) | instskip(SKIP_1) | instid1(VALU_DEP_2)
	v_add_co_u32 v10, vcc_lo, v8, s42
	s_wait_alu 0xfffd
	v_add_co_ci_u32_e64 v11, null, s43, v9, vcc_lo
	s_clause 0x3
	flat_load_b32 v6, v[6:7] offset:128
	flat_load_b32 v7, v[0:1] offset:128
	;; [unrolled: 1-line block ×4, first 2 shown]
	v_dual_mov_b32 v0, v2 :: v_dual_mov_b32 v1, v3
	s_wait_loadcnt_dscnt 0x303
	ds_store_b32 v104, v6
	s_wait_loadcnt_dscnt 0x203
	ds_store_b32 v104, v7 offset:1056
	s_wait_loadcnt_dscnt 0x103
	ds_store_b32 v104, v8 offset:2112
	;; [unrolled: 2-line block ×3, first 2 shown]
.LBB139_43:                             ;   in Loop: Header=BB139_4 Depth=1
	s_wait_loadcnt_dscnt 0x0
	s_barrier_signal -1
	s_barrier_wait -1
	global_inv scope:SCOPE_SE
	s_and_saveexec_b32 s58, s6
	s_cbranch_execnz .LBB139_128
; %bb.44:                               ;   in Loop: Header=BB139_4 Depth=1
	s_wait_alu 0xfffe
	s_or_b32 exec_lo, exec_lo, s58
	s_and_saveexec_b32 s58, s7
	s_cbranch_execnz .LBB139_129
.LBB139_45:                             ;   in Loop: Header=BB139_4 Depth=1
	s_wait_alu 0xfffe
	s_or_b32 exec_lo, exec_lo, s58
	s_and_saveexec_b32 s58, s8
	s_cbranch_execnz .LBB139_130
.LBB139_46:                             ;   in Loop: Header=BB139_4 Depth=1
	s_wait_alu 0xfffe
	s_or_b32 exec_lo, exec_lo, s58
	s_and_saveexec_b32 s58, s9
	s_cbranch_execz .LBB139_48
.LBB139_47:                             ;   in Loop: Header=BB139_4 Depth=1
	ds_load_b32 v2, v107 offset:264
	s_wait_dscnt 0x0
	ds_store_b32 v45, v2 offset:12
.LBB139_48:                             ;   in Loop: Header=BB139_4 Depth=1
	s_wait_alu 0xfffe
	s_or_b32 exec_lo, exec_lo, s58
	s_wait_loadcnt_dscnt 0x0
	s_barrier_signal -1
	s_barrier_wait -1
	global_inv scope:SCOPE_SE
	ds_load_b32 v10, v106
	ds_load_b128 v[6:9], v46 offset:128
	ds_load_2addr_b32 v[2:3], v107 offset1:33
	ds_load_b32 v11, v107 offset:264
	s_wait_loadcnt_dscnt 0x0
	s_barrier_signal -1
	s_barrier_wait -1
	global_inv scope:SCOPE_SE
	v_fma_f32 v6, v10, v6, 0
	s_delay_alu instid0(VALU_DEP_1) | instskip(NEXT) | instid1(VALU_DEP_1)
	v_fmac_f32_e32 v6, v2, v7
	v_fmac_f32_e32 v6, v3, v8
	s_delay_alu instid0(VALU_DEP_1)
	v_fmac_f32_e32 v6, v11, v9
	ds_store_b32 v47, v6
	s_wait_loadcnt_dscnt 0x0
	s_barrier_signal -1
	s_barrier_wait -1
	global_inv scope:SCOPE_SE
	s_and_saveexec_b32 s58, s16
	s_cbranch_execz .LBB139_50
; %bb.49:                               ;   in Loop: Header=BB139_4 Depth=1
	ds_load_2addr_b32 v[2:3], v44 offset1:1
	ds_load_2addr_b32 v[6:7], v44 offset0:2 offset1:3
	ds_load_2addr_b32 v[8:9], v44 offset0:4 offset1:5
	;; [unrolled: 1-line block ×3, first 2 shown]
	s_wait_dscnt 0x3
	v_add_f32_e32 v2, v2, v3
	s_wait_dscnt 0x2
	s_delay_alu instid0(VALU_DEP_1) | instskip(NEXT) | instid1(VALU_DEP_1)
	v_add_f32_e32 v2, v2, v6
	v_add_f32_e32 v2, v2, v7
	s_wait_dscnt 0x1
	s_delay_alu instid0(VALU_DEP_1) | instskip(NEXT) | instid1(VALU_DEP_1)
	v_add_f32_e32 v2, v2, v8
	;; [unrolled: 4-line block ×3, first 2 shown]
	v_add_f32_e32 v109, v2, v11
.LBB139_50:                             ;   in Loop: Header=BB139_4 Depth=1
	s_wait_alu 0xfffe
	s_or_b32 exec_lo, exec_lo, s58
	v_add_co_u32 v2, vcc_lo, 0xffffff80, v0
	s_wait_alu 0xfffd
	v_add_co_ci_u32_e64 v3, null, -1, v1, vcc_lo
	s_and_b32 vcc_lo, exec_lo, s65
	s_mov_b32 s58, -1
	s_wait_loadcnt 0x0
	s_barrier_signal -1
	s_barrier_wait -1
	global_inv scope:SCOPE_SE
                                        ; implicit-def: $vgpr6_vgpr7
	s_wait_alu 0xfffe
	s_cbranch_vccz .LBB139_60
; %bb.51:                               ;   in Loop: Header=BB139_4 Depth=1
	v_add_co_u32 v6, vcc_lo, v0, v27
	s_wait_alu 0xfffd
	v_add_co_ci_u32_e64 v7, null, v1, v28, vcc_lo
	s_lshl_b64 s[58:59], s[36:37], 2
	v_dual_mov_b32 v9, 0 :: v_dual_mov_b32 v8, 0
	s_wait_alu 0xfffe
	v_add_co_u32 v6, vcc_lo, v6, s58
	s_wait_alu 0xfffd
	v_add_co_ci_u32_e64 v7, null, s59, v7, vcc_lo
	s_delay_alu instid0(VALU_DEP_2) | instskip(SKIP_1) | instid1(VALU_DEP_2)
	v_add_co_u32 v6, vcc_lo, 0xffffff7c, v6
	s_wait_alu 0xfffd
	v_add_co_ci_u32_e64 v7, null, -1, v7, vcc_lo
	s_delay_alu instid0(VALU_DEP_2) | instskip(NEXT) | instid1(VALU_DEP_2)
	v_cndmask_b32_e64 v6, v6, v2, s1
	v_cndmask_b32_e64 v7, v7, v3, s1
	s_and_saveexec_b32 s58, s12
	s_cbranch_execz .LBB139_53
; %bb.52:                               ;   in Loop: Header=BB139_4 Depth=1
	flat_load_b32 v8, v[6:7]
.LBB139_53:                             ;   in Loop: Header=BB139_4 Depth=1
	s_wait_alu 0xfffe
	s_or_b32 exec_lo, exec_lo, s58
	s_wait_loadcnt_dscnt 0x0
	ds_store_b32 v104, v8
	s_and_saveexec_b32 s58, s13
	s_cbranch_execz .LBB139_55
; %bb.54:                               ;   in Loop: Header=BB139_4 Depth=1
	v_add_co_u32 v8, vcc_lo, v6, s42
	s_wait_alu 0xfffd
	v_add_co_ci_u32_e64 v9, null, s43, v7, vcc_lo
	flat_load_b32 v9, v[8:9]
.LBB139_55:                             ;   in Loop: Header=BB139_4 Depth=1
	s_wait_alu 0xfffe
	s_or_b32 exec_lo, exec_lo, s58
	v_mov_b32_e32 v8, 0
	v_mov_b32_e32 v10, 0
	s_wait_loadcnt_dscnt 0x0
	ds_store_b32 v104, v9 offset:1056
	s_and_saveexec_b32 s58, s14
	s_cbranch_execz .LBB139_57
; %bb.56:                               ;   in Loop: Header=BB139_4 Depth=1
	v_add_co_u32 v9, vcc_lo, v6, s44
	s_wait_alu 0xfffd
	v_add_co_ci_u32_e64 v10, null, s45, v7, vcc_lo
	flat_load_b32 v10, v[9:10]
.LBB139_57:                             ;   in Loop: Header=BB139_4 Depth=1
	s_wait_alu 0xfffe
	s_or_b32 exec_lo, exec_lo, s58
	s_wait_loadcnt_dscnt 0x0
	ds_store_b32 v104, v10 offset:2112
	s_and_saveexec_b32 s58, s15
	s_cbranch_execz .LBB139_59
; %bb.58:                               ;   in Loop: Header=BB139_4 Depth=1
	v_add_co_u32 v8, vcc_lo, v6, s46
	s_wait_alu 0xfffd
	v_add_co_ci_u32_e64 v9, null, s47, v7, vcc_lo
	flat_load_b32 v8, v[8:9]
.LBB139_59:                             ;   in Loop: Header=BB139_4 Depth=1
	s_wait_alu 0xfffe
	s_or_b32 exec_lo, exec_lo, s58
	v_add_co_u32 v6, vcc_lo, v6, v105
	s_wait_alu 0xfffd
	v_add_co_ci_u32_e64 v7, null, 0, v7, vcc_lo
	s_lshl_b64 s[58:59], s[48:49], 2
	s_wait_loadcnt_dscnt 0x0
	ds_store_b32 v104, v8 offset:3168
	s_wait_alu 0xfffe
	v_add_co_u32 v6, vcc_lo, v6, s58
	s_wait_alu 0xfffd
	v_add_co_ci_u32_e64 v7, null, s59, v7, vcc_lo
	s_mov_b32 s58, 0
	v_add_co_u32 v6, vcc_lo, v6, 4
	s_wait_alu 0xfffd
	v_add_co_ci_u32_e64 v7, null, 0, v7, vcc_lo
	s_delay_alu instid0(VALU_DEP_2) | instskip(NEXT) | instid1(VALU_DEP_2)
	v_cndmask_b32_e64 v6, v6, v2, s1
	v_cndmask_b32_e64 v7, v7, v3, s1
.LBB139_60:                             ;   in Loop: Header=BB139_4 Depth=1
	s_wait_alu 0xfffe
	s_and_b32 vcc_lo, exec_lo, s58
	s_wait_alu 0xfffe
	s_cbranch_vccz .LBB139_62
; %bb.61:                               ;   in Loop: Header=BB139_4 Depth=1
	v_add_co_u32 v6, vcc_lo, v0, s42
	s_wait_alu 0xfffd
	v_add_co_ci_u32_e64 v7, null, s43, v1, vcc_lo
	s_delay_alu instid0(VALU_DEP_2) | instskip(SKIP_1) | instid1(VALU_DEP_2)
	v_add_co_u32 v8, vcc_lo, v6, s42
	s_wait_alu 0xfffd
	v_add_co_ci_u32_e64 v9, null, s43, v7, vcc_lo
	s_delay_alu instid0(VALU_DEP_2) | instskip(SKIP_1) | instid1(VALU_DEP_2)
	v_add_co_u32 v10, vcc_lo, v8, s42
	s_wait_alu 0xfffd
	v_add_co_ci_u32_e64 v11, null, s43, v9, vcc_lo
	s_clause 0x3
	flat_load_b32 v0, v[0:1] offset:-128
	flat_load_b32 v1, v[6:7] offset:-128
	;; [unrolled: 1-line block ×4, first 2 shown]
	v_dual_mov_b32 v7, v3 :: v_dual_mov_b32 v6, v2
	s_wait_loadcnt_dscnt 0x303
	ds_store_b32 v104, v0
	s_wait_loadcnt_dscnt 0x203
	ds_store_b32 v104, v1 offset:1056
	s_wait_loadcnt_dscnt 0x103
	ds_store_b32 v104, v8 offset:2112
	s_wait_loadcnt_dscnt 0x3
	ds_store_b32 v104, v9 offset:3168
.LBB139_62:                             ;   in Loop: Header=BB139_4 Depth=1
	v_add_nc_u32_e32 v0, v45, v49
	v_add_nc_u32_e32 v1, v46, v49
	s_wait_loadcnt_dscnt 0x0
	s_barrier_signal -1
	s_barrier_wait -1
	global_inv scope:SCOPE_SE
	ds_load_b32 v0, v0
	ds_load_b32 v1, v1
	ds_load_2addr_b32 v[12:13], v72 offset0:8 offset1:16
	ds_load_2addr_b32 v[14:15], v73 offset0:8 offset1:16
	ds_load_b32 v29, v72 offset:96
	ds_load_b32 v30, v73 offset:96
	;; [unrolled: 1-line block ×3, first 2 shown]
	s_wait_dscnt 0x5
	v_fma_f32 v31, v0, v1, 0
	ds_load_b32 v11, v106
	ds_load_2addr_b32 v[8:9], v107 offset1:33
	ds_load_b128 v[0:3], v46 offset:128
	s_wait_loadcnt_dscnt 0x0
	s_barrier_signal -1
	s_barrier_wait -1
	v_fmac_f32_e32 v31, v12, v14
	global_inv scope:SCOPE_SE
	v_fmac_f32_e32 v31, v13, v15
	s_delay_alu instid0(VALU_DEP_1)
	v_fmac_f32_e32 v31, v29, v30
	ds_store_b32 v47, v31
	s_wait_loadcnt_dscnt 0x0
	s_barrier_signal -1
	s_barrier_wait -1
	global_inv scope:SCOPE_SE
	s_and_saveexec_b32 s58, s16
	s_cbranch_execz .LBB139_64
; %bb.63:                               ;   in Loop: Header=BB139_4 Depth=1
	ds_load_2addr_b32 v[12:13], v44 offset1:1
	ds_load_2addr_b32 v[14:15], v44 offset0:2 offset1:3
	ds_load_2addr_b32 v[29:30], v44 offset0:4 offset1:5
	;; [unrolled: 1-line block ×3, first 2 shown]
	s_wait_dscnt 0x3
	v_add_f32_e32 v12, v109, v12
	s_delay_alu instid0(VALU_DEP_1) | instskip(SKIP_1) | instid1(VALU_DEP_1)
	v_add_f32_e32 v12, v12, v13
	s_wait_dscnt 0x2
	v_add_f32_e32 v12, v12, v14
	s_delay_alu instid0(VALU_DEP_1) | instskip(SKIP_1) | instid1(VALU_DEP_1)
	v_add_f32_e32 v12, v12, v15
	;; [unrolled: 4-line block ×3, first 2 shown]
	s_wait_dscnt 0x0
	v_add_f32_e32 v12, v12, v31
	s_delay_alu instid0(VALU_DEP_1)
	v_add_f32_e32 v109, v12, v32
.LBB139_64:                             ;   in Loop: Header=BB139_4 Depth=1
	s_wait_alu 0xfffe
	s_or_b32 exec_lo, exec_lo, s58
	v_fma_f32 v0, v11, v0, 0
	s_wait_loadcnt 0x0
	s_barrier_signal -1
	s_barrier_wait -1
	global_inv scope:SCOPE_SE
	v_fmac_f32_e32 v0, v8, v1
	s_delay_alu instid0(VALU_DEP_1) | instskip(NEXT) | instid1(VALU_DEP_1)
	v_fmac_f32_e32 v0, v9, v2
	v_fmac_f32_e32 v0, v10, v3
	ds_store_b32 v47, v0
	s_wait_loadcnt_dscnt 0x0
	s_barrier_signal -1
	s_barrier_wait -1
	global_inv scope:SCOPE_SE
	s_and_saveexec_b32 s58, s10
	s_cbranch_execz .LBB139_66
; %bb.65:                               ;   in Loop: Header=BB139_4 Depth=1
	ds_load_2addr_b32 v[0:1], v44 offset1:1
	ds_load_2addr_b32 v[2:3], v44 offset0:2 offset1:3
	ds_load_2addr_b32 v[8:9], v44 offset0:4 offset1:5
	;; [unrolled: 1-line block ×3, first 2 shown]
	s_wait_dscnt 0x3
	v_add_f32_e32 v0, v109, v0
	s_delay_alu instid0(VALU_DEP_1) | instskip(SKIP_1) | instid1(VALU_DEP_1)
	v_add_f32_e32 v0, v0, v1
	s_wait_dscnt 0x2
	v_add_f32_e32 v0, v0, v2
	s_delay_alu instid0(VALU_DEP_1) | instskip(SKIP_1) | instid1(VALU_DEP_1)
	v_add_f32_e32 v0, v0, v3
	;; [unrolled: 4-line block ×3, first 2 shown]
	s_wait_dscnt 0x0
	v_add_f32_e32 v0, v0, v10
	s_delay_alu instid0(VALU_DEP_1)
	v_add_f32_e32 v109, v0, v11
.LBB139_66:                             ;   in Loop: Header=BB139_4 Depth=1
	s_wait_alu 0xfffe
	s_or_b32 exec_lo, exec_lo, s58
	s_mul_u64 s[58:59], s[38:39], s[28:29]
	s_and_not1_b32 vcc_lo, exec_lo, s35
	s_wait_alu 0xfffe
	s_lshl_b64 s[58:59], s[58:59], 2
	s_wait_loadcnt 0x0
	s_wait_alu 0xfffe
	s_add_nc_u64 s[58:59], s[40:41], s[58:59]
	s_barrier_signal -1
	s_barrier_wait -1
	global_inv scope:SCOPE_SE
	s_cbranch_vccnz .LBB139_123
; %bb.67:                               ;   in Loop: Header=BB139_4 Depth=1
	v_add_co_u32 v0, vcc_lo, v6, s18
	s_wait_alu 0xfffd
	v_add_co_ci_u32_e64 v1, null, s19, v7, vcc_lo
	s_mov_b32 s70, ttmp9
	v_add_co_u32 v0, vcc_lo, v0, v21
	s_wait_alu 0xfffd
	v_add_co_ci_u32_e64 v1, null, v1, v22, vcc_lo
	v_add_co_u32 v110, vcc_lo, v4, s56
	s_wait_alu 0xfffd
	v_add_co_ci_u32_e64 v111, null, s57, v5, vcc_lo
	;; [unrolled: 3-line block ×18, first 2 shown]
	s_mov_b32 s60, s69
	s_cmp_eq_u32 s67, s70
	s_cselect_b32 s19, s64, 0
	s_and_saveexec_b32 s18, s0
	s_cbranch_execz .LBB139_71
.LBB139_68:                             ;   in Loop: Header=BB139_4 Depth=1
	s_wait_alu 0xfffe
	v_cmp_gt_i32_e32 vcc_lo, s19, v41
	s_cmp_eq_u32 s19, 0
	v_mov_b32_e32 v0, 0
	s_cselect_b32 s61, -1, 0
	s_wait_alu 0xfffe
	s_or_b32 s61, s61, vcc_lo
	s_wait_alu 0xfffe
	s_and_saveexec_b32 s71, s61
	s_cbranch_execz .LBB139_70
; %bb.69:                               ;   in Loop: Header=BB139_4 Depth=1
	s_ashr_i32 s61, s60, 31
	s_wait_alu 0xfffe
	s_mul_u64 s[72:73], s[30:31], s[60:61]
	s_wait_alu 0xfffe
	s_lshl_b64 s[72:73], s[72:73], 2
	s_wait_alu 0xfffe
	v_add_co_u32 v0, vcc_lo, v110, s72
	s_wait_alu 0xfffd
	v_add_co_ci_u32_e64 v1, null, s73, v111, vcc_lo
	flat_load_b32 v0, v[0:1]
.LBB139_70:                             ;   in Loop: Header=BB139_4 Depth=1
	s_or_b32 exec_lo, exec_lo, s71
	s_wait_loadcnt_dscnt 0x0
	ds_store_b32 v50, v0
.LBB139_71:                             ;   Parent Loop BB139_4 Depth=1
                                        ; =>  This Inner Loop Header: Depth=2
	s_wait_alu 0xfffe
	s_or_b32 exec_lo, exec_lo, s18
	s_cmp_eq_u32 s19, 0
	v_add_co_u32 v0, vcc_lo, v112, v42
	s_cselect_b32 s61, -1, 0
	s_cmp_lg_u32 s19, 0
	s_wait_alu 0xfffd
	v_add_co_ci_u32_e64 v1, null, 0, v113, vcc_lo
	s_cselect_b32 s18, -1, 0
	s_mov_b32 s71, -1
	s_wait_alu 0xfffe
	s_and_b32 vcc_lo, exec_lo, s18
	s_wait_loadcnt_dscnt 0x0
	s_barrier_signal -1
	s_barrier_wait -1
	global_inv scope:SCOPE_SE
                                        ; implicit-def: $vgpr145
                                        ; implicit-def: $vgpr146
                                        ; implicit-def: $vgpr144
                                        ; implicit-def: $vgpr147
	s_wait_alu 0xfffe
	s_cbranch_vccz .LBB139_81
; %bb.72:                               ;   in Loop: Header=BB139_71 Depth=2
	v_dual_mov_b32 v144, 0 :: v_dual_mov_b32 v147, 0
	s_mov_b32 s71, exec_lo
	v_cmpx_gt_i32_e64 s19, v48
	s_cbranch_execz .LBB139_74
; %bb.73:                               ;   in Loop: Header=BB139_71 Depth=2
	flat_load_b32 v147, v[0:1]
.LBB139_74:                             ;   in Loop: Header=BB139_71 Depth=2
	s_or_b32 exec_lo, exec_lo, s71
	s_delay_alu instid0(SALU_CYCLE_1)
	s_mov_b32 s71, exec_lo
	v_cmpx_gt_i32_e64 s19, v56
	s_cbranch_execz .LBB139_76
; %bb.75:                               ;   in Loop: Header=BB139_71 Depth=2
	v_add_co_u32 v2, vcc_lo, v118, v42
	s_wait_alu 0xfffd
	v_add_co_ci_u32_e64 v3, null, 0, v119, vcc_lo
	flat_load_b32 v144, v[2:3]
.LBB139_76:                             ;   in Loop: Header=BB139_71 Depth=2
	s_or_b32 exec_lo, exec_lo, s71
	v_dual_mov_b32 v145, 0 :: v_dual_mov_b32 v146, 0
	s_mov_b32 s71, exec_lo
	v_cmpx_gt_i32_e64 s19, v57
	s_cbranch_execz .LBB139_78
; %bb.77:                               ;   in Loop: Header=BB139_71 Depth=2
	v_add_co_u32 v2, vcc_lo, v114, v42
	s_wait_alu 0xfffd
	v_add_co_ci_u32_e64 v3, null, 0, v115, vcc_lo
	flat_load_b32 v146, v[2:3]
.LBB139_78:                             ;   in Loop: Header=BB139_71 Depth=2
	s_or_b32 exec_lo, exec_lo, s71
	s_delay_alu instid0(SALU_CYCLE_1)
	s_mov_b32 s71, exec_lo
	v_cmpx_gt_i32_e64 s19, v58
	s_cbranch_execz .LBB139_80
; %bb.79:                               ;   in Loop: Header=BB139_71 Depth=2
	v_add_co_u32 v2, vcc_lo, v116, v42
	s_wait_alu 0xfffd
	v_add_co_ci_u32_e64 v3, null, 0, v117, vcc_lo
	flat_load_b32 v145, v[2:3]
.LBB139_80:                             ;   in Loop: Header=BB139_71 Depth=2
	s_or_b32 exec_lo, exec_lo, s71
	s_mov_b32 s71, 0
.LBB139_81:                             ;   in Loop: Header=BB139_71 Depth=2
	s_delay_alu instid0(SALU_CYCLE_1)
	s_and_b32 vcc_lo, exec_lo, s71
	s_wait_alu 0xfffe
	s_cbranch_vccz .LBB139_83
; %bb.82:                               ;   in Loop: Header=BB139_71 Depth=2
	v_add_co_u32 v2, vcc_lo, v118, v42
	s_wait_alu 0xfffd
	v_add_co_ci_u32_e64 v3, null, 0, v119, vcc_lo
	v_add_co_u32 v4, vcc_lo, v114, v42
	s_wait_alu 0xfffd
	v_add_co_ci_u32_e64 v5, null, 0, v115, vcc_lo
	;; [unrolled: 3-line block ×3, first 2 shown]
	s_wait_loadcnt_dscnt 0x0
	flat_load_b32 v147, v[0:1]
	flat_load_b32 v144, v[2:3]
	;; [unrolled: 1-line block ×4, first 2 shown]
.LBB139_83:                             ;   in Loop: Header=BB139_71 Depth=2
	ds_load_b32 v4, v43
	ds_load_b128 v[0:3], v51
	v_cndmask_b32_e64 v12, 0, 1, s18
                                        ; implicit-def: $vgpr150
                                        ; implicit-def: $vgpr151
                                        ; implicit-def: $vgpr148
                                        ; implicit-def: $vgpr149
	s_wait_loadcnt_dscnt 0x1
	v_mul_f32_e32 v5, v147, v4
	v_mul_f32_e32 v6, v144, v4
	v_mul_f32_e32 v7, v146, v4
	v_mul_f32_e32 v4, v145, v4
	ds_store_2addr_b32 v52, v5, v6 offset1:67
	ds_store_2addr_b32 v52, v7, v4 offset0:134 offset1:201
	s_wait_dscnt 0x0
	s_barrier_signal -1
	s_barrier_wait -1
	global_inv scope:SCOPE_SE
	ds_load_2addr_b32 v[31:32], v108 offset1:1
	ds_load_2addr_b32 v[29:30], v108 offset0:2 offset1:3
	v_add_co_u32 v4, vcc_lo, v126, v42
	s_wait_alu 0xfffd
	v_add_co_ci_u32_e64 v5, null, 0, v127, vcc_lo
	s_and_not1_b32 vcc_lo, exec_lo, s18
	s_mov_b32 s18, -1
	s_wait_loadcnt_dscnt 0x0
	s_barrier_signal -1
	s_barrier_wait -1
	global_inv scope:SCOPE_SE
	s_wait_alu 0xfffe
	s_cbranch_vccnz .LBB139_93
; %bb.84:                               ;   in Loop: Header=BB139_71 Depth=2
	v_dual_mov_b32 v148, 0 :: v_dual_mov_b32 v149, 0
	s_mov_b32 s18, exec_lo
	v_cmpx_gt_i32_e64 s19, v59
	s_cbranch_execz .LBB139_86
; %bb.85:                               ;   in Loop: Header=BB139_71 Depth=2
	flat_load_b32 v149, v[4:5]
.LBB139_86:                             ;   in Loop: Header=BB139_71 Depth=2
	s_wait_alu 0xfffe
	s_or_b32 exec_lo, exec_lo, s18
	s_delay_alu instid0(SALU_CYCLE_1)
	s_mov_b32 s18, exec_lo
	v_cmpx_gt_i32_e64 s19, v60
	s_cbranch_execz .LBB139_88
; %bb.87:                               ;   in Loop: Header=BB139_71 Depth=2
	v_add_co_u32 v6, vcc_lo, v124, v42
	s_wait_alu 0xfffd
	v_add_co_ci_u32_e64 v7, null, 0, v125, vcc_lo
	flat_load_b32 v148, v[6:7]
.LBB139_88:                             ;   in Loop: Header=BB139_71 Depth=2
	s_wait_alu 0xfffe
	s_or_b32 exec_lo, exec_lo, s18
	v_dual_mov_b32 v150, 0 :: v_dual_mov_b32 v151, 0
	s_mov_b32 s18, exec_lo
	v_cmpx_gt_i32_e64 s19, v61
	s_cbranch_execz .LBB139_90
; %bb.89:                               ;   in Loop: Header=BB139_71 Depth=2
	v_add_co_u32 v6, vcc_lo, v120, v42
	s_wait_alu 0xfffd
	v_add_co_ci_u32_e64 v7, null, 0, v121, vcc_lo
	flat_load_b32 v151, v[6:7]
.LBB139_90:                             ;   in Loop: Header=BB139_71 Depth=2
	s_wait_alu 0xfffe
	s_or_b32 exec_lo, exec_lo, s18
	s_delay_alu instid0(SALU_CYCLE_1)
	s_mov_b32 s18, exec_lo
	v_cmpx_gt_i32_e64 s19, v62
	s_cbranch_execz .LBB139_92
; %bb.91:                               ;   in Loop: Header=BB139_71 Depth=2
	v_add_co_u32 v6, vcc_lo, v122, v42
	s_wait_alu 0xfffd
	v_add_co_ci_u32_e64 v7, null, 0, v123, vcc_lo
	flat_load_b32 v150, v[6:7]
.LBB139_92:                             ;   in Loop: Header=BB139_71 Depth=2
	s_wait_alu 0xfffe
	s_or_b32 exec_lo, exec_lo, s18
	s_mov_b32 s18, 0
.LBB139_93:                             ;   in Loop: Header=BB139_71 Depth=2
	s_wait_alu 0xfffe
	s_and_b32 vcc_lo, exec_lo, s18
	s_wait_alu 0xfffe
	s_cbranch_vccz .LBB139_95
; %bb.94:                               ;   in Loop: Header=BB139_71 Depth=2
	v_add_co_u32 v6, vcc_lo, v124, v42
	s_wait_alu 0xfffd
	v_add_co_ci_u32_e64 v7, null, 0, v125, vcc_lo
	v_add_co_u32 v8, vcc_lo, v120, v42
	s_wait_alu 0xfffd
	v_add_co_ci_u32_e64 v9, null, 0, v121, vcc_lo
	;; [unrolled: 3-line block ×3, first 2 shown]
	s_wait_loadcnt_dscnt 0x0
	flat_load_b32 v149, v[4:5]
	flat_load_b32 v148, v[6:7]
	;; [unrolled: 1-line block ×4, first 2 shown]
.LBB139_95:                             ;   in Loop: Header=BB139_71 Depth=2
	ds_load_b32 v4, v43
	v_cmp_ne_u32_e32 vcc_lo, 1, v12
                                        ; implicit-def: $vgpr154
                                        ; implicit-def: $vgpr155
                                        ; implicit-def: $vgpr152
                                        ; implicit-def: $vgpr153
	s_and_b32 vcc_lo, exec_lo, vcc_lo
	s_wait_loadcnt_dscnt 0x0
	v_mul_f32_e32 v8, v149, v4
	v_mul_f32_e32 v9, v148, v4
	v_mul_f32_e32 v10, v151, v4
	v_mul_f32_e32 v11, v150, v4
	ds_load_b128 v[4:7], v51 offset:64
	ds_store_2addr_b32 v52, v8, v9 offset1:67
	ds_store_2addr_b32 v52, v10, v11 offset0:134 offset1:201
	s_wait_dscnt 0x0
	s_barrier_signal -1
	s_barrier_wait -1
	global_inv scope:SCOPE_SE
	ds_load_2addr_b32 v[35:36], v108 offset1:1
	ds_load_2addr_b32 v[33:34], v108 offset0:2 offset1:3
	v_add_co_u32 v8, s18, v134, v42
	s_wait_alu 0xf1ff
	v_add_co_ci_u32_e64 v9, null, 0, v135, s18
	s_mov_b32 s18, -1
	s_wait_loadcnt_dscnt 0x0
	s_barrier_signal -1
	s_barrier_wait -1
	global_inv scope:SCOPE_SE
	s_wait_alu 0xfffe
	s_cbranch_vccnz .LBB139_105
; %bb.96:                               ;   in Loop: Header=BB139_71 Depth=2
	v_dual_mov_b32 v152, 0 :: v_dual_mov_b32 v153, 0
	s_mov_b32 s18, exec_lo
	v_cmpx_gt_i32_e64 s19, v63
	s_cbranch_execz .LBB139_98
; %bb.97:                               ;   in Loop: Header=BB139_71 Depth=2
	flat_load_b32 v153, v[8:9]
.LBB139_98:                             ;   in Loop: Header=BB139_71 Depth=2
	s_wait_alu 0xfffe
	s_or_b32 exec_lo, exec_lo, s18
	s_delay_alu instid0(SALU_CYCLE_1)
	s_mov_b32 s18, exec_lo
	v_cmpx_gt_i32_e64 s19, v64
	s_cbranch_execz .LBB139_100
; %bb.99:                               ;   in Loop: Header=BB139_71 Depth=2
	v_add_co_u32 v10, vcc_lo, v132, v42
	s_wait_alu 0xfffd
	v_add_co_ci_u32_e64 v11, null, 0, v133, vcc_lo
	flat_load_b32 v152, v[10:11]
.LBB139_100:                            ;   in Loop: Header=BB139_71 Depth=2
	s_wait_alu 0xfffe
	s_or_b32 exec_lo, exec_lo, s18
	v_dual_mov_b32 v154, 0 :: v_dual_mov_b32 v155, 0
	s_mov_b32 s18, exec_lo
	v_cmpx_gt_i32_e64 s19, v65
	s_cbranch_execz .LBB139_102
; %bb.101:                              ;   in Loop: Header=BB139_71 Depth=2
	v_add_co_u32 v10, vcc_lo, v128, v42
	s_wait_alu 0xfffd
	v_add_co_ci_u32_e64 v11, null, 0, v129, vcc_lo
	flat_load_b32 v155, v[10:11]
.LBB139_102:                            ;   in Loop: Header=BB139_71 Depth=2
	s_wait_alu 0xfffe
	s_or_b32 exec_lo, exec_lo, s18
	s_delay_alu instid0(SALU_CYCLE_1)
	s_mov_b32 s18, exec_lo
	v_cmpx_gt_i32_e64 s19, v66
	s_cbranch_execz .LBB139_104
; %bb.103:                              ;   in Loop: Header=BB139_71 Depth=2
	v_add_co_u32 v10, vcc_lo, v130, v42
	s_wait_alu 0xfffd
	v_add_co_ci_u32_e64 v11, null, 0, v131, vcc_lo
	flat_load_b32 v154, v[10:11]
.LBB139_104:                            ;   in Loop: Header=BB139_71 Depth=2
	s_wait_alu 0xfffe
	s_or_b32 exec_lo, exec_lo, s18
	s_mov_b32 s18, 0
.LBB139_105:                            ;   in Loop: Header=BB139_71 Depth=2
	s_wait_alu 0xfffe
	s_and_b32 vcc_lo, exec_lo, s18
	s_wait_alu 0xfffe
	s_cbranch_vccz .LBB139_107
; %bb.106:                              ;   in Loop: Header=BB139_71 Depth=2
	v_add_co_u32 v10, vcc_lo, v132, v42
	s_wait_alu 0xfffd
	v_add_co_ci_u32_e64 v11, null, 0, v133, vcc_lo
	v_add_co_u32 v13, vcc_lo, v128, v42
	s_wait_alu 0xfffd
	v_add_co_ci_u32_e64 v14, null, 0, v129, vcc_lo
	;; [unrolled: 3-line block ×3, first 2 shown]
	s_wait_loadcnt_dscnt 0x0
	flat_load_b32 v153, v[8:9]
	flat_load_b32 v152, v[10:11]
	;; [unrolled: 1-line block ×4, first 2 shown]
.LBB139_107:                            ;   in Loop: Header=BB139_71 Depth=2
	ds_load_b32 v13, v43
	ds_load_b128 v[8:11], v51 offset:128
	v_cmp_ne_u32_e32 vcc_lo, 1, v12
	v_add_co_u32 v12, s18, v142, v42
                                        ; implicit-def: $vgpr158
                                        ; implicit-def: $vgpr159
                                        ; implicit-def: $vgpr156
                                        ; implicit-def: $vgpr157
	s_and_b32 vcc_lo, exec_lo, vcc_lo
	s_wait_loadcnt_dscnt 0x1
	v_mul_f32_e32 v14, v153, v13
	v_mul_f32_e32 v15, v152, v13
	;; [unrolled: 1-line block ×4, first 2 shown]
	ds_store_2addr_b32 v52, v14, v15 offset1:67
	ds_store_2addr_b32 v52, v37, v13 offset0:134 offset1:201
	s_wait_dscnt 0x0
	s_barrier_signal -1
	s_barrier_wait -1
	global_inv scope:SCOPE_SE
	ds_load_2addr_b32 v[39:40], v108 offset1:1
	ds_load_2addr_b32 v[37:38], v108 offset0:2 offset1:3
	s_wait_alu 0xf1ff
	v_add_co_ci_u32_e64 v13, null, 0, v143, s18
	s_mov_b32 s18, -1
	s_wait_loadcnt_dscnt 0x0
	s_barrier_signal -1
	s_barrier_wait -1
	global_inv scope:SCOPE_SE
	s_wait_alu 0xfffe
	s_cbranch_vccnz .LBB139_117
; %bb.108:                              ;   in Loop: Header=BB139_71 Depth=2
	v_dual_mov_b32 v156, 0 :: v_dual_mov_b32 v157, 0
	s_mov_b32 s18, exec_lo
	v_cmpx_gt_i32_e64 s19, v67
	s_cbranch_execz .LBB139_110
; %bb.109:                              ;   in Loop: Header=BB139_71 Depth=2
	flat_load_b32 v157, v[12:13]
.LBB139_110:                            ;   in Loop: Header=BB139_71 Depth=2
	s_wait_alu 0xfffe
	s_or_b32 exec_lo, exec_lo, s18
	s_delay_alu instid0(SALU_CYCLE_1)
	s_mov_b32 s18, exec_lo
	v_cmpx_gt_i32_e64 s19, v68
	s_cbranch_execz .LBB139_112
; %bb.111:                              ;   in Loop: Header=BB139_71 Depth=2
	v_add_co_u32 v14, vcc_lo, v140, v42
	s_wait_alu 0xfffd
	v_add_co_ci_u32_e64 v15, null, 0, v141, vcc_lo
	flat_load_b32 v156, v[14:15]
.LBB139_112:                            ;   in Loop: Header=BB139_71 Depth=2
	s_wait_alu 0xfffe
	s_or_b32 exec_lo, exec_lo, s18
	v_dual_mov_b32 v158, 0 :: v_dual_mov_b32 v159, 0
	s_mov_b32 s18, exec_lo
	v_cmpx_gt_i32_e64 s19, v69
	s_cbranch_execz .LBB139_114
; %bb.113:                              ;   in Loop: Header=BB139_71 Depth=2
	v_add_co_u32 v14, vcc_lo, v136, v42
	s_wait_alu 0xfffd
	v_add_co_ci_u32_e64 v15, null, 0, v137, vcc_lo
	flat_load_b32 v159, v[14:15]
.LBB139_114:                            ;   in Loop: Header=BB139_71 Depth=2
	s_wait_alu 0xfffe
	s_or_b32 exec_lo, exec_lo, s18
	s_delay_alu instid0(SALU_CYCLE_1)
	s_mov_b32 s18, exec_lo
	v_cmpx_gt_i32_e64 s19, v70
	s_cbranch_execz .LBB139_116
; %bb.115:                              ;   in Loop: Header=BB139_71 Depth=2
	v_add_co_u32 v14, vcc_lo, v138, v42
	s_wait_alu 0xfffd
	v_add_co_ci_u32_e64 v15, null, 0, v139, vcc_lo
	flat_load_b32 v158, v[14:15]
.LBB139_116:                            ;   in Loop: Header=BB139_71 Depth=2
	s_wait_alu 0xfffe
	s_or_b32 exec_lo, exec_lo, s18
	s_mov_b32 s18, 0
.LBB139_117:                            ;   in Loop: Header=BB139_71 Depth=2
	s_wait_alu 0xfffe
	s_and_b32 vcc_lo, exec_lo, s18
	s_wait_alu 0xfffe
	s_cbranch_vccz .LBB139_119
; %bb.118:                              ;   in Loop: Header=BB139_71 Depth=2
	v_add_co_u32 v14, vcc_lo, v140, v42
	s_wait_alu 0xfffd
	v_add_co_ci_u32_e64 v15, null, 0, v141, vcc_lo
	s_wait_loadcnt_dscnt 0x0
	v_add_co_u32 v158, vcc_lo, v136, v42
	s_wait_alu 0xfffd
	v_add_co_ci_u32_e64 v159, null, 0, v137, vcc_lo
	v_add_co_u32 v160, vcc_lo, v138, v42
	s_wait_alu 0xfffd
	v_add_co_ci_u32_e64 v161, null, 0, v139, vcc_lo
	flat_load_b32 v157, v[12:13]
	flat_load_b32 v156, v[14:15]
	;; [unrolled: 1-line block ×4, first 2 shown]
.LBB139_119:                            ;   in Loop: Header=BB139_71 Depth=2
	ds_load_b32 v160, v43
	ds_load_b128 v[12:15], v51 offset:192
	v_cmp_gt_i32_e32 vcc_lo, s19, v41
	v_add_f32_e32 v39, 0, v39
	v_add_f32_e32 v35, 0, v35
	s_or_b32 s18, s61, vcc_lo
	s_delay_alu instid0(VALU_DEP_2) | instskip(SKIP_3) | instid1(VALU_DEP_2)
	v_add_f32_e32 v39, v39, v40
	s_wait_alu 0xfffe
	s_and_b32 s19, s17, s18
	v_add_f32_e32 v35, v35, v36
	v_add_f32_e32 v36, v39, v37
	s_wait_loadcnt_dscnt 0x1
	s_delay_alu instid0(VALU_DEP_2)
	v_dual_add_f32 v33, v35, v33 :: v_dual_mul_f32 v162, v156, v160
	v_mul_f32_e32 v161, v157, v160
	v_mul_f32_e32 v163, v159, v160
	;; [unrolled: 1-line block ×3, first 2 shown]
	ds_store_2addr_b32 v52, v161, v162 offset1:67
	ds_store_2addr_b32 v52, v163, v160 offset0:134 offset1:201
	s_wait_dscnt 0x0
	s_barrier_signal -1
	s_barrier_wait -1
	global_inv scope:SCOPE_SE
	ds_load_2addr_b32 v[160:161], v108 offset1:1
	ds_load_2addr_b32 v[162:163], v108 offset0:2 offset1:3
	v_add_f32_e32 v31, 0, v31
	s_wait_loadcnt_dscnt 0x0
	s_barrier_signal -1
	s_barrier_wait -1
	global_inv scope:SCOPE_SE
	v_add_f32_e32 v160, 0, v160
	s_delay_alu instid0(VALU_DEP_1) | instskip(NEXT) | instid1(VALU_DEP_1)
	v_dual_add_f32 v31, v31, v32 :: v_dual_add_f32 v32, v160, v161
	v_add_f32_e32 v29, v31, v29
	s_delay_alu instid0(VALU_DEP_2) | instskip(SKIP_1) | instid1(VALU_DEP_3)
	v_add_f32_e32 v31, v32, v162
	v_add_f32_e32 v33, v33, v34
	;; [unrolled: 1-line block ×4, first 2 shown]
	s_delay_alu instid0(VALU_DEP_4)
	v_add_f32_e32 v30, v31, v163
	ds_store_2addr_b32 v53, v29, v33 offset1:16
	ds_store_2addr_b32 v53, v32, v30 offset0:32 offset1:48
	s_wait_loadcnt_dscnt 0x0
	s_barrier_signal -1
	s_barrier_wait -1
	global_inv scope:SCOPE_SE
	s_wait_alu 0xfffe
	s_and_saveexec_b32 s18, s19
	s_cbranch_execz .LBB139_121
; %bb.120:                              ;   in Loop: Header=BB139_71 Depth=2
	ds_load_2addr_b32 v[29:30], v54 offset1:1
	ds_load_2addr_b32 v[31:32], v54 offset0:2 offset1:3
	ds_load_2addr_b32 v[33:34], v54 offset0:4 offset1:5
	;; [unrolled: 1-line block ×3, first 2 shown]
	s_wait_dscnt 0x3
	v_add_f32_e32 v29, v29, v30
	s_wait_dscnt 0x2
	s_delay_alu instid0(VALU_DEP_1) | instskip(NEXT) | instid1(VALU_DEP_1)
	v_add_f32_e32 v29, v29, v31
	v_add_f32_e32 v31, v29, v32
	ds_load_2addr_b32 v[29:30], v54 offset0:8 offset1:9
	s_wait_dscnt 0x2
	v_add_f32_e32 v31, v31, v33
	s_delay_alu instid0(VALU_DEP_1) | instskip(SKIP_3) | instid1(VALU_DEP_1)
	v_add_f32_e32 v33, v31, v34
	ds_load_2addr_b32 v[31:32], v54 offset0:10 offset1:11
	s_wait_dscnt 0x2
	v_add_f32_e32 v33, v33, v35
	v_add_f32_e32 v35, v33, v36
	ds_load_2addr_b32 v[33:34], v54 offset0:12 offset1:13
	ds_load_b32 v36, v54 offset:56
	s_wait_dscnt 0x3
	v_add_f32_e32 v29, v35, v29
	s_delay_alu instid0(VALU_DEP_1) | instskip(SKIP_1) | instid1(VALU_DEP_1)
	v_add_f32_e32 v29, v29, v30
	s_wait_dscnt 0x2
	v_add_f32_e32 v29, v29, v31
	ds_load_b32 v31, v55
	v_add_f32_e32 v29, v29, v32
	s_wait_dscnt 0x2
	s_delay_alu instid0(VALU_DEP_1) | instskip(NEXT) | instid1(VALU_DEP_1)
	v_add_f32_e32 v30, v29, v33
	v_dual_add_f32 v32, v30, v34 :: v_dual_add_nc_u32 v29, s60, v41
	s_delay_alu instid0(VALU_DEP_1) | instskip(SKIP_1) | instid1(VALU_DEP_2)
	v_ashrrev_i32_e32 v30, 31, v29
	s_wait_dscnt 0x1
	v_add_f32_e32 v32, v32, v36
	s_delay_alu instid0(VALU_DEP_2) | instskip(SKIP_1) | instid1(VALU_DEP_2)
	v_lshlrev_b64_e32 v[29:30], 2, v[29:30]
	s_wait_dscnt 0x0
	v_add_f32_e32 v31, v32, v31
	s_delay_alu instid0(VALU_DEP_2) | instskip(SKIP_1) | instid1(VALU_DEP_3)
	v_add_co_u32 v29, vcc_lo, s58, v29
	s_wait_alu 0xfffd
	v_add_co_ci_u32_e64 v30, null, s59, v30, vcc_lo
	global_store_b32 v[29:30], v31, off
.LBB139_121:                            ;   in Loop: Header=BB139_71 Depth=2
	s_wait_alu 0xfffe
	s_or_b32 exec_lo, exec_lo, s18
	v_fmac_f32_e32 v109, v147, v0
	v_add_co_u32 v114, vcc_lo, v114, s50
	s_wait_alu 0xfffd
	v_add_co_ci_u32_e64 v115, null, s51, v115, vcc_lo
	s_delay_alu instid0(VALU_DEP_3) | instskip(SKIP_3) | instid1(VALU_DEP_3)
	v_fmac_f32_e32 v109, v144, v1
	v_add_co_u32 v116, vcc_lo, v116, s50
	s_wait_alu 0xfffd
	v_add_co_ci_u32_e64 v117, null, s51, v117, vcc_lo
	v_fmac_f32_e32 v109, v146, v2
	v_add_co_u32 v118, vcc_lo, v118, s50
	s_wait_alu 0xfffd
	v_add_co_ci_u32_e64 v119, null, s51, v119, vcc_lo
	s_delay_alu instid0(VALU_DEP_3) | instskip(SKIP_3) | instid1(VALU_DEP_3)
	v_fmac_f32_e32 v109, v145, v3
	v_add_co_u32 v112, vcc_lo, v112, s50
	s_wait_alu 0xfffd
	v_add_co_ci_u32_e64 v113, null, s51, v113, vcc_lo
	;; [unrolled: 9-line block ×7, first 2 shown]
	v_fmac_f32_e32 v109, v159, v14
	v_add_co_u32 v140, vcc_lo, v140, s50
	s_wait_alu 0xfffd
	v_add_co_ci_u32_e64 v141, null, s51, v141, vcc_lo
	v_add_co_u32 v142, vcc_lo, v142, s50
	v_fmac_f32_e32 v109, v158, v15
	s_wait_alu 0xfffd
	v_add_co_ci_u32_e64 v143, null, s51, v143, vcc_lo
	s_add_co_i32 s19, s70, 2
	s_add_co_i32 s18, s70, 1
	;; [unrolled: 1-line block ×3, first 2 shown]
	s_wait_alu 0xfffe
	s_cmp_ge_u32 s19, s34
	s_wait_loadcnt 0x0
	s_wait_storecnt 0x0
	s_barrier_signal -1
	s_barrier_wait -1
	global_inv scope:SCOPE_SE
	s_cbranch_scc1 .LBB139_123
; %bb.122:                              ;   in Loop: Header=BB139_71 Depth=2
	s_mov_b32 s70, s18
	s_delay_alu instid0(SALU_CYCLE_1)
	s_cmp_eq_u32 s67, s70
	s_cselect_b32 s19, s64, 0
	s_and_saveexec_b32 s18, s0
	s_cbranch_execnz .LBB139_68
	s_branch .LBB139_71
.LBB139_123:                            ;   in Loop: Header=BB139_4 Depth=1
	ds_store_b32 v71, v109
	s_wait_loadcnt_dscnt 0x0
	s_barrier_signal -1
	s_barrier_wait -1
	global_inv scope:SCOPE_SE
	s_and_saveexec_b32 s18, s68
	s_cbranch_execz .LBB139_2
; %bb.124:                              ;   in Loop: Header=BB139_4 Depth=1
	ds_load_2addr_b32 v[0:1], v42 offset1:67
	ds_load_2addr_b32 v[2:3], v42 offset0:134 offset1:201
	s_wait_dscnt 0x1
	v_add_f32_e32 v0, v0, v1
	s_wait_dscnt 0x0
	s_delay_alu instid0(VALU_DEP_1) | instskip(NEXT) | instid1(VALU_DEP_1)
	v_add_f32_e32 v0, v0, v2
	v_add_f32_e32 v2, v0, v3
	s_wait_alu 0xfffe
	v_add_co_u32 v0, vcc_lo, s58, v25
	s_wait_alu 0xfffd
	v_add_co_ci_u32_e64 v1, null, s59, v26, vcc_lo
	global_store_b32 v[0:1], v2, off
	s_branch .LBB139_2
.LBB139_125:                            ;   in Loop: Header=BB139_4 Depth=1
	ds_load_b32 v0, v106
	s_wait_dscnt 0x0
	ds_store_b32 v45, v0
	s_wait_alu 0xfffe
	s_or_b32 exec_lo, exec_lo, s18
	s_and_saveexec_b32 s18, s7
	s_cbranch_execz .LBB139_26
.LBB139_126:                            ;   in Loop: Header=BB139_4 Depth=1
	ds_load_b32 v0, v107
	s_wait_dscnt 0x0
	ds_store_b32 v45, v0 offset:4
	s_wait_alu 0xfffe
	s_or_b32 exec_lo, exec_lo, s18
	s_and_saveexec_b32 s18, s8
	s_cbranch_execz .LBB139_27
.LBB139_127:                            ;   in Loop: Header=BB139_4 Depth=1
	ds_load_b32 v0, v107 offset:132
	s_wait_dscnt 0x0
	ds_store_b32 v45, v0 offset:8
	s_wait_alu 0xfffe
	s_or_b32 exec_lo, exec_lo, s18
	s_and_saveexec_b32 s18, s9
	s_cbranch_execnz .LBB139_28
	s_branch .LBB139_29
.LBB139_128:                            ;   in Loop: Header=BB139_4 Depth=1
	ds_load_b32 v2, v106
	s_wait_dscnt 0x0
	ds_store_b32 v45, v2
	s_wait_alu 0xfffe
	s_or_b32 exec_lo, exec_lo, s58
	s_and_saveexec_b32 s58, s7
	s_cbranch_execz .LBB139_45
.LBB139_129:                            ;   in Loop: Header=BB139_4 Depth=1
	ds_load_b32 v2, v107
	s_wait_dscnt 0x0
	ds_store_b32 v45, v2 offset:4
	s_wait_alu 0xfffe
	s_or_b32 exec_lo, exec_lo, s58
	s_and_saveexec_b32 s58, s8
	s_cbranch_execz .LBB139_46
.LBB139_130:                            ;   in Loop: Header=BB139_4 Depth=1
	ds_load_b32 v2, v107 offset:132
	s_wait_dscnt 0x0
	ds_store_b32 v45, v2 offset:8
	s_wait_alu 0xfffe
	s_or_b32 exec_lo, exec_lo, s58
	s_and_saveexec_b32 s58, s9
	s_cbranch_execnz .LBB139_47
	s_branch .LBB139_48
.LBB139_131:
	s_nop 0
	s_sendmsg sendmsg(MSG_DEALLOC_VGPRS)
	s_endpgm
	.section	.rodata,"a",@progbits
	.p2align	6, 0x0
	.amdhsa_kernel _ZL26rocblas_hemvn_kernel_upperILb0ELi64ELi4ELi33ELi32ELi16ElfPKPKfPfEviT6_lT7_lT5_lS6_lS7_lS5_lT8_i
		.amdhsa_group_segment_fixed_size 4800
		.amdhsa_private_segment_fixed_size 0
		.amdhsa_kernarg_size 368
		.amdhsa_user_sgpr_count 2
		.amdhsa_user_sgpr_dispatch_ptr 0
		.amdhsa_user_sgpr_queue_ptr 0
		.amdhsa_user_sgpr_kernarg_segment_ptr 1
		.amdhsa_user_sgpr_dispatch_id 0
		.amdhsa_user_sgpr_private_segment_size 0
		.amdhsa_wavefront_size32 1
		.amdhsa_uses_dynamic_stack 0
		.amdhsa_enable_private_segment 0
		.amdhsa_system_sgpr_workgroup_id_x 1
		.amdhsa_system_sgpr_workgroup_id_y 0
		.amdhsa_system_sgpr_workgroup_id_z 1
		.amdhsa_system_sgpr_workgroup_info 0
		.amdhsa_system_vgpr_workitem_id 1
		.amdhsa_next_free_vgpr 164
		.amdhsa_next_free_sgpr 74
		.amdhsa_reserve_vcc 1
		.amdhsa_float_round_mode_32 0
		.amdhsa_float_round_mode_16_64 0
		.amdhsa_float_denorm_mode_32 3
		.amdhsa_float_denorm_mode_16_64 3
		.amdhsa_fp16_overflow 0
		.amdhsa_workgroup_processor_mode 1
		.amdhsa_memory_ordered 1
		.amdhsa_forward_progress 1
		.amdhsa_inst_pref_size 73
		.amdhsa_round_robin_scheduling 0
		.amdhsa_exception_fp_ieee_invalid_op 0
		.amdhsa_exception_fp_denorm_src 0
		.amdhsa_exception_fp_ieee_div_zero 0
		.amdhsa_exception_fp_ieee_overflow 0
		.amdhsa_exception_fp_ieee_underflow 0
		.amdhsa_exception_fp_ieee_inexact 0
		.amdhsa_exception_int_div_zero 0
	.end_amdhsa_kernel
	.section	.text._ZL26rocblas_hemvn_kernel_upperILb0ELi64ELi4ELi33ELi32ELi16ElfPKPKfPfEviT6_lT7_lT5_lS6_lS7_lS5_lT8_i,"axG",@progbits,_ZL26rocblas_hemvn_kernel_upperILb0ELi64ELi4ELi33ELi32ELi16ElfPKPKfPfEviT6_lT7_lT5_lS6_lS7_lS5_lT8_i,comdat
.Lfunc_end139:
	.size	_ZL26rocblas_hemvn_kernel_upperILb0ELi64ELi4ELi33ELi32ELi16ElfPKPKfPfEviT6_lT7_lT5_lS6_lS7_lS5_lT8_i, .Lfunc_end139-_ZL26rocblas_hemvn_kernel_upperILb0ELi64ELi4ELi33ELi32ELi16ElfPKPKfPfEviT6_lT7_lT5_lS6_lS7_lS5_lT8_i
                                        ; -- End function
	.set _ZL26rocblas_hemvn_kernel_upperILb0ELi64ELi4ELi33ELi32ELi16ElfPKPKfPfEviT6_lT7_lT5_lS6_lS7_lS5_lT8_i.num_vgpr, 164
	.set _ZL26rocblas_hemvn_kernel_upperILb0ELi64ELi4ELi33ELi32ELi16ElfPKPKfPfEviT6_lT7_lT5_lS6_lS7_lS5_lT8_i.num_agpr, 0
	.set _ZL26rocblas_hemvn_kernel_upperILb0ELi64ELi4ELi33ELi32ELi16ElfPKPKfPfEviT6_lT7_lT5_lS6_lS7_lS5_lT8_i.numbered_sgpr, 74
	.set _ZL26rocblas_hemvn_kernel_upperILb0ELi64ELi4ELi33ELi32ELi16ElfPKPKfPfEviT6_lT7_lT5_lS6_lS7_lS5_lT8_i.num_named_barrier, 0
	.set _ZL26rocblas_hemvn_kernel_upperILb0ELi64ELi4ELi33ELi32ELi16ElfPKPKfPfEviT6_lT7_lT5_lS6_lS7_lS5_lT8_i.private_seg_size, 0
	.set _ZL26rocblas_hemvn_kernel_upperILb0ELi64ELi4ELi33ELi32ELi16ElfPKPKfPfEviT6_lT7_lT5_lS6_lS7_lS5_lT8_i.uses_vcc, 1
	.set _ZL26rocblas_hemvn_kernel_upperILb0ELi64ELi4ELi33ELi32ELi16ElfPKPKfPfEviT6_lT7_lT5_lS6_lS7_lS5_lT8_i.uses_flat_scratch, 1
	.set _ZL26rocblas_hemvn_kernel_upperILb0ELi64ELi4ELi33ELi32ELi16ElfPKPKfPfEviT6_lT7_lT5_lS6_lS7_lS5_lT8_i.has_dyn_sized_stack, 0
	.set _ZL26rocblas_hemvn_kernel_upperILb0ELi64ELi4ELi33ELi32ELi16ElfPKPKfPfEviT6_lT7_lT5_lS6_lS7_lS5_lT8_i.has_recursion, 0
	.set _ZL26rocblas_hemvn_kernel_upperILb0ELi64ELi4ELi33ELi32ELi16ElfPKPKfPfEviT6_lT7_lT5_lS6_lS7_lS5_lT8_i.has_indirect_call, 0
	.section	.AMDGPU.csdata,"",@progbits
; Kernel info:
; codeLenInByte = 9244
; TotalNumSgprs: 76
; NumVgprs: 164
; ScratchSize: 0
; MemoryBound: 0
; FloatMode: 240
; IeeeMode: 1
; LDSByteSize: 4800 bytes/workgroup (compile time only)
; SGPRBlocks: 0
; VGPRBlocks: 20
; NumSGPRsForWavesPerEU: 76
; NumVGPRsForWavesPerEU: 164
; Occupancy: 9
; WaveLimiterHint : 1
; COMPUTE_PGM_RSRC2:SCRATCH_EN: 0
; COMPUTE_PGM_RSRC2:USER_SGPR: 2
; COMPUTE_PGM_RSRC2:TRAP_HANDLER: 0
; COMPUTE_PGM_RSRC2:TGID_X_EN: 1
; COMPUTE_PGM_RSRC2:TGID_Y_EN: 0
; COMPUTE_PGM_RSRC2:TGID_Z_EN: 1
; COMPUTE_PGM_RSRC2:TIDIG_COMP_CNT: 1
	.section	.text._ZL36rocblas_hemvn_kernel_upper_block_sumILi64ElfPKPffEviT1_lS3_lT2_lT0_lPT3_i,"axG",@progbits,_ZL36rocblas_hemvn_kernel_upper_block_sumILi64ElfPKPffEviT1_lS3_lT2_lT0_lPT3_i,comdat
	.globl	_ZL36rocblas_hemvn_kernel_upper_block_sumILi64ElfPKPffEviT1_lS3_lT2_lT0_lPT3_i ; -- Begin function _ZL36rocblas_hemvn_kernel_upper_block_sumILi64ElfPKPffEviT1_lS3_lT2_lT0_lPT3_i
	.p2align	8
	.type	_ZL36rocblas_hemvn_kernel_upper_block_sumILi64ElfPKPffEviT1_lS3_lT2_lT0_lPT3_i,@function
_ZL36rocblas_hemvn_kernel_upper_block_sumILi64ElfPKPffEviT1_lS3_lT2_lT0_lPT3_i: ; @_ZL36rocblas_hemvn_kernel_upper_block_sumILi64ElfPKPffEviT1_lS3_lT2_lT0_lPT3_i
; %bb.0:
	s_load_b32 s16, s[0:1], 0x48
	s_lshr_b32 s2, ttmp7, 16
	s_wait_kmcnt 0x0
	s_cmp_ge_u32 s2, s16
	s_cbranch_scc1 .LBB140_25
; %bb.1:
	s_clause 0x2
	s_load_b64 s[8:9], s[0:1], 0x0
	s_load_b128 s[4:7], s[0:1], 0x28
	s_load_b32 s17, s[0:1], 0x10
	v_lshl_or_b32 v0, ttmp9, 6, v0
	s_clause 0x1
	s_load_b64 s[10:11], s[0:1], 0x20
	s_load_b64 s[12:13], s[0:1], 0x40
	s_mov_b32 s3, 0
	v_ashrrev_i32_e32 v1, 31, v0
	s_delay_alu instid0(VALU_DEP_1)
	v_lshlrev_b64_e32 v[4:5], 2, v[0:1]
	s_wait_kmcnt 0x0
	s_cmp_eq_f32 s9, 0
	v_mul_lo_u32 v6, s6, v1
	v_mul_lo_u32 v7, s7, v0
	v_mad_co_u64_u32 v[2:3], null, s6, v0, 0
	s_cselect_b32 s18, -1, 0
	s_cmp_neq_f32 s9, 0
	s_add_nc_u64 s[6:7], s[0:1], 0x50
	v_cmp_gt_i32_e64 s0, s8, v0
	v_add_co_u32 v0, vcc_lo, s12, v4
	s_cselect_b32 s1, -1, 0
	s_cmp_neq_f32 s17, 1.0
	v_add3_u32 v3, v3, v6, v7
	v_add_co_ci_u32_e64 v1, null, s13, v5, vcc_lo
	s_cselect_b32 s15, -1, 0
	s_mov_b32 s14, s8
	s_wait_alu 0xfffe
	s_or_b32 s1, s1, s15
	s_cmp_neq_f32 s17, 0
	v_lshlrev_b64_e32 v[2:3], 2, v[2:3]
	s_cselect_b32 s19, -1, 0
	s_cmp_eq_f32 s17, 0
	s_cselect_b32 s20, -1, 0
	s_ashr_i32 s15, s8, 31
	s_cmp_gt_i32 ttmp9, -1
	s_cselect_b32 s8, -1, 0
	s_add_co_i32 s21, ttmp9, 1
	s_lshl_b64 s[12:13], s[14:15], 2
	s_lshl_b64 s[4:5], s[4:5], 2
	s_branch .LBB140_4
.LBB140_2:                              ;   in Loop: Header=BB140_4 Depth=1
	s_or_b32 exec_lo, exec_lo, s23
.LBB140_3:                              ;   in Loop: Header=BB140_4 Depth=1
	s_add_co_i32 s2, s2, 0x10000
	s_wait_alu 0xfffe
	s_cmp_lt_u32 s2, s16
	s_cbranch_scc0 .LBB140_25
.LBB140_4:                              ; =>This Loop Header: Depth=1
                                        ;     Child Loop BB140_16 Depth 2
	s_wait_alu 0xfffe
	s_and_not1_b32 vcc_lo, exec_lo, s1
	s_wait_alu 0xfffe
	s_cbranch_vccnz .LBB140_3
; %bb.5:                                ;   in Loop: Header=BB140_4 Depth=1
	s_lshl_b64 s[14:15], s[2:3], 3
	s_and_not1_b32 vcc_lo, exec_lo, s18
	s_wait_alu 0xfffe
	s_add_nc_u64 s[14:15], s[10:11], s[14:15]
	s_load_b64 s[14:15], s[14:15], 0x0
	s_wait_kmcnt 0x0
	s_add_nc_u64 s[14:15], s[14:15], s[4:5]
	s_cbranch_vccnz .LBB140_9
; %bb.6:                                ;   in Loop: Header=BB140_4 Depth=1
	s_mov_b32 s23, 0
	s_mov_b32 s22, 0
                                        ; implicit-def: $vgpr4
	s_and_saveexec_b32 s24, s0
	s_cbranch_execz .LBB140_10
; %bb.7:                                ;   in Loop: Header=BB140_4 Depth=1
	s_and_not1_b32 vcc_lo, exec_lo, s19
	s_wait_alu 0xfffe
	s_cbranch_vccnz .LBB140_11
; %bb.8:                                ;   in Loop: Header=BB140_4 Depth=1
	v_add_co_u32 v4, vcc_lo, s14, v2
	s_wait_alu 0xfffd
	v_add_co_ci_u32_e64 v5, null, s15, v3, vcc_lo
	flat_load_b32 v4, v[4:5]
	s_wait_loadcnt_dscnt 0x0
	v_mul_f32_e32 v4, s17, v4
	s_branch .LBB140_12
.LBB140_9:                              ;   in Loop: Header=BB140_4 Depth=1
	s_mov_b32 s22, 0
                                        ; implicit-def: $vgpr4
	s_cbranch_execnz .LBB140_13
	s_branch .LBB140_23
.LBB140_10:                             ;   in Loop: Header=BB140_4 Depth=1
	s_wait_alu 0xfffe
	s_or_b32 exec_lo, exec_lo, s24
	s_delay_alu instid0(SALU_CYCLE_1)
	s_and_b32 vcc_lo, exec_lo, s23
	s_wait_alu 0xfffe
	s_cbranch_vccnz .LBB140_13
	s_branch .LBB140_23
.LBB140_11:                             ;   in Loop: Header=BB140_4 Depth=1
	v_mov_b32_e32 v4, 0
.LBB140_12:                             ;   in Loop: Header=BB140_4 Depth=1
	s_mov_b32 s22, exec_lo
	s_or_b32 exec_lo, exec_lo, s24
	s_delay_alu instid0(SALU_CYCLE_1)
	s_and_b32 vcc_lo, exec_lo, s23
	s_wait_alu 0xfffe
	s_cbranch_vccz .LBB140_23
.LBB140_13:                             ;   in Loop: Header=BB140_4 Depth=1
                                        ; implicit-def: $vgpr4
	s_and_saveexec_b32 s23, s0
	s_cbranch_execz .LBB140_22
; %bb.14:                               ;   in Loop: Header=BB140_4 Depth=1
	v_mov_b32_e32 v6, 0
	s_and_not1_b32 vcc_lo, exec_lo, s8
	s_wait_alu 0xfffe
	s_cbranch_vccnz .LBB140_17
; %bb.15:                               ;   in Loop: Header=BB140_4 Depth=1
	s_load_b32 s24, s[6:7], 0x0
	s_mov_b32 s25, s3
	s_wait_kmcnt 0x0
	s_wait_alu 0xfffe
	s_mul_u64 s[24:25], s[12:13], s[24:25]
	s_wait_alu 0xfffe
	v_mad_co_u64_u32 v[4:5], null, s24, s2, v[0:1]
	s_mov_b32 s24, s21
	v_mad_co_u64_u32 v[5:6], null, s25, s2, v[5:6]
	v_mov_b32_e32 v6, 0
.LBB140_16:                             ;   Parent Loop BB140_4 Depth=1
                                        ; =>  This Inner Loop Header: Depth=2
	global_load_b32 v7, v[4:5], off
	v_add_co_u32 v4, vcc_lo, v4, s12
	s_wait_alu 0xfffd
	v_add_co_ci_u32_e64 v5, null, s13, v5, vcc_lo
	s_wait_alu 0xfffe
	s_add_co_i32 s24, s24, -1
	s_wait_alu 0xfffe
	s_cmp_eq_u32 s24, 0
	s_wait_loadcnt 0x0
	v_add_f32_e32 v6, v6, v7
	s_cbranch_scc0 .LBB140_16
.LBB140_17:                             ;   in Loop: Header=BB140_4 Depth=1
	s_and_b32 vcc_lo, exec_lo, s20
	s_mov_b32 s24, -1
                                        ; implicit-def: $vgpr4
	s_wait_alu 0xfffe
	s_cbranch_vccz .LBB140_19
; %bb.18:                               ;   in Loop: Header=BB140_4 Depth=1
	v_mul_f32_e32 v4, s9, v6
	s_mov_b32 s24, 0
.LBB140_19:                             ;   in Loop: Header=BB140_4 Depth=1
	s_wait_alu 0xfffe
	s_and_not1_b32 vcc_lo, exec_lo, s24
	s_wait_alu 0xfffe
	s_cbranch_vccnz .LBB140_21
; %bb.20:                               ;   in Loop: Header=BB140_4 Depth=1
	v_add_co_u32 v4, vcc_lo, s14, v2
	s_wait_alu 0xfffd
	v_add_co_ci_u32_e64 v5, null, s15, v3, vcc_lo
	flat_load_b32 v4, v[4:5]
	s_wait_loadcnt_dscnt 0x0
	v_mul_f32_e32 v4, s17, v4
	s_delay_alu instid0(VALU_DEP_1)
	v_fmac_f32_e32 v4, s9, v6
.LBB140_21:                             ;   in Loop: Header=BB140_4 Depth=1
	s_or_b32 s22, s22, exec_lo
.LBB140_22:                             ;   in Loop: Header=BB140_4 Depth=1
	s_or_b32 exec_lo, exec_lo, s23
.LBB140_23:                             ;   in Loop: Header=BB140_4 Depth=1
	s_and_saveexec_b32 s23, s22
	s_cbranch_execz .LBB140_2
; %bb.24:                               ;   in Loop: Header=BB140_4 Depth=1
	s_wait_alu 0xfffe
	v_add_co_u32 v5, vcc_lo, s14, v2
	s_wait_alu 0xfffd
	v_add_co_ci_u32_e64 v6, null, s15, v3, vcc_lo
	flat_store_b32 v[5:6], v4
	s_branch .LBB140_2
.LBB140_25:
	s_endpgm
	.section	.rodata,"a",@progbits
	.p2align	6, 0x0
	.amdhsa_kernel _ZL36rocblas_hemvn_kernel_upper_block_sumILi64ElfPKPffEviT1_lS3_lT2_lT0_lPT3_i
		.amdhsa_group_segment_fixed_size 0
		.amdhsa_private_segment_fixed_size 0
		.amdhsa_kernarg_size 336
		.amdhsa_user_sgpr_count 2
		.amdhsa_user_sgpr_dispatch_ptr 0
		.amdhsa_user_sgpr_queue_ptr 0
		.amdhsa_user_sgpr_kernarg_segment_ptr 1
		.amdhsa_user_sgpr_dispatch_id 0
		.amdhsa_user_sgpr_private_segment_size 0
		.amdhsa_wavefront_size32 1
		.amdhsa_uses_dynamic_stack 0
		.amdhsa_enable_private_segment 0
		.amdhsa_system_sgpr_workgroup_id_x 1
		.amdhsa_system_sgpr_workgroup_id_y 0
		.amdhsa_system_sgpr_workgroup_id_z 1
		.amdhsa_system_sgpr_workgroup_info 0
		.amdhsa_system_vgpr_workitem_id 0
		.amdhsa_next_free_vgpr 8
		.amdhsa_next_free_sgpr 26
		.amdhsa_reserve_vcc 1
		.amdhsa_float_round_mode_32 0
		.amdhsa_float_round_mode_16_64 0
		.amdhsa_float_denorm_mode_32 3
		.amdhsa_float_denorm_mode_16_64 3
		.amdhsa_fp16_overflow 0
		.amdhsa_workgroup_processor_mode 1
		.amdhsa_memory_ordered 1
		.amdhsa_forward_progress 1
		.amdhsa_inst_pref_size 6
		.amdhsa_round_robin_scheduling 0
		.amdhsa_exception_fp_ieee_invalid_op 0
		.amdhsa_exception_fp_denorm_src 0
		.amdhsa_exception_fp_ieee_div_zero 0
		.amdhsa_exception_fp_ieee_overflow 0
		.amdhsa_exception_fp_ieee_underflow 0
		.amdhsa_exception_fp_ieee_inexact 0
		.amdhsa_exception_int_div_zero 0
	.end_amdhsa_kernel
	.section	.text._ZL36rocblas_hemvn_kernel_upper_block_sumILi64ElfPKPffEviT1_lS3_lT2_lT0_lPT3_i,"axG",@progbits,_ZL36rocblas_hemvn_kernel_upper_block_sumILi64ElfPKPffEviT1_lS3_lT2_lT0_lPT3_i,comdat
.Lfunc_end140:
	.size	_ZL36rocblas_hemvn_kernel_upper_block_sumILi64ElfPKPffEviT1_lS3_lT2_lT0_lPT3_i, .Lfunc_end140-_ZL36rocblas_hemvn_kernel_upper_block_sumILi64ElfPKPffEviT1_lS3_lT2_lT0_lPT3_i
                                        ; -- End function
	.set _ZL36rocblas_hemvn_kernel_upper_block_sumILi64ElfPKPffEviT1_lS3_lT2_lT0_lPT3_i.num_vgpr, 8
	.set _ZL36rocblas_hemvn_kernel_upper_block_sumILi64ElfPKPffEviT1_lS3_lT2_lT0_lPT3_i.num_agpr, 0
	.set _ZL36rocblas_hemvn_kernel_upper_block_sumILi64ElfPKPffEviT1_lS3_lT2_lT0_lPT3_i.numbered_sgpr, 26
	.set _ZL36rocblas_hemvn_kernel_upper_block_sumILi64ElfPKPffEviT1_lS3_lT2_lT0_lPT3_i.num_named_barrier, 0
	.set _ZL36rocblas_hemvn_kernel_upper_block_sumILi64ElfPKPffEviT1_lS3_lT2_lT0_lPT3_i.private_seg_size, 0
	.set _ZL36rocblas_hemvn_kernel_upper_block_sumILi64ElfPKPffEviT1_lS3_lT2_lT0_lPT3_i.uses_vcc, 1
	.set _ZL36rocblas_hemvn_kernel_upper_block_sumILi64ElfPKPffEviT1_lS3_lT2_lT0_lPT3_i.uses_flat_scratch, 0
	.set _ZL36rocblas_hemvn_kernel_upper_block_sumILi64ElfPKPffEviT1_lS3_lT2_lT0_lPT3_i.has_dyn_sized_stack, 0
	.set _ZL36rocblas_hemvn_kernel_upper_block_sumILi64ElfPKPffEviT1_lS3_lT2_lT0_lPT3_i.has_recursion, 0
	.set _ZL36rocblas_hemvn_kernel_upper_block_sumILi64ElfPKPffEviT1_lS3_lT2_lT0_lPT3_i.has_indirect_call, 0
	.section	.AMDGPU.csdata,"",@progbits
; Kernel info:
; codeLenInByte = 748
; TotalNumSgprs: 28
; NumVgprs: 8
; ScratchSize: 0
; MemoryBound: 0
; FloatMode: 240
; IeeeMode: 1
; LDSByteSize: 0 bytes/workgroup (compile time only)
; SGPRBlocks: 0
; VGPRBlocks: 0
; NumSGPRsForWavesPerEU: 28
; NumVGPRsForWavesPerEU: 8
; Occupancy: 16
; WaveLimiterHint : 1
; COMPUTE_PGM_RSRC2:SCRATCH_EN: 0
; COMPUTE_PGM_RSRC2:USER_SGPR: 2
; COMPUTE_PGM_RSRC2:TRAP_HANDLER: 0
; COMPUTE_PGM_RSRC2:TGID_X_EN: 1
; COMPUTE_PGM_RSRC2:TGID_Y_EN: 0
; COMPUTE_PGM_RSRC2:TGID_Z_EN: 1
; COMPUTE_PGM_RSRC2:TIDIG_COMP_CNT: 0
	.section	.text._ZL26rocblas_hemvn_kernel_upperILb0ELi64ELi4ELi33ELi32ELi16EifPKPKfPfEviT6_lT7_lT5_lS6_lS7_lS5_lT8_i,"axG",@progbits,_ZL26rocblas_hemvn_kernel_upperILb0ELi64ELi4ELi33ELi32ELi16EifPKPKfPfEviT6_lT7_lT5_lS6_lS7_lS5_lT8_i,comdat
	.globl	_ZL26rocblas_hemvn_kernel_upperILb0ELi64ELi4ELi33ELi32ELi16EifPKPKfPfEviT6_lT7_lT5_lS6_lS7_lS5_lT8_i ; -- Begin function _ZL26rocblas_hemvn_kernel_upperILb0ELi64ELi4ELi33ELi32ELi16EifPKPKfPfEviT6_lT7_lT5_lS6_lS7_lS5_lT8_i
	.p2align	8
	.type	_ZL26rocblas_hemvn_kernel_upperILb0ELi64ELi4ELi33ELi32ELi16EifPKPKfPfEviT6_lT7_lT5_lS6_lS7_lS5_lT8_i,@function
_ZL26rocblas_hemvn_kernel_upperILb0ELi64ELi4ELi33ELi32ELi16EifPKPKfPfEviT6_lT7_lT5_lS6_lS7_lS5_lT8_i: ; @_ZL26rocblas_hemvn_kernel_upperILb0ELi64ELi4ELi33ELi32ELi16EifPKPKfPfEviT6_lT7_lT5_lS6_lS7_lS5_lT8_i
; %bb.0:
	s_clause 0x1
	s_load_b64 s[2:3], s[0:1], 0x7c
	s_load_b32 s33, s[0:1], 0x68
	s_lshr_b32 s28, ttmp7, 16
	s_wait_kmcnt 0x0
	s_lshr_b32 s4, s2, 16
	s_and_b32 s2, s2, 0xffff
	s_and_b32 s3, s3, 0xffff
	s_mul_i32 s2, s4, s2
	s_delay_alu instid0(SALU_CYCLE_1) | instskip(NEXT) | instid1(SALU_CYCLE_1)
	s_mul_i32 s2, s2, s3
	s_cmp_lg_u32 s2, 0x100
	s_cselect_b32 s2, -1, 0
	s_cmp_ge_u32 s28, s33
	s_cselect_b32 s3, -1, 0
	s_delay_alu instid0(SALU_CYCLE_1) | instskip(NEXT) | instid1(SALU_CYCLE_1)
	s_or_b32 s2, s2, s3
	s_and_b32 vcc_lo, exec_lo, s2
	s_cbranch_vccnz .LBB141_131
; %bb.1:
	s_clause 0x4
	s_load_b32 s18, s[0:1], 0x20
	s_load_b64 s[4:5], s[0:1], 0x0
	s_load_b128 s[20:23], s[0:1], 0x30
	s_load_b32 s48, s[0:1], 0x40
	s_load_b32 s3, s[0:1], 0x50
	s_add_nc_u64 s[8:9], s[0:1], 0x70
	s_clause 0x1
	s_load_b128 s[24:27], s[0:1], 0x10
	s_load_b64 s[6:7], s[0:1], 0x60
	s_load_b32 s30, s[8:9], 0x0
	v_dual_mov_b32 v41, 0 :: v_dual_and_b32 v16, 0x3ff, v0
	v_bfe_u32 v5, v0, 10, 10
	s_mov_b32 s29, 0
	s_mov_b32 s2, ttmp9
	s_mov_b32 s31, s29
	v_and_b32_e32 v1, 31, v0
	v_lshl_add_u32 v12, v5, 6, v16
	v_lshlrev_b32_e32 v48, 2, v5
	v_lshlrev_b32_e32 v42, 2, v16
	v_cmp_eq_u32_e64 s0, 0, v5
	v_lshlrev_b32_e32 v14, 2, v1
	s_wait_kmcnt 0x0
	s_ashr_i32 s19, s18, 31
	s_cmp_eq_f32 s5, 0
	v_lshrrev_b32_e32 v10, 5, v12
	v_mul_u32_u24_e32 v23, 33, v1
	v_lshl_or_b32 v44, v1, 7, v14
	s_cselect_b32 s92, -1, 0
	s_cmp_neq_f32 s5, 0
	v_add_nc_u32_e32 v11, 8, v10
	v_add_nc_u32_e32 v13, 16, v10
	;; [unrolled: 1-line block ×3, first 2 shown]
	s_cselect_b32 s1, -1, 0
	s_cmp_neq_f32 s3, 1.0
	v_mad_co_u64_u32 v[2:3], null, s18, v10, v[1:2]
	v_mul_u32_u24_e32 v15, 0x84, v10
	s_cselect_b32 s3, -1, 0
	s_ashr_i32 s5, s4, 31
	s_add_co_i32 s9, s30, -1
	s_lshr_b32 s8, s5, 26
	s_lshl_b32 s82, ttmp9, 6
	s_add_co_i32 s8, s4, s8
	s_or_b32 s93, s1, s3
	s_and_not1_b32 s8, s8, 63
	s_mul_u64 s[36:37], s[30:31], s[4:5]
	s_sub_co_i32 s94, s4, s8
	s_cmp_eq_u32 ttmp9, s9
	v_lshlrev_b32_e32 v18, 2, v10
	s_cselect_b32 s34, s94, 0
	v_lshlrev_b32_e32 v19, 4, v10
	s_cmp_lg_u32 s34, 0
	v_mul_u32_u24_e32 v26, 0x210, v10
	s_cselect_b32 s31, -1, 0
	s_cmp_eq_u32 s34, 0
	v_cmp_eq_u32_e64 s16, 1, v10
	s_cselect_b32 s8, -1, 0
	s_ashr_i32 s3, ttmp9, 31
	s_sub_co_i32 s15, s34, 32
	s_mul_u64 s[2:3], s[4:5], s[2:3]
	v_cmp_gt_i32_e64 s5, s34, v17
	s_lshl_b64 s[2:3], s[2:3], 2
	v_cmp_gt_i32_e64 s12, s15, v10
	s_add_nc_u64 s[38:39], s[6:7], s[2:3]
	v_sub_co_u32 v8, s2, 0, v1
	s_delay_alu instid0(VALU_DEP_1)
	v_sub_co_ci_u32_e64 v9, null, 0, 0, s2
	v_cmp_gt_i32_e64 s2, s34, v10
	v_cmp_gt_i32_e64 s3, s34, v11
	;; [unrolled: 1-line block ×5, first 2 shown]
	v_mul_i32_i24_e32 v28, -12, v10
	v_mad_co_u64_u32 v[10:11], null, s18, v48, v[16:17]
	v_lshrrev_b32_e32 v17, 2, v12
	v_ashrrev_i32_e32 v3, 31, v2
	v_cmp_gt_i32_e64 s4, s34, v13
	v_and_b32_e32 v13, 15, v0
	v_cmp_gt_u32_e64 s6, v18, v1
	v_and_b32_e32 v17, 0x1ffc, v17
	v_add_nc_u32_e32 v45, v44, v19
	v_or_b32_e32 v20, 1, v18
	v_or_b32_e32 v21, 2, v18
	;; [unrolled: 1-line block ×3, first 2 shown]
	v_cmp_ge_u32_e64 s7, v18, v1
	v_add_nc_u32_e32 v46, 0x11c0, v19
	v_lshl_add_u32 v47, v23, 2, v18
	v_or_b32_e32 v19, 32, v1
	v_and_b32_e32 v0, 48, v0
	v_mad_u32_u24 v51, 0x10c, v13, v17
	v_add_nc_u32_e32 v66, v44, v18
	v_add_nc_u32_e32 v67, 0x11c0, v18
	v_lshlrev_b64_e32 v[17:18], 2, v[2:3]
	v_cmp_gt_i32_e32 vcc_lo, s34, v16
	v_ashrrev_i32_e32 v11, 31, v10
	v_cmp_gt_i32_e64 s11, s34, v19
	v_lshlrev_b32_e32 v0, 2, v0
	v_or_b32_e32 v19, 60, v42
	s_or_b32 s95, s8, vcc_lo
	s_lshl_b32 s54, s18, 5
	v_sub_co_u32 v69, vcc_lo, 0, v17
	v_lshlrev_b64_e32 v[2:3], 2, v[10:11]
	v_cmp_gt_u32_e64 s10, 32, v12
	s_ashr_i32 s55, s54, 31
	v_and_b32_e32 v30, 0x7ff0, v12
	v_cmp_gt_u32_e64 s17, 64, v12
	v_sub_co_ci_u32_e64 v70, null, 0, v18, vcc_lo
	v_add_co_u32 v12, vcc_lo, s54, v10
	v_add_nc_u32_e32 v4, s82, v16
	s_mul_i32 s84, s18, s82
	s_lshl_b32 s40, s18, 3
	s_lshl_b32 s76, s18, 4
	s_mul_i32 s42, s18, 24
	s_mul_i32 s44, s48, s82
	v_mul_u32_u24_e32 v29, 0x10c, v13
	v_mad_u32_u24 v52, 0x10c, v13, v0
	v_mad_u32_u24 v53, 0x10c, v13, v19
	s_wait_alu 0xfffd
	v_add_co_ci_u32_e64 v13, null, s55, v11, vcc_lo
	s_add_co_i32 s49, ttmp9, 1
	s_ashr_i32 s83, s82, 31
	s_ashr_i32 s85, s84, 31
	;; [unrolled: 1-line block ×7, first 2 shown]
	s_cmp_lt_u32 s49, s30
	v_sub_co_u32 v71, vcc_lo, v2, v17
	v_mul_lo_u32 v6, s48, v4
	s_cselect_b32 s96, -1, 0
	s_lshl_b32 s98, s48, 6
	s_mul_i32 s48, s48, s49
	s_wait_alu 0xfffd
	v_sub_co_ci_u32_e64 v72, null, v3, v18, vcc_lo
	v_lshlrev_b64_e32 v[2:3], 2, v[12:13]
	s_wait_alu 0xfffe
	s_lshl_b32 s100, s48, 6
	s_lshl_b64 s[48:49], s[54:55], 2
	s_add_nc_u64 s[54:55], s[54:55], s[76:77]
	s_lshl_b32 s56, s18, 1
	s_mul_i32 s58, s18, 3
	s_lshl_b64 s[46:47], s[18:19], 5
	s_lshl_b64 s[80:81], s[18:19], 2
	;; [unrolled: 1-line block ×3, first 2 shown]
	s_mul_u64 s[68:69], s[18:19], 12
	s_wait_alu 0xfffe
	v_add_co_u32 v10, vcc_lo, s54, v10
	s_add_nc_u64 s[18:19], s[18:19], s[76:77]
	v_mul_u32_u24_e32 v27, 0x84, v20
	s_wait_alu 0xfffd
	v_add_co_ci_u32_e64 v11, null, s55, v11, vcc_lo
	s_wait_alu 0xfffe
	v_mad_co_u64_u32 v[19:20], null, s18, 12, v[2:3]
	v_add_co_u32 v73, vcc_lo, s68, v2
	s_delay_alu instid0(VALU_DEP_3)
	v_lshlrev_b64_e32 v[10:11], 2, v[10:11]
	s_wait_alu 0xfffd
	v_add_co_ci_u32_e64 v74, null, s69, v3, vcc_lo
	s_lshl_b64 s[74:75], s[76:77], 3
	v_mov_b32_e32 v0, v20
	v_cmp_gt_u32_e64 s8, v21, v1
	v_add_co_u32 v75, vcc_lo, s68, v10
	s_wait_alu 0xfffd
	v_add_co_ci_u32_e64 v76, null, s69, v11, vcc_lo
	v_mad_co_i64_i32 v[20:21], null, s76, 12, v[2:3]
	v_mad_co_u64_u32 v[10:11], null, s19, 12, v[0:1]
	s_add_nc_u64 s[68:69], s[68:69], s[74:75]
	s_mul_u64 s[78:79], s[76:77], 12
	s_wait_alu 0xfffe
	v_add_co_u32 v77, vcc_lo, s68, v2
	s_add_nc_u64 s[78:79], s[78:79], s[72:73]
	s_ashr_i32 s57, s56, 31
	s_wait_alu 0xfffd
	v_add_co_ci_u32_e64 v78, null, s69, v3, vcc_lo
	v_add_co_u32 v79, vcc_lo, s78, v2
	v_ashrrev_i32_e32 v7, 31, v6
	v_lshl_add_u32 v49, v5, 4, 0x10c0
	s_ashr_i32 s59, s58, 31
	s_lshl_b64 s[88:89], s[56:57], 2
	s_wait_alu 0xfffd
	v_add_co_ci_u32_e64 v80, null, s79, v3, vcc_lo
	v_add_co_u32 v81, vcc_lo, v20, s80
	v_mov_b32_e32 v83, v10
	v_mad_u32_u24 v50, 0x430, v5, v42
	v_mad_u32_u24 v65, 0x10c, v5, v42
	v_ashrrev_i32_e32 v5, 31, v4
	s_lshl_b64 s[90:91], s[58:59], 2
	s_wait_alu 0xfffd
	v_add_co_ci_u32_e64 v82, null, s81, v21, vcc_lo
	v_add_co_u32 v84, vcc_lo, v20, s88
	s_wait_alu 0xfffd
	v_add_co_ci_u32_e64 v85, null, s89, v21, vcc_lo
	v_add_co_u32 v86, vcc_lo, v20, s90
	v_cmp_gt_u32_e64 s9, v22, v1
	s_add_nc_u64 s[50:51], s[72:73], s[48:49]
	s_lshl_b64 s[58:59], s[76:77], 2
	v_lshlrev_b64_e32 v[22:23], 2, v[6:7]
	v_lshlrev_b64_e32 v[24:25], 2, v[8:9]
	v_add_nc_u32_e32 v89, v14, v26
	v_add_nc_u32_e32 v90, v14, v27
	v_lshlrev_b64_e32 v[26:27], 2, v[4:5]
	v_add_nc_u32_e32 v43, 0x11c0, v42
	v_cmp_gt_i32_e64 s1, s34, v1
	v_add_nc_u32_e32 v54, 17, v48
	v_add_nc_u32_e32 v55, 18, v48
	;; [unrolled: 1-line block ×12, first 2 shown]
	s_wait_alu 0xfffd
	v_add_co_ci_u32_e64 v87, null, s91, v21, vcc_lo
	v_add_nc_u32_e32 v88, v14, v15
	v_lshlrev_b32_e32 v91, 2, v1
	v_add_nc_u32_e32 v92, v45, v28
	v_add_nc_u32_e32 v93, v46, v28
	;; [unrolled: 1-line block ×3, first 2 shown]
	s_sub_nc_u64 s[86:87], 0, s[44:45]
	s_add_nc_u64 s[54:55], s[80:81], s[48:49]
	s_add_nc_u64 s[66:67], s[48:49], s[58:59]
	;; [unrolled: 1-line block ×4, first 2 shown]
	s_add_co_i32 s97, s30, -2
	s_and_b32 s99, s0, s95
	s_sub_nc_u64 s[44:45], 0, s[34:35]
	s_lshl_b64 s[52:53], s[76:77], 4
	s_add_nc_u64 s[56:57], s[48:49], s[88:89]
	s_add_nc_u64 s[60:61], s[48:49], s[90:91]
	;; [unrolled: 1-line block ×3, first 2 shown]
	s_wait_alu 0xfffe
	s_add_nc_u64 s[64:65], s[54:55], s[58:59]
	s_add_nc_u64 s[68:69], s[66:67], s[88:89]
	;; [unrolled: 1-line block ×6, first 2 shown]
	s_lshl_b64 s[22:23], s[22:23], 2
	s_lshl_b64 s[26:27], s[26:27], 2
	s_lshl_b64 s[82:83], s[82:83], 2
	s_lshl_b64 s[84:85], s[84:85], 2
	s_lshl_b64 s[86:87], s[86:87], 2
	s_branch .LBB141_4
.LBB141_2:                              ;   in Loop: Header=BB141_4 Depth=1
	s_wait_alu 0xfffe
	s_or_b32 exec_lo, exec_lo, s18
.LBB141_3:                              ;   in Loop: Header=BB141_4 Depth=1
	s_add_co_i32 s28, s28, 0x10000
	s_delay_alu instid0(SALU_CYCLE_1)
	s_cmp_lt_u32 s28, s33
	s_cbranch_scc0 .LBB141_131
.LBB141_4:                              ; =>This Loop Header: Depth=1
                                        ;     Child Loop BB141_71 Depth 2
	s_and_not1_b32 vcc_lo, exec_lo, s93
	s_wait_alu 0xfffe
	s_cbranch_vccnz .LBB141_3
; %bb.5:                                ;   in Loop: Header=BB141_4 Depth=1
	s_and_b32 vcc_lo, exec_lo, s92
	s_wait_alu 0xfffe
	s_cbranch_vccz .LBB141_7
; %bb.6:                                ;   in Loop: Header=BB141_4 Depth=1
	s_cbranch_execnz .LBB141_3
	s_branch .LBB141_8
.LBB141_7:                              ;   in Loop: Header=BB141_4 Depth=1
.LBB141_8:                              ;   in Loop: Header=BB141_4 Depth=1
	s_lshl_b64 s[18:19], s[28:29], 3
	s_wait_alu 0xfffe
	s_add_nc_u64 s[88:89], s[20:21], s[18:19]
	s_add_nc_u64 s[18:19], s[24:25], s[18:19]
	s_clause 0x1
	global_load_b64 v[2:3], v41, s[88:89]
	global_load_b64 v[0:1], v41, s[18:19]
	s_wait_loadcnt 0x1
	v_add_co_u32 v2, vcc_lo, v2, s22
	s_wait_alu 0xfffd
	v_add_co_ci_u32_e64 v3, null, s23, v3, vcc_lo
	s_delay_alu instid0(VALU_DEP_2) | instskip(SKIP_1) | instid1(VALU_DEP_2)
	v_add_co_u32 v4, vcc_lo, v2, v22
	s_wait_alu 0xfffd
	v_add_co_ci_u32_e64 v5, null, v3, v23, vcc_lo
	s_and_saveexec_b32 s18, s0
	s_cbranch_execz .LBB141_12
; %bb.9:                                ;   in Loop: Header=BB141_4 Depth=1
	v_mov_b32_e32 v2, 0
	s_and_saveexec_b32 s19, s95
	s_cbranch_execz .LBB141_11
; %bb.10:                               ;   in Loop: Header=BB141_4 Depth=1
	flat_load_b32 v2, v[4:5]
.LBB141_11:                             ;   in Loop: Header=BB141_4 Depth=1
	s_wait_alu 0xfffe
	s_or_b32 exec_lo, exec_lo, s19
	s_wait_loadcnt_dscnt 0x0
	ds_store_b32 v43, v2
.LBB141_12:                             ;   in Loop: Header=BB141_4 Depth=1
	s_wait_alu 0xfffe
	s_or_b32 exec_lo, exec_lo, s18
	s_wait_loadcnt 0x0
	v_add_co_u32 v0, vcc_lo, v0, s26
	s_wait_alu 0xfffd
	v_add_co_ci_u32_e64 v1, null, s27, v1, vcc_lo
	s_mov_b32 s18, -1
	v_add_co_u32 v0, vcc_lo, v0, s82
	s_wait_alu 0xfffd
	v_add_co_ci_u32_e64 v1, null, s83, v1, vcc_lo
                                        ; implicit-def: $vgpr2_vgpr3
	s_delay_alu instid0(VALU_DEP_2) | instskip(SKIP_1) | instid1(VALU_DEP_2)
	v_add_co_u32 v0, vcc_lo, v0, v17
	s_wait_alu 0xfffd
	v_add_co_ci_u32_e64 v1, null, v1, v18, vcc_lo
	s_delay_alu instid0(VALU_DEP_2) | instskip(SKIP_1) | instid1(VALU_DEP_2)
	v_add_co_u32 v0, vcc_lo, v0, s84
	s_wait_alu 0xfffd
	v_add_co_ci_u32_e64 v1, null, s85, v1, vcc_lo
	s_and_b32 vcc_lo, exec_lo, s31
	s_wait_alu 0xfffe
	s_cbranch_vccz .LBB141_22
; %bb.13:                               ;   in Loop: Header=BB141_4 Depth=1
	v_add_co_u32 v2, vcc_lo, v0, v24
	s_wait_alu 0xfffd
	v_add_co_ci_u32_e64 v3, null, v1, v25, vcc_lo
	s_lshl_b64 s[18:19], s[34:35], 2
	v_dual_mov_b32 v7, 0 :: v_dual_mov_b32 v6, 0
	s_wait_alu 0xfffe
	v_add_co_u32 v2, vcc_lo, v2, s18
	s_wait_alu 0xfffd
	v_add_co_ci_u32_e64 v3, null, s19, v3, vcc_lo
	s_delay_alu instid0(VALU_DEP_2) | instskip(SKIP_1) | instid1(VALU_DEP_2)
	v_add_co_u32 v2, vcc_lo, v2, -4
	s_wait_alu 0xfffd
	v_add_co_ci_u32_e64 v3, null, -1, v3, vcc_lo
	s_delay_alu instid0(VALU_DEP_2) | instskip(NEXT) | instid1(VALU_DEP_2)
	v_cndmask_b32_e64 v2, v2, v0, s1
	v_cndmask_b32_e64 v3, v3, v1, s1
	s_and_saveexec_b32 s18, s2
	s_cbranch_execz .LBB141_15
; %bb.14:                               ;   in Loop: Header=BB141_4 Depth=1
	flat_load_b32 v6, v[2:3]
.LBB141_15:                             ;   in Loop: Header=BB141_4 Depth=1
	s_wait_alu 0xfffe
	s_or_b32 exec_lo, exec_lo, s18
	s_wait_loadcnt_dscnt 0x0
	ds_store_b32 v88, v6
	s_and_saveexec_b32 s18, s3
	s_cbranch_execz .LBB141_17
; %bb.16:                               ;   in Loop: Header=BB141_4 Depth=1
	s_lshl_b64 s[88:89], s[40:41], 2
	s_wait_alu 0xfffe
	v_add_co_u32 v6, vcc_lo, v2, s88
	s_wait_alu 0xfffd
	v_add_co_ci_u32_e64 v7, null, s89, v3, vcc_lo
	flat_load_b32 v7, v[6:7]
.LBB141_17:                             ;   in Loop: Header=BB141_4 Depth=1
	s_wait_alu 0xfffe
	s_or_b32 exec_lo, exec_lo, s18
	v_mov_b32_e32 v6, 0
	v_mov_b32_e32 v8, 0
	s_wait_loadcnt_dscnt 0x0
	ds_store_b32 v88, v7 offset:1056
	s_and_saveexec_b32 s18, s4
	s_cbranch_execz .LBB141_19
; %bb.18:                               ;   in Loop: Header=BB141_4 Depth=1
	v_add_co_u32 v7, vcc_lo, v2, s58
	s_wait_alu 0xfffd
	v_add_co_ci_u32_e64 v8, null, s59, v3, vcc_lo
	flat_load_b32 v8, v[7:8]
.LBB141_19:                             ;   in Loop: Header=BB141_4 Depth=1
	s_wait_alu 0xfffe
	s_or_b32 exec_lo, exec_lo, s18
	s_wait_loadcnt_dscnt 0x0
	ds_store_b32 v88, v8 offset:2112
	s_and_saveexec_b32 s18, s5
	s_cbranch_execz .LBB141_21
; %bb.20:                               ;   in Loop: Header=BB141_4 Depth=1
	s_lshl_b64 s[88:89], s[42:43], 2
	s_wait_alu 0xfffe
	v_add_co_u32 v6, vcc_lo, v2, s88
	s_wait_alu 0xfffd
	v_add_co_ci_u32_e64 v7, null, s89, v3, vcc_lo
	flat_load_b32 v6, v[6:7]
.LBB141_21:                             ;   in Loop: Header=BB141_4 Depth=1
	s_wait_alu 0xfffe
	s_or_b32 exec_lo, exec_lo, s18
	v_add_co_u32 v2, vcc_lo, v2, v91
	s_wait_alu 0xfffd
	v_add_co_ci_u32_e64 v3, null, 0, v3, vcc_lo
	s_lshl_b64 s[18:19], s[44:45], 2
	s_wait_loadcnt_dscnt 0x0
	ds_store_b32 v88, v6 offset:3168
	s_wait_alu 0xfffe
	v_add_co_u32 v2, vcc_lo, v2, s18
	s_wait_alu 0xfffd
	v_add_co_ci_u32_e64 v3, null, s19, v3, vcc_lo
	s_mov_b32 s18, 0
	v_add_co_u32 v2, vcc_lo, v2, 4
	s_wait_alu 0xfffd
	v_add_co_ci_u32_e64 v3, null, 0, v3, vcc_lo
	s_delay_alu instid0(VALU_DEP_2) | instskip(NEXT) | instid1(VALU_DEP_2)
	v_cndmask_b32_e64 v2, v2, v0, s1
	v_cndmask_b32_e64 v3, v3, v1, s1
.LBB141_22:                             ;   in Loop: Header=BB141_4 Depth=1
	s_wait_alu 0xfffe
	s_and_b32 vcc_lo, exec_lo, s18
	s_wait_alu 0xfffe
	s_cbranch_vccz .LBB141_24
; %bb.23:                               ;   in Loop: Header=BB141_4 Depth=1
	s_lshl_b64 s[18:19], s[40:41], 2
	s_wait_alu 0xfffe
	v_add_co_u32 v2, vcc_lo, v0, s18
	s_wait_alu 0xfffd
	v_add_co_ci_u32_e64 v3, null, s19, v1, vcc_lo
	s_delay_alu instid0(VALU_DEP_2) | instskip(SKIP_1) | instid1(VALU_DEP_2)
	v_add_co_u32 v6, vcc_lo, v2, s46
	s_wait_alu 0xfffd
	v_add_co_ci_u32_e64 v7, null, s47, v3, vcc_lo
	s_delay_alu instid0(VALU_DEP_2) | instskip(SKIP_1) | instid1(VALU_DEP_2)
	v_add_co_u32 v8, vcc_lo, v6, s46
	s_wait_alu 0xfffd
	v_add_co_ci_u32_e64 v9, null, s47, v7, vcc_lo
	s_clause 0x3
	flat_load_b32 v10, v[0:1]
	flat_load_b32 v11, v[2:3]
	;; [unrolled: 1-line block ×4, first 2 shown]
	v_dual_mov_b32 v3, v1 :: v_dual_mov_b32 v2, v0
	s_wait_loadcnt_dscnt 0x303
	ds_store_b32 v88, v10
	s_wait_loadcnt_dscnt 0x203
	ds_store_b32 v88, v11 offset:1056
	s_wait_loadcnt_dscnt 0x103
	ds_store_b32 v88, v6 offset:2112
	;; [unrolled: 2-line block ×3, first 2 shown]
.LBB141_24:                             ;   in Loop: Header=BB141_4 Depth=1
	s_wait_dscnt 0x0
	s_barrier_signal -1
	s_barrier_wait -1
	global_inv scope:SCOPE_SE
	s_and_saveexec_b32 s18, s6
	s_cbranch_execnz .LBB141_125
; %bb.25:                               ;   in Loop: Header=BB141_4 Depth=1
	s_wait_alu 0xfffe
	s_or_b32 exec_lo, exec_lo, s18
	s_and_saveexec_b32 s18, s7
	s_cbranch_execnz .LBB141_126
.LBB141_26:                             ;   in Loop: Header=BB141_4 Depth=1
	s_wait_alu 0xfffe
	s_or_b32 exec_lo, exec_lo, s18
	s_and_saveexec_b32 s18, s8
	s_cbranch_execnz .LBB141_127
.LBB141_27:                             ;   in Loop: Header=BB141_4 Depth=1
	s_wait_alu 0xfffe
	s_or_b32 exec_lo, exec_lo, s18
	s_and_saveexec_b32 s18, s9
	s_cbranch_execz .LBB141_29
.LBB141_28:                             ;   in Loop: Header=BB141_4 Depth=1
	ds_load_b32 v0, v90 offset:264
	s_wait_dscnt 0x0
	ds_store_b32 v45, v0 offset:12
.LBB141_29:                             ;   in Loop: Header=BB141_4 Depth=1
	s_wait_alu 0xfffe
	s_or_b32 exec_lo, exec_lo, s18
	s_wait_loadcnt_dscnt 0x0
	s_barrier_signal -1
	s_barrier_wait -1
	global_inv scope:SCOPE_SE
	ds_load_b32 v10, v89
	ds_load_b32 v11, v90 offset:264
	ds_load_b128 v[6:9], v46
	ds_load_2addr_b32 v[0:1], v90 offset1:33
	s_wait_loadcnt_dscnt 0x0
	s_barrier_signal -1
	s_barrier_wait -1
	global_inv scope:SCOPE_SE
	v_mov_b32_e32 v95, 0
	v_fma_f32 v6, v10, v6, 0
	s_delay_alu instid0(VALU_DEP_1) | instskip(NEXT) | instid1(VALU_DEP_1)
	v_fmac_f32_e32 v6, v0, v7
	v_fmac_f32_e32 v6, v1, v8
	s_delay_alu instid0(VALU_DEP_1)
	v_fmac_f32_e32 v6, v11, v9
	ds_store_b32 v47, v6
	s_wait_loadcnt_dscnt 0x0
	s_barrier_signal -1
	s_barrier_wait -1
	global_inv scope:SCOPE_SE
	s_and_saveexec_b32 s18, s10
	s_cbranch_execz .LBB141_31
; %bb.30:                               ;   in Loop: Header=BB141_4 Depth=1
	ds_load_2addr_b32 v[0:1], v44 offset1:1
	ds_load_2addr_b32 v[6:7], v44 offset0:2 offset1:3
	ds_load_2addr_b32 v[8:9], v44 offset0:4 offset1:5
	;; [unrolled: 1-line block ×3, first 2 shown]
	s_wait_dscnt 0x3
	v_add_f32_e32 v0, v0, v1
	s_wait_dscnt 0x2
	s_delay_alu instid0(VALU_DEP_1) | instskip(NEXT) | instid1(VALU_DEP_1)
	v_add_f32_e32 v0, v0, v6
	v_add_f32_e32 v0, v0, v7
	s_wait_dscnt 0x1
	s_delay_alu instid0(VALU_DEP_1) | instskip(NEXT) | instid1(VALU_DEP_1)
	v_add_f32_e32 v0, v0, v8
	;; [unrolled: 4-line block ×3, first 2 shown]
	v_add_f32_e32 v95, v0, v11
.LBB141_31:                             ;   in Loop: Header=BB141_4 Depth=1
	s_wait_alu 0xfffe
	s_or_b32 exec_lo, exec_lo, s18
	v_add_co_u32 v6, vcc_lo, v2, s48
	s_wait_alu 0xfffd
	v_add_co_ci_u32_e64 v7, null, s49, v3, vcc_lo
	s_mov_b32 s18, -1
	v_add_co_u32 v2, vcc_lo, 0x80, v6
	s_wait_alu 0xfffd
	v_add_co_ci_u32_e64 v3, null, 0, v7, vcc_lo
	s_and_b32 vcc_lo, exec_lo, s31
	s_wait_loadcnt 0x0
	s_barrier_signal -1
	s_barrier_wait -1
	global_inv scope:SCOPE_SE
                                        ; implicit-def: $vgpr0_vgpr1
	s_wait_alu 0xfffe
	s_cbranch_vccz .LBB141_41
; %bb.32:                               ;   in Loop: Header=BB141_4 Depth=1
	v_add_co_u32 v0, vcc_lo, v6, v24
	s_wait_alu 0xfffd
	v_add_co_ci_u32_e64 v1, null, v7, v25, vcc_lo
	s_lshl_b64 s[18:19], s[34:35], 2
	v_dual_mov_b32 v9, 0 :: v_dual_mov_b32 v8, 0
	s_wait_alu 0xfffe
	v_add_co_u32 v0, vcc_lo, v0, s18
	s_wait_alu 0xfffd
	v_add_co_ci_u32_e64 v1, null, s19, v1, vcc_lo
	s_delay_alu instid0(VALU_DEP_2) | instskip(SKIP_1) | instid1(VALU_DEP_2)
	v_add_co_u32 v0, vcc_lo, v0, -4
	s_wait_alu 0xfffd
	v_add_co_ci_u32_e64 v1, null, -1, v1, vcc_lo
	s_delay_alu instid0(VALU_DEP_2) | instskip(NEXT) | instid1(VALU_DEP_2)
	v_cndmask_b32_e64 v0, v0, v2, s11
	v_cndmask_b32_e64 v1, v1, v3, s11
	s_and_saveexec_b32 s18, s12
	s_cbranch_execz .LBB141_34
; %bb.33:                               ;   in Loop: Header=BB141_4 Depth=1
	flat_load_b32 v8, v[0:1]
.LBB141_34:                             ;   in Loop: Header=BB141_4 Depth=1
	s_wait_alu 0xfffe
	s_or_b32 exec_lo, exec_lo, s18
	s_wait_loadcnt_dscnt 0x0
	ds_store_b32 v88, v8
	s_and_saveexec_b32 s18, s13
	s_cbranch_execz .LBB141_36
; %bb.35:                               ;   in Loop: Header=BB141_4 Depth=1
	s_lshl_b64 s[88:89], s[40:41], 2
	s_wait_alu 0xfffe
	v_add_co_u32 v8, vcc_lo, v0, s88
	s_wait_alu 0xfffd
	v_add_co_ci_u32_e64 v9, null, s89, v1, vcc_lo
	flat_load_b32 v9, v[8:9]
.LBB141_36:                             ;   in Loop: Header=BB141_4 Depth=1
	s_wait_alu 0xfffe
	s_or_b32 exec_lo, exec_lo, s18
	v_mov_b32_e32 v8, 0
	v_mov_b32_e32 v10, 0
	s_wait_loadcnt_dscnt 0x0
	ds_store_b32 v88, v9 offset:1056
	s_and_saveexec_b32 s18, s14
	s_cbranch_execz .LBB141_38
; %bb.37:                               ;   in Loop: Header=BB141_4 Depth=1
	v_add_co_u32 v9, vcc_lo, v0, s58
	s_wait_alu 0xfffd
	v_add_co_ci_u32_e64 v10, null, s59, v1, vcc_lo
	flat_load_b32 v10, v[9:10]
.LBB141_38:                             ;   in Loop: Header=BB141_4 Depth=1
	s_wait_alu 0xfffe
	s_or_b32 exec_lo, exec_lo, s18
	s_wait_loadcnt_dscnt 0x0
	ds_store_b32 v88, v10 offset:2112
	s_and_saveexec_b32 s18, s15
	s_cbranch_execz .LBB141_40
; %bb.39:                               ;   in Loop: Header=BB141_4 Depth=1
	s_lshl_b64 s[88:89], s[42:43], 2
	s_wait_alu 0xfffe
	v_add_co_u32 v8, vcc_lo, v0, s88
	s_wait_alu 0xfffd
	v_add_co_ci_u32_e64 v9, null, s89, v1, vcc_lo
	flat_load_b32 v8, v[8:9]
.LBB141_40:                             ;   in Loop: Header=BB141_4 Depth=1
	s_wait_alu 0xfffe
	s_or_b32 exec_lo, exec_lo, s18
	v_add_co_u32 v0, vcc_lo, v0, v91
	s_wait_alu 0xfffd
	v_add_co_ci_u32_e64 v1, null, 0, v1, vcc_lo
	s_lshl_b64 s[18:19], s[44:45], 2
	s_wait_loadcnt_dscnt 0x0
	ds_store_b32 v88, v8 offset:3168
	s_wait_alu 0xfffe
	v_add_co_u32 v0, vcc_lo, v0, s18
	s_wait_alu 0xfffd
	v_add_co_ci_u32_e64 v1, null, s19, v1, vcc_lo
	s_mov_b32 s18, 0
	v_add_co_u32 v0, vcc_lo, 0x84, v0
	s_wait_alu 0xfffd
	v_add_co_ci_u32_e64 v1, null, 0, v1, vcc_lo
	s_delay_alu instid0(VALU_DEP_2) | instskip(NEXT) | instid1(VALU_DEP_2)
	v_cndmask_b32_e64 v0, v0, v2, s11
	v_cndmask_b32_e64 v1, v1, v3, s11
.LBB141_41:                             ;   in Loop: Header=BB141_4 Depth=1
	s_wait_alu 0xfffe
	s_and_b32 vcc_lo, exec_lo, s18
	s_wait_alu 0xfffe
	s_cbranch_vccz .LBB141_43
; %bb.42:                               ;   in Loop: Header=BB141_4 Depth=1
	s_lshl_b64 s[18:19], s[40:41], 2
	s_wait_alu 0xfffe
	v_add_co_u32 v0, vcc_lo, v6, s18
	s_wait_alu 0xfffd
	v_add_co_ci_u32_e64 v1, null, s19, v7, vcc_lo
	s_delay_alu instid0(VALU_DEP_2) | instskip(SKIP_1) | instid1(VALU_DEP_2)
	v_add_co_u32 v8, vcc_lo, v0, s46
	s_wait_alu 0xfffd
	v_add_co_ci_u32_e64 v9, null, s47, v1, vcc_lo
	s_delay_alu instid0(VALU_DEP_2) | instskip(SKIP_1) | instid1(VALU_DEP_2)
	v_add_co_u32 v10, vcc_lo, v8, s46
	s_wait_alu 0xfffd
	v_add_co_ci_u32_e64 v11, null, s47, v9, vcc_lo
	s_clause 0x3
	flat_load_b32 v6, v[6:7] offset:128
	flat_load_b32 v7, v[0:1] offset:128
	;; [unrolled: 1-line block ×4, first 2 shown]
	v_dual_mov_b32 v0, v2 :: v_dual_mov_b32 v1, v3
	s_wait_loadcnt_dscnt 0x303
	ds_store_b32 v88, v6
	s_wait_loadcnt_dscnt 0x203
	ds_store_b32 v88, v7 offset:1056
	s_wait_loadcnt_dscnt 0x103
	ds_store_b32 v88, v8 offset:2112
	;; [unrolled: 2-line block ×3, first 2 shown]
.LBB141_43:                             ;   in Loop: Header=BB141_4 Depth=1
	s_wait_loadcnt_dscnt 0x0
	s_barrier_signal -1
	s_barrier_wait -1
	global_inv scope:SCOPE_SE
	s_and_saveexec_b32 s18, s6
	s_cbranch_execnz .LBB141_128
; %bb.44:                               ;   in Loop: Header=BB141_4 Depth=1
	s_wait_alu 0xfffe
	s_or_b32 exec_lo, exec_lo, s18
	s_and_saveexec_b32 s18, s7
	s_cbranch_execnz .LBB141_129
.LBB141_45:                             ;   in Loop: Header=BB141_4 Depth=1
	s_wait_alu 0xfffe
	s_or_b32 exec_lo, exec_lo, s18
	s_and_saveexec_b32 s18, s8
	s_cbranch_execnz .LBB141_130
.LBB141_46:                             ;   in Loop: Header=BB141_4 Depth=1
	s_wait_alu 0xfffe
	s_or_b32 exec_lo, exec_lo, s18
	s_and_saveexec_b32 s18, s9
	s_cbranch_execz .LBB141_48
.LBB141_47:                             ;   in Loop: Header=BB141_4 Depth=1
	ds_load_b32 v2, v90 offset:264
	s_wait_dscnt 0x0
	ds_store_b32 v45, v2 offset:12
.LBB141_48:                             ;   in Loop: Header=BB141_4 Depth=1
	s_wait_alu 0xfffe
	s_or_b32 exec_lo, exec_lo, s18
	s_wait_loadcnt_dscnt 0x0
	s_barrier_signal -1
	s_barrier_wait -1
	global_inv scope:SCOPE_SE
	ds_load_b32 v10, v89
	ds_load_b32 v11, v90 offset:264
	ds_load_b128 v[6:9], v46 offset:128
	ds_load_2addr_b32 v[2:3], v90 offset1:33
	s_wait_loadcnt_dscnt 0x0
	s_barrier_signal -1
	s_barrier_wait -1
	global_inv scope:SCOPE_SE
	v_fma_f32 v6, v10, v6, 0
	s_delay_alu instid0(VALU_DEP_1) | instskip(NEXT) | instid1(VALU_DEP_1)
	v_fmac_f32_e32 v6, v2, v7
	v_fmac_f32_e32 v6, v3, v8
	s_delay_alu instid0(VALU_DEP_1)
	v_fmac_f32_e32 v6, v11, v9
	ds_store_b32 v47, v6
	s_wait_loadcnt_dscnt 0x0
	s_barrier_signal -1
	s_barrier_wait -1
	global_inv scope:SCOPE_SE
	s_and_saveexec_b32 s18, s16
	s_cbranch_execz .LBB141_50
; %bb.49:                               ;   in Loop: Header=BB141_4 Depth=1
	ds_load_2addr_b32 v[2:3], v44 offset1:1
	ds_load_2addr_b32 v[6:7], v44 offset0:2 offset1:3
	ds_load_2addr_b32 v[8:9], v44 offset0:4 offset1:5
	;; [unrolled: 1-line block ×3, first 2 shown]
	s_wait_dscnt 0x3
	v_add_f32_e32 v2, v2, v3
	s_wait_dscnt 0x2
	s_delay_alu instid0(VALU_DEP_1) | instskip(NEXT) | instid1(VALU_DEP_1)
	v_add_f32_e32 v2, v2, v6
	v_add_f32_e32 v2, v2, v7
	s_wait_dscnt 0x1
	s_delay_alu instid0(VALU_DEP_1) | instskip(NEXT) | instid1(VALU_DEP_1)
	v_add_f32_e32 v2, v2, v8
	;; [unrolled: 4-line block ×3, first 2 shown]
	v_add_f32_e32 v95, v2, v11
.LBB141_50:                             ;   in Loop: Header=BB141_4 Depth=1
	s_wait_alu 0xfffe
	s_or_b32 exec_lo, exec_lo, s18
	v_add_co_u32 v2, vcc_lo, 0xffffff80, v0
	s_wait_alu 0xfffd
	v_add_co_ci_u32_e64 v3, null, -1, v1, vcc_lo
	s_and_b32 vcc_lo, exec_lo, s31
	s_mov_b32 s18, -1
	s_wait_loadcnt 0x0
	s_barrier_signal -1
	s_barrier_wait -1
	global_inv scope:SCOPE_SE
                                        ; implicit-def: $vgpr6_vgpr7
	s_wait_alu 0xfffe
	s_cbranch_vccz .LBB141_60
; %bb.51:                               ;   in Loop: Header=BB141_4 Depth=1
	v_add_co_u32 v6, vcc_lo, v0, v24
	s_wait_alu 0xfffd
	v_add_co_ci_u32_e64 v7, null, v1, v25, vcc_lo
	s_lshl_b64 s[18:19], s[34:35], 2
	v_dual_mov_b32 v9, 0 :: v_dual_mov_b32 v8, 0
	s_wait_alu 0xfffe
	v_add_co_u32 v6, vcc_lo, v6, s18
	s_wait_alu 0xfffd
	v_add_co_ci_u32_e64 v7, null, s19, v7, vcc_lo
	s_delay_alu instid0(VALU_DEP_2) | instskip(SKIP_1) | instid1(VALU_DEP_2)
	v_add_co_u32 v6, vcc_lo, 0xffffff7c, v6
	s_wait_alu 0xfffd
	v_add_co_ci_u32_e64 v7, null, -1, v7, vcc_lo
	s_delay_alu instid0(VALU_DEP_2) | instskip(NEXT) | instid1(VALU_DEP_2)
	v_cndmask_b32_e64 v6, v6, v2, s1
	v_cndmask_b32_e64 v7, v7, v3, s1
	s_and_saveexec_b32 s18, s12
	s_cbranch_execz .LBB141_53
; %bb.52:                               ;   in Loop: Header=BB141_4 Depth=1
	flat_load_b32 v8, v[6:7]
.LBB141_53:                             ;   in Loop: Header=BB141_4 Depth=1
	s_wait_alu 0xfffe
	s_or_b32 exec_lo, exec_lo, s18
	s_wait_loadcnt_dscnt 0x0
	ds_store_b32 v88, v8
	s_and_saveexec_b32 s18, s13
	s_cbranch_execz .LBB141_55
; %bb.54:                               ;   in Loop: Header=BB141_4 Depth=1
	s_lshl_b64 s[88:89], s[40:41], 2
	s_wait_alu 0xfffe
	v_add_co_u32 v8, vcc_lo, v6, s88
	s_wait_alu 0xfffd
	v_add_co_ci_u32_e64 v9, null, s89, v7, vcc_lo
	flat_load_b32 v9, v[8:9]
.LBB141_55:                             ;   in Loop: Header=BB141_4 Depth=1
	s_wait_alu 0xfffe
	s_or_b32 exec_lo, exec_lo, s18
	v_mov_b32_e32 v8, 0
	v_mov_b32_e32 v10, 0
	s_wait_loadcnt_dscnt 0x0
	ds_store_b32 v88, v9 offset:1056
	s_and_saveexec_b32 s18, s14
	s_cbranch_execz .LBB141_57
; %bb.56:                               ;   in Loop: Header=BB141_4 Depth=1
	v_add_co_u32 v9, vcc_lo, v6, s58
	s_wait_alu 0xfffd
	v_add_co_ci_u32_e64 v10, null, s59, v7, vcc_lo
	flat_load_b32 v10, v[9:10]
.LBB141_57:                             ;   in Loop: Header=BB141_4 Depth=1
	s_wait_alu 0xfffe
	s_or_b32 exec_lo, exec_lo, s18
	s_wait_loadcnt_dscnt 0x0
	ds_store_b32 v88, v10 offset:2112
	s_and_saveexec_b32 s18, s15
	s_cbranch_execz .LBB141_59
; %bb.58:                               ;   in Loop: Header=BB141_4 Depth=1
	s_lshl_b64 s[88:89], s[42:43], 2
	s_wait_alu 0xfffe
	v_add_co_u32 v8, vcc_lo, v6, s88
	s_wait_alu 0xfffd
	v_add_co_ci_u32_e64 v9, null, s89, v7, vcc_lo
	flat_load_b32 v8, v[8:9]
.LBB141_59:                             ;   in Loop: Header=BB141_4 Depth=1
	s_wait_alu 0xfffe
	s_or_b32 exec_lo, exec_lo, s18
	v_add_co_u32 v6, vcc_lo, v6, v91
	s_wait_alu 0xfffd
	v_add_co_ci_u32_e64 v7, null, 0, v7, vcc_lo
	s_lshl_b64 s[18:19], s[44:45], 2
	s_wait_loadcnt_dscnt 0x0
	ds_store_b32 v88, v8 offset:3168
	s_wait_alu 0xfffe
	v_add_co_u32 v6, vcc_lo, v6, s18
	s_wait_alu 0xfffd
	v_add_co_ci_u32_e64 v7, null, s19, v7, vcc_lo
	s_mov_b32 s18, 0
	v_add_co_u32 v6, vcc_lo, v6, 4
	s_wait_alu 0xfffd
	v_add_co_ci_u32_e64 v7, null, 0, v7, vcc_lo
	s_delay_alu instid0(VALU_DEP_2) | instskip(NEXT) | instid1(VALU_DEP_2)
	v_cndmask_b32_e64 v6, v6, v2, s1
	v_cndmask_b32_e64 v7, v7, v3, s1
.LBB141_60:                             ;   in Loop: Header=BB141_4 Depth=1
	s_wait_alu 0xfffe
	s_and_b32 vcc_lo, exec_lo, s18
	s_wait_alu 0xfffe
	s_cbranch_vccz .LBB141_62
; %bb.61:                               ;   in Loop: Header=BB141_4 Depth=1
	s_lshl_b64 s[18:19], s[40:41], 2
	s_wait_alu 0xfffe
	v_add_co_u32 v6, vcc_lo, v0, s18
	s_wait_alu 0xfffd
	v_add_co_ci_u32_e64 v7, null, s19, v1, vcc_lo
	s_delay_alu instid0(VALU_DEP_2) | instskip(SKIP_1) | instid1(VALU_DEP_2)
	v_add_co_u32 v8, vcc_lo, v6, s46
	s_wait_alu 0xfffd
	v_add_co_ci_u32_e64 v9, null, s47, v7, vcc_lo
	s_delay_alu instid0(VALU_DEP_2) | instskip(SKIP_1) | instid1(VALU_DEP_2)
	v_add_co_u32 v10, vcc_lo, v8, s46
	s_wait_alu 0xfffd
	v_add_co_ci_u32_e64 v11, null, s47, v9, vcc_lo
	s_clause 0x3
	flat_load_b32 v0, v[0:1] offset:-128
	flat_load_b32 v1, v[6:7] offset:-128
	;; [unrolled: 1-line block ×4, first 2 shown]
	v_dual_mov_b32 v7, v3 :: v_dual_mov_b32 v6, v2
	s_wait_loadcnt_dscnt 0x303
	ds_store_b32 v88, v0
	s_wait_loadcnt_dscnt 0x203
	ds_store_b32 v88, v1 offset:1056
	s_wait_loadcnt_dscnt 0x103
	ds_store_b32 v88, v8 offset:2112
	;; [unrolled: 2-line block ×3, first 2 shown]
.LBB141_62:                             ;   in Loop: Header=BB141_4 Depth=1
	s_wait_loadcnt_dscnt 0x0
	s_barrier_signal -1
	s_barrier_wait -1
	global_inv scope:SCOPE_SE
	ds_load_b32 v0, v92
	ds_load_b32 v1, v93
	ds_load_2addr_b32 v[12:13], v66 offset0:8 offset1:16
	ds_load_2addr_b32 v[14:15], v67 offset0:8 offset1:16
	ds_load_b32 v28, v66 offset:96
	ds_load_b32 v29, v67 offset:96
	;; [unrolled: 1-line block ×3, first 2 shown]
	s_wait_dscnt 0x5
	v_fma_f32 v30, v0, v1, 0
	ds_load_b32 v11, v89
	ds_load_b128 v[0:3], v46 offset:128
	ds_load_2addr_b32 v[8:9], v90 offset1:33
	s_wait_loadcnt_dscnt 0x0
	s_barrier_signal -1
	s_barrier_wait -1
	v_fmac_f32_e32 v30, v12, v14
	global_inv scope:SCOPE_SE
	v_fmac_f32_e32 v30, v13, v15
	s_delay_alu instid0(VALU_DEP_1)
	v_fmac_f32_e32 v30, v28, v29
	ds_store_b32 v47, v30
	s_wait_loadcnt_dscnt 0x0
	s_barrier_signal -1
	s_barrier_wait -1
	global_inv scope:SCOPE_SE
	s_and_saveexec_b32 s18, s16
	s_cbranch_execz .LBB141_64
; %bb.63:                               ;   in Loop: Header=BB141_4 Depth=1
	ds_load_2addr_b32 v[12:13], v44 offset1:1
	ds_load_2addr_b32 v[14:15], v44 offset0:2 offset1:3
	ds_load_2addr_b32 v[28:29], v44 offset0:4 offset1:5
	;; [unrolled: 1-line block ×3, first 2 shown]
	s_wait_dscnt 0x3
	v_add_f32_e32 v12, v95, v12
	s_delay_alu instid0(VALU_DEP_1) | instskip(SKIP_1) | instid1(VALU_DEP_1)
	v_add_f32_e32 v12, v12, v13
	s_wait_dscnt 0x2
	v_add_f32_e32 v12, v12, v14
	s_delay_alu instid0(VALU_DEP_1) | instskip(SKIP_1) | instid1(VALU_DEP_1)
	v_add_f32_e32 v12, v12, v15
	;; [unrolled: 4-line block ×3, first 2 shown]
	s_wait_dscnt 0x0
	v_add_f32_e32 v12, v12, v30
	s_delay_alu instid0(VALU_DEP_1)
	v_add_f32_e32 v95, v12, v31
.LBB141_64:                             ;   in Loop: Header=BB141_4 Depth=1
	s_wait_alu 0xfffe
	s_or_b32 exec_lo, exec_lo, s18
	v_fma_f32 v0, v11, v0, 0
	s_wait_loadcnt 0x0
	s_barrier_signal -1
	s_barrier_wait -1
	global_inv scope:SCOPE_SE
	v_fmac_f32_e32 v0, v8, v1
	s_delay_alu instid0(VALU_DEP_1) | instskip(NEXT) | instid1(VALU_DEP_1)
	v_fmac_f32_e32 v0, v9, v2
	v_fmac_f32_e32 v0, v10, v3
	ds_store_b32 v47, v0
	s_wait_loadcnt_dscnt 0x0
	s_barrier_signal -1
	s_barrier_wait -1
	global_inv scope:SCOPE_SE
	s_and_saveexec_b32 s18, s10
	s_cbranch_execz .LBB141_66
; %bb.65:                               ;   in Loop: Header=BB141_4 Depth=1
	ds_load_2addr_b32 v[0:1], v44 offset1:1
	ds_load_2addr_b32 v[2:3], v44 offset0:2 offset1:3
	ds_load_2addr_b32 v[8:9], v44 offset0:4 offset1:5
	;; [unrolled: 1-line block ×3, first 2 shown]
	s_wait_dscnt 0x3
	v_add_f32_e32 v0, v95, v0
	s_delay_alu instid0(VALU_DEP_1) | instskip(SKIP_1) | instid1(VALU_DEP_1)
	v_add_f32_e32 v0, v0, v1
	s_wait_dscnt 0x2
	v_add_f32_e32 v0, v0, v2
	s_delay_alu instid0(VALU_DEP_1) | instskip(SKIP_1) | instid1(VALU_DEP_1)
	v_add_f32_e32 v0, v0, v3
	s_wait_dscnt 0x1
	v_add_f32_e32 v0, v0, v8
	s_delay_alu instid0(VALU_DEP_1) | instskip(SKIP_1) | instid1(VALU_DEP_1)
	v_add_f32_e32 v0, v0, v9
	s_wait_dscnt 0x0
	v_add_f32_e32 v0, v0, v10
	s_delay_alu instid0(VALU_DEP_1)
	v_add_f32_e32 v95, v0, v11
.LBB141_66:                             ;   in Loop: Header=BB141_4 Depth=1
	s_wait_alu 0xfffe
	s_or_b32 exec_lo, exec_lo, s18
	s_mul_u64 s[18:19], s[36:37], s[28:29]
	s_and_not1_b32 vcc_lo, exec_lo, s96
	s_wait_alu 0xfffe
	s_lshl_b64 s[18:19], s[18:19], 2
	s_wait_loadcnt 0x0
	s_wait_alu 0xfffe
	s_add_nc_u64 s[88:89], s[38:39], s[18:19]
	s_barrier_signal -1
	s_barrier_wait -1
	global_inv scope:SCOPE_SE
	s_cbranch_vccnz .LBB141_123
; %bb.67:                               ;   in Loop: Header=BB141_4 Depth=1
	v_add_co_u32 v96, vcc_lo, v4, s86
	s_wait_alu 0xfffd
	v_add_co_ci_u32_e64 v97, null, s87, v5, vcc_lo
	v_add_co_u32 v98, vcc_lo, v6, s48
	s_wait_alu 0xfffd
	v_add_co_ci_u32_e64 v99, null, s49, v7, vcc_lo
	;; [unrolled: 3-line block ×25, first 2 shown]
	v_mov_b32_e32 v28, v68
	s_mov_b32 s19, ttmp9
	s_mov_b32 s90, s100
	s_wait_alu 0xfffe
	s_cmp_eq_u32 s97, s19
	s_cselect_b32 s101, s94, 0
	s_and_saveexec_b32 s18, s0
	s_cbranch_execz .LBB141_71
.LBB141_68:                             ;   in Loop: Header=BB141_4 Depth=1
	s_wait_alu 0xfffe
	v_cmp_gt_i32_e32 vcc_lo, s101, v16
	s_cmp_eq_u32 s101, 0
	v_mov_b32_e32 v0, 0
	s_cselect_b32 s91, -1, 0
	s_wait_alu 0xfffe
	s_or_b32 s91, s91, vcc_lo
	s_wait_alu 0xfffe
	s_and_saveexec_b32 s102, s91
	s_cbranch_execz .LBB141_70
; %bb.69:                               ;   in Loop: Header=BB141_4 Depth=1
	s_ashr_i32 s91, s90, 31
	s_wait_alu 0xfffe
	s_lshl_b64 vcc, s[90:91], 2
	s_wait_alu 0xfffe
	v_add_co_u32 v0, vcc_lo, v96, vcc_lo
	s_wait_alu 0xfffd
	v_add_co_ci_u32_e64 v1, null, vcc_hi, v97, vcc_lo
	flat_load_b32 v0, v[0:1]
.LBB141_70:                             ;   in Loop: Header=BB141_4 Depth=1
	s_or_b32 exec_lo, exec_lo, s102
	v_add_nc_u32_e32 v1, 0x10c0, v42
	s_wait_loadcnt_dscnt 0x0
	ds_store_b32 v1, v0
.LBB141_71:                             ;   Parent Loop BB141_4 Depth=1
                                        ; =>  This Inner Loop Header: Depth=2
	s_wait_alu 0xfffe
	s_or_b32 exec_lo, exec_lo, s18
	s_cmp_eq_u32 s101, 0
	v_add_co_u32 v0, vcc_lo, v98, v71
	s_cselect_b32 s91, -1, 0
	s_cmp_lg_u32 s101, 0
	s_wait_alu 0xfffd
	v_add_co_ci_u32_e64 v1, null, v99, v72, vcc_lo
	s_cselect_b32 s18, -1, 0
	s_mov_b32 s102, -1
	s_wait_alu 0xfffe
	s_and_b32 vcc_lo, exec_lo, s18
	s_wait_loadcnt_dscnt 0x0
	s_barrier_signal -1
	s_barrier_wait -1
	global_inv scope:SCOPE_SE
                                        ; implicit-def: $vgpr147
                                        ; implicit-def: $vgpr148
                                        ; implicit-def: $vgpr146
                                        ; implicit-def: $vgpr149
	s_wait_alu 0xfffe
	s_cbranch_vccz .LBB141_81
; %bb.72:                               ;   in Loop: Header=BB141_71 Depth=2
	v_dual_mov_b32 v146, 0 :: v_dual_mov_b32 v149, 0
	s_mov_b32 s102, exec_lo
	v_cmpx_gt_i32_e64 s101, v48
	s_cbranch_execz .LBB141_74
; %bb.73:                               ;   in Loop: Header=BB141_71 Depth=2
	flat_load_b32 v149, v[0:1]
.LBB141_74:                             ;   in Loop: Header=BB141_71 Depth=2
	s_or_b32 exec_lo, exec_lo, s102
	v_or_b32_e32 v2, 1, v48
	s_mov_b32 s102, exec_lo
	s_delay_alu instid0(VALU_DEP_1)
	v_cmpx_gt_i32_e64 s101, v2
	s_cbranch_execz .LBB141_76
; %bb.75:                               ;   in Loop: Header=BB141_71 Depth=2
	v_add_co_u32 v2, vcc_lo, v104, v71
	s_wait_alu 0xfffd
	v_add_co_ci_u32_e64 v3, null, v105, v72, vcc_lo
	flat_load_b32 v146, v[2:3]
.LBB141_76:                             ;   in Loop: Header=BB141_71 Depth=2
	s_or_b32 exec_lo, exec_lo, s102
	v_or_b32_e32 v2, 2, v48
	v_dual_mov_b32 v147, 0 :: v_dual_mov_b32 v148, 0
	s_mov_b32 s102, exec_lo
	s_delay_alu instid0(VALU_DEP_2)
	v_cmpx_gt_i32_e64 s101, v2
	s_cbranch_execz .LBB141_78
; %bb.77:                               ;   in Loop: Header=BB141_71 Depth=2
	v_add_co_u32 v2, vcc_lo, v106, v71
	s_wait_alu 0xfffd
	v_add_co_ci_u32_e64 v3, null, v107, v72, vcc_lo
	flat_load_b32 v148, v[2:3]
.LBB141_78:                             ;   in Loop: Header=BB141_71 Depth=2
	s_or_b32 exec_lo, exec_lo, s102
	v_or_b32_e32 v2, 3, v48
	s_mov_b32 s102, exec_lo
	s_delay_alu instid0(VALU_DEP_1)
	v_cmpx_gt_i32_e64 s101, v2
	s_cbranch_execz .LBB141_80
; %bb.79:                               ;   in Loop: Header=BB141_71 Depth=2
	v_add_co_u32 v2, vcc_lo, v108, v71
	s_wait_alu 0xfffd
	v_add_co_ci_u32_e64 v3, null, v109, v72, vcc_lo
	flat_load_b32 v147, v[2:3]
.LBB141_80:                             ;   in Loop: Header=BB141_71 Depth=2
	s_or_b32 exec_lo, exec_lo, s102
	s_mov_b32 s102, 0
.LBB141_81:                             ;   in Loop: Header=BB141_71 Depth=2
	s_delay_alu instid0(SALU_CYCLE_1)
	s_and_b32 vcc_lo, exec_lo, s102
	s_wait_alu 0xfffe
	s_cbranch_vccz .LBB141_83
; %bb.82:                               ;   in Loop: Header=BB141_71 Depth=2
	v_add_co_u32 v2, vcc_lo, v104, v71
	s_wait_alu 0xfffd
	v_add_co_ci_u32_e64 v3, null, v105, v72, vcc_lo
	v_add_co_u32 v4, vcc_lo, v100, v71
	s_wait_alu 0xfffd
	v_add_co_ci_u32_e64 v5, null, v101, v72, vcc_lo
	;; [unrolled: 3-line block ×3, first 2 shown]
	s_wait_loadcnt_dscnt 0x0
	flat_load_b32 v149, v[0:1]
	flat_load_b32 v146, v[2:3]
	;; [unrolled: 1-line block ×4, first 2 shown]
.LBB141_83:                             ;   in Loop: Header=BB141_71 Depth=2
	ds_load_b32 v4, v43
	ds_load_b128 v[0:3], v49
	v_cndmask_b32_e64 v12, 0, 1, s18
                                        ; implicit-def: $vgpr152
                                        ; implicit-def: $vgpr153
                                        ; implicit-def: $vgpr150
                                        ; implicit-def: $vgpr151
	s_wait_loadcnt_dscnt 0x1
	v_mul_f32_e32 v5, v149, v4
	v_mul_f32_e32 v6, v146, v4
	;; [unrolled: 1-line block ×4, first 2 shown]
	ds_store_2addr_b32 v50, v5, v6 offset1:67
	ds_store_2addr_b32 v50, v7, v4 offset0:134 offset1:201
	s_wait_dscnt 0x0
	s_barrier_signal -1
	s_barrier_wait -1
	global_inv scope:SCOPE_SE
	ds_load_2addr_b32 v[31:32], v94 offset1:1
	ds_load_2addr_b32 v[29:30], v94 offset0:2 offset1:3
	v_add_co_u32 v4, vcc_lo, v116, v71
	s_wait_alu 0xfffd
	v_add_co_ci_u32_e64 v5, null, v117, v72, vcc_lo
	s_and_not1_b32 vcc_lo, exec_lo, s18
	s_mov_b32 s18, -1
	s_wait_loadcnt_dscnt 0x0
	s_barrier_signal -1
	s_barrier_wait -1
	global_inv scope:SCOPE_SE
	s_wait_alu 0xfffe
	s_cbranch_vccnz .LBB141_93
; %bb.84:                               ;   in Loop: Header=BB141_71 Depth=2
	v_dual_mov_b32 v151, 0 :: v_dual_add_nc_u32 v6, 16, v48
	v_mov_b32_e32 v150, 0
	s_mov_b32 s18, exec_lo
	s_delay_alu instid0(VALU_DEP_2)
	v_cmpx_gt_i32_e64 s101, v6
	s_cbranch_execz .LBB141_86
; %bb.85:                               ;   in Loop: Header=BB141_71 Depth=2
	flat_load_b32 v151, v[4:5]
.LBB141_86:                             ;   in Loop: Header=BB141_71 Depth=2
	s_wait_alu 0xfffe
	s_or_b32 exec_lo, exec_lo, s18
	s_delay_alu instid0(SALU_CYCLE_1)
	s_mov_b32 s18, exec_lo
	v_cmpx_gt_i32_e64 s101, v54
	s_cbranch_execz .LBB141_88
; %bb.87:                               ;   in Loop: Header=BB141_71 Depth=2
	v_add_co_u32 v6, vcc_lo, v114, v71
	s_wait_alu 0xfffd
	v_add_co_ci_u32_e64 v7, null, v115, v72, vcc_lo
	flat_load_b32 v150, v[6:7]
.LBB141_88:                             ;   in Loop: Header=BB141_71 Depth=2
	s_wait_alu 0xfffe
	s_or_b32 exec_lo, exec_lo, s18
	v_dual_mov_b32 v152, 0 :: v_dual_mov_b32 v153, 0
	s_mov_b32 s18, exec_lo
	v_cmpx_gt_i32_e64 s101, v55
	s_cbranch_execz .LBB141_90
; %bb.89:                               ;   in Loop: Header=BB141_71 Depth=2
	v_add_co_u32 v6, vcc_lo, v118, v71
	s_wait_alu 0xfffd
	v_add_co_ci_u32_e64 v7, null, v119, v72, vcc_lo
	flat_load_b32 v153, v[6:7]
.LBB141_90:                             ;   in Loop: Header=BB141_71 Depth=2
	s_wait_alu 0xfffe
	s_or_b32 exec_lo, exec_lo, s18
	s_delay_alu instid0(SALU_CYCLE_1)
	s_mov_b32 s18, exec_lo
	v_cmpx_gt_i32_e64 s101, v56
	s_cbranch_execz .LBB141_92
; %bb.91:                               ;   in Loop: Header=BB141_71 Depth=2
	v_add_co_u32 v6, vcc_lo, v120, v71
	s_wait_alu 0xfffd
	v_add_co_ci_u32_e64 v7, null, v121, v72, vcc_lo
	flat_load_b32 v152, v[6:7]
.LBB141_92:                             ;   in Loop: Header=BB141_71 Depth=2
	s_wait_alu 0xfffe
	s_or_b32 exec_lo, exec_lo, s18
	s_mov_b32 s18, 0
.LBB141_93:                             ;   in Loop: Header=BB141_71 Depth=2
	s_wait_alu 0xfffe
	s_and_b32 vcc_lo, exec_lo, s18
	s_wait_alu 0xfffe
	s_cbranch_vccz .LBB141_95
; %bb.94:                               ;   in Loop: Header=BB141_71 Depth=2
	v_add_co_u32 v6, vcc_lo, v114, v71
	s_wait_alu 0xfffd
	v_add_co_ci_u32_e64 v7, null, v115, v72, vcc_lo
	v_add_co_u32 v8, vcc_lo, v110, v71
	s_wait_alu 0xfffd
	v_add_co_ci_u32_e64 v9, null, v111, v72, vcc_lo
	;; [unrolled: 3-line block ×3, first 2 shown]
	s_wait_loadcnt_dscnt 0x0
	flat_load_b32 v151, v[4:5]
	flat_load_b32 v150, v[6:7]
	;; [unrolled: 1-line block ×4, first 2 shown]
.LBB141_95:                             ;   in Loop: Header=BB141_71 Depth=2
	ds_load_b32 v8, v43
	ds_load_b128 v[4:7], v49 offset:64
	v_cmp_ne_u32_e32 vcc_lo, 1, v12
                                        ; implicit-def: $vgpr156
                                        ; implicit-def: $vgpr157
                                        ; implicit-def: $vgpr154
                                        ; implicit-def: $vgpr155
	s_and_b32 vcc_lo, exec_lo, vcc_lo
	s_wait_loadcnt_dscnt 0x1
	v_mul_f32_e32 v9, v151, v8
	v_mul_f32_e32 v10, v150, v8
	;; [unrolled: 1-line block ×4, first 2 shown]
	ds_store_2addr_b32 v50, v9, v10 offset1:67
	ds_store_2addr_b32 v50, v11, v8 offset0:134 offset1:201
	s_wait_dscnt 0x0
	s_barrier_signal -1
	s_barrier_wait -1
	global_inv scope:SCOPE_SE
	ds_load_2addr_b32 v[35:36], v94 offset1:1
	ds_load_2addr_b32 v[33:34], v94 offset0:2 offset1:3
	v_add_co_u32 v8, s18, v128, v71
	s_wait_alu 0xf1ff
	v_add_co_ci_u32_e64 v9, null, v129, v72, s18
	s_mov_b32 s18, -1
	s_wait_loadcnt_dscnt 0x0
	s_barrier_signal -1
	s_barrier_wait -1
	global_inv scope:SCOPE_SE
	s_wait_alu 0xfffe
	s_cbranch_vccnz .LBB141_105
; %bb.96:                               ;   in Loop: Header=BB141_71 Depth=2
	v_dual_mov_b32 v154, 0 :: v_dual_mov_b32 v155, 0
	s_mov_b32 s18, exec_lo
	v_cmpx_gt_i32_e64 s101, v57
	s_cbranch_execz .LBB141_98
; %bb.97:                               ;   in Loop: Header=BB141_71 Depth=2
	flat_load_b32 v155, v[8:9]
.LBB141_98:                             ;   in Loop: Header=BB141_71 Depth=2
	s_wait_alu 0xfffe
	s_or_b32 exec_lo, exec_lo, s18
	s_delay_alu instid0(SALU_CYCLE_1)
	s_mov_b32 s18, exec_lo
	v_cmpx_gt_i32_e64 s101, v58
	s_cbranch_execz .LBB141_100
; %bb.99:                               ;   in Loop: Header=BB141_71 Depth=2
	v_add_co_u32 v10, vcc_lo, v126, v71
	s_wait_alu 0xfffd
	v_add_co_ci_u32_e64 v11, null, v127, v72, vcc_lo
	flat_load_b32 v154, v[10:11]
.LBB141_100:                            ;   in Loop: Header=BB141_71 Depth=2
	s_wait_alu 0xfffe
	s_or_b32 exec_lo, exec_lo, s18
	v_dual_mov_b32 v156, 0 :: v_dual_mov_b32 v157, 0
	s_mov_b32 s18, exec_lo
	v_cmpx_gt_i32_e64 s101, v59
	s_cbranch_execz .LBB141_102
; %bb.101:                              ;   in Loop: Header=BB141_71 Depth=2
	v_add_co_u32 v10, vcc_lo, v130, v71
	s_wait_alu 0xfffd
	v_add_co_ci_u32_e64 v11, null, v131, v72, vcc_lo
	flat_load_b32 v157, v[10:11]
.LBB141_102:                            ;   in Loop: Header=BB141_71 Depth=2
	s_wait_alu 0xfffe
	s_or_b32 exec_lo, exec_lo, s18
	s_delay_alu instid0(SALU_CYCLE_1)
	s_mov_b32 s18, exec_lo
	v_cmpx_gt_i32_e64 s101, v60
	s_cbranch_execz .LBB141_104
; %bb.103:                              ;   in Loop: Header=BB141_71 Depth=2
	v_add_co_u32 v10, vcc_lo, v132, v71
	s_wait_alu 0xfffd
	v_add_co_ci_u32_e64 v11, null, v133, v72, vcc_lo
	flat_load_b32 v156, v[10:11]
.LBB141_104:                            ;   in Loop: Header=BB141_71 Depth=2
	s_wait_alu 0xfffe
	s_or_b32 exec_lo, exec_lo, s18
	s_mov_b32 s18, 0
.LBB141_105:                            ;   in Loop: Header=BB141_71 Depth=2
	s_wait_alu 0xfffe
	s_and_b32 vcc_lo, exec_lo, s18
	s_wait_alu 0xfffe
	s_cbranch_vccz .LBB141_107
; %bb.106:                              ;   in Loop: Header=BB141_71 Depth=2
	v_add_co_u32 v10, vcc_lo, v126, v71
	s_wait_alu 0xfffd
	v_add_co_ci_u32_e64 v11, null, v127, v72, vcc_lo
	v_add_co_u32 v13, vcc_lo, v122, v71
	s_wait_alu 0xfffd
	v_add_co_ci_u32_e64 v14, null, v123, v72, vcc_lo
	;; [unrolled: 3-line block ×3, first 2 shown]
	s_wait_loadcnt_dscnt 0x0
	flat_load_b32 v155, v[8:9]
	flat_load_b32 v154, v[10:11]
	;; [unrolled: 1-line block ×4, first 2 shown]
.LBB141_107:                            ;   in Loop: Header=BB141_71 Depth=2
	ds_load_b32 v13, v43
	ds_load_b128 v[8:11], v49 offset:128
	v_cmp_ne_u32_e32 vcc_lo, 1, v12
	v_add_co_u32 v12, s18, v140, v69
                                        ; implicit-def: $vgpr160
                                        ; implicit-def: $vgpr161
                                        ; implicit-def: $vgpr158
                                        ; implicit-def: $vgpr159
	s_and_b32 vcc_lo, exec_lo, vcc_lo
	s_wait_loadcnt_dscnt 0x1
	v_mul_f32_e32 v14, v155, v13
	v_mul_f32_e32 v15, v154, v13
	v_mul_f32_e32 v37, v157, v13
	v_mul_f32_e32 v13, v156, v13
	ds_store_2addr_b32 v50, v14, v15 offset1:67
	ds_store_2addr_b32 v50, v37, v13 offset0:134 offset1:201
	s_wait_dscnt 0x0
	s_barrier_signal -1
	s_barrier_wait -1
	global_inv scope:SCOPE_SE
	ds_load_2addr_b32 v[39:40], v94 offset1:1
	ds_load_2addr_b32 v[37:38], v94 offset0:2 offset1:3
	s_wait_alu 0xf1ff
	v_add_co_ci_u32_e64 v13, null, v141, v70, s18
	s_mov_b32 s18, -1
	s_wait_loadcnt_dscnt 0x0
	s_barrier_signal -1
	s_barrier_wait -1
	global_inv scope:SCOPE_SE
	s_wait_alu 0xfffe
	s_cbranch_vccnz .LBB141_117
; %bb.108:                              ;   in Loop: Header=BB141_71 Depth=2
	v_dual_mov_b32 v158, 0 :: v_dual_mov_b32 v159, 0
	s_mov_b32 s18, exec_lo
	v_cmpx_gt_i32_e64 s101, v61
	s_cbranch_execz .LBB141_110
; %bb.109:                              ;   in Loop: Header=BB141_71 Depth=2
	flat_load_b32 v159, v[12:13]
.LBB141_110:                            ;   in Loop: Header=BB141_71 Depth=2
	s_wait_alu 0xfffe
	s_or_b32 exec_lo, exec_lo, s18
	s_delay_alu instid0(SALU_CYCLE_1)
	s_mov_b32 s18, exec_lo
	v_cmpx_gt_i32_e64 s101, v62
	s_cbranch_execz .LBB141_112
; %bb.111:                              ;   in Loop: Header=BB141_71 Depth=2
	v_add_co_u32 v14, vcc_lo, v138, v69
	s_wait_alu 0xfffd
	v_add_co_ci_u32_e64 v15, null, v139, v70, vcc_lo
	flat_load_b32 v158, v[14:15]
.LBB141_112:                            ;   in Loop: Header=BB141_71 Depth=2
	s_wait_alu 0xfffe
	s_or_b32 exec_lo, exec_lo, s18
	v_dual_mov_b32 v160, 0 :: v_dual_mov_b32 v161, 0
	s_mov_b32 s18, exec_lo
	v_cmpx_gt_i32_e64 s101, v63
	s_cbranch_execz .LBB141_114
; %bb.113:                              ;   in Loop: Header=BB141_71 Depth=2
	v_add_co_u32 v14, vcc_lo, v142, v69
	s_wait_alu 0xfffd
	v_add_co_ci_u32_e64 v15, null, v143, v70, vcc_lo
	flat_load_b32 v161, v[14:15]
.LBB141_114:                            ;   in Loop: Header=BB141_71 Depth=2
	s_wait_alu 0xfffe
	s_or_b32 exec_lo, exec_lo, s18
	s_delay_alu instid0(SALU_CYCLE_1)
	s_mov_b32 s18, exec_lo
	v_cmpx_gt_i32_e64 s101, v64
	s_cbranch_execz .LBB141_116
; %bb.115:                              ;   in Loop: Header=BB141_71 Depth=2
	v_add_co_u32 v14, vcc_lo, v144, v69
	s_wait_alu 0xfffd
	v_add_co_ci_u32_e64 v15, null, v145, v70, vcc_lo
	flat_load_b32 v160, v[14:15]
.LBB141_116:                            ;   in Loop: Header=BB141_71 Depth=2
	s_wait_alu 0xfffe
	s_or_b32 exec_lo, exec_lo, s18
	s_mov_b32 s18, 0
.LBB141_117:                            ;   in Loop: Header=BB141_71 Depth=2
	s_wait_alu 0xfffe
	s_and_b32 vcc_lo, exec_lo, s18
	s_wait_alu 0xfffe
	s_cbranch_vccz .LBB141_119
; %bb.118:                              ;   in Loop: Header=BB141_71 Depth=2
	v_add_co_u32 v14, vcc_lo, v138, v69
	s_wait_alu 0xfffd
	v_add_co_ci_u32_e64 v15, null, v139, v70, vcc_lo
	s_wait_loadcnt_dscnt 0x0
	v_add_co_u32 v160, vcc_lo, v134, v69
	s_wait_alu 0xfffd
	v_add_co_ci_u32_e64 v161, null, v135, v70, vcc_lo
	v_add_co_u32 v162, vcc_lo, v136, v69
	s_wait_alu 0xfffd
	v_add_co_ci_u32_e64 v163, null, v137, v70, vcc_lo
	flat_load_b32 v159, v[12:13]
	flat_load_b32 v158, v[14:15]
	;; [unrolled: 1-line block ×4, first 2 shown]
.LBB141_119:                            ;   in Loop: Header=BB141_71 Depth=2
	ds_load_b32 v162, v43
	ds_load_b128 v[12:15], v49 offset:192
	v_cmp_gt_i32_e32 vcc_lo, s101, v16
	v_add_f32_e32 v39, 0, v39
	v_add_f32_e32 v35, 0, v35
	s_or_b32 s18, s91, vcc_lo
	s_delay_alu instid0(VALU_DEP_2) | instskip(NEXT) | instid1(VALU_DEP_2)
	v_add_f32_e32 v39, v39, v40
	v_add_f32_e32 v35, v35, v36
	s_wait_alu 0xfffe
	s_and_b32 s91, s17, s18
	s_delay_alu instid0(VALU_DEP_1)
	v_add_f32_e32 v33, v35, v33
	s_wait_loadcnt_dscnt 0x1
	v_mul_f32_e32 v163, v159, v162
	v_mul_f32_e32 v164, v158, v162
	;; [unrolled: 1-line block ×4, first 2 shown]
	ds_store_2addr_b32 v50, v163, v164 offset1:67
	ds_store_2addr_b32 v50, v165, v162 offset0:134 offset1:201
	s_wait_dscnt 0x0
	s_barrier_signal -1
	s_barrier_wait -1
	global_inv scope:SCOPE_SE
	ds_load_2addr_b32 v[162:163], v94 offset1:1
	ds_load_2addr_b32 v[164:165], v94 offset0:2 offset1:3
	v_add_f32_e32 v31, 0, v31
	s_wait_loadcnt_dscnt 0x0
	s_barrier_signal -1
	s_barrier_wait -1
	global_inv scope:SCOPE_SE
	v_dual_add_f32 v162, 0, v162 :: v_dual_add_f32 v31, v31, v32
	s_delay_alu instid0(VALU_DEP_1) | instskip(NEXT) | instid1(VALU_DEP_1)
	v_dual_add_f32 v32, v162, v163 :: v_dual_add_f32 v29, v31, v29
	v_dual_add_f32 v36, v39, v37 :: v_dual_add_f32 v31, v32, v164
	v_add_f32_e32 v33, v33, v34
	s_delay_alu instid0(VALU_DEP_3) | instskip(NEXT) | instid1(VALU_DEP_3)
	v_add_f32_e32 v29, v29, v30
	v_add_f32_e32 v32, v36, v38
	s_delay_alu instid0(VALU_DEP_4)
	v_add_f32_e32 v30, v31, v165
	ds_store_2addr_b32 v51, v29, v33 offset1:16
	ds_store_2addr_b32 v51, v32, v30 offset0:32 offset1:48
	s_wait_loadcnt_dscnt 0x0
	s_barrier_signal -1
	s_barrier_wait -1
	global_inv scope:SCOPE_SE
	s_wait_alu 0xfffe
	s_and_saveexec_b32 s18, s91
	s_cbranch_execz .LBB141_121
; %bb.120:                              ;   in Loop: Header=BB141_71 Depth=2
	ds_load_2addr_b32 v[29:30], v52 offset1:1
	ds_load_2addr_b32 v[31:32], v52 offset0:2 offset1:3
	ds_load_2addr_b32 v[33:34], v52 offset0:4 offset1:5
	;; [unrolled: 1-line block ×3, first 2 shown]
	s_wait_dscnt 0x3
	v_add_f32_e32 v29, v29, v30
	s_wait_dscnt 0x2
	s_delay_alu instid0(VALU_DEP_1) | instskip(NEXT) | instid1(VALU_DEP_1)
	v_add_f32_e32 v29, v29, v31
	v_add_f32_e32 v31, v29, v32
	ds_load_2addr_b32 v[29:30], v52 offset0:8 offset1:9
	s_wait_dscnt 0x2
	v_add_f32_e32 v31, v31, v33
	s_delay_alu instid0(VALU_DEP_1) | instskip(SKIP_3) | instid1(VALU_DEP_1)
	v_add_f32_e32 v33, v31, v34
	ds_load_2addr_b32 v[31:32], v52 offset0:10 offset1:11
	s_wait_dscnt 0x2
	v_add_f32_e32 v33, v33, v35
	v_add_f32_e32 v35, v33, v36
	ds_load_2addr_b32 v[33:34], v52 offset0:12 offset1:13
	ds_load_b32 v36, v52 offset:56
	s_wait_dscnt 0x3
	v_add_f32_e32 v29, v35, v29
	s_delay_alu instid0(VALU_DEP_1) | instskip(SKIP_1) | instid1(VALU_DEP_1)
	v_add_f32_e32 v29, v29, v30
	s_wait_dscnt 0x2
	v_add_f32_e32 v29, v29, v31
	ds_load_b32 v31, v53
	v_add_f32_e32 v29, v29, v32
	s_wait_dscnt 0x2
	s_delay_alu instid0(VALU_DEP_1) | instskip(NEXT) | instid1(VALU_DEP_1)
	v_add_f32_e32 v29, v29, v33
	v_add_f32_e32 v30, v29, v34
	v_ashrrev_i32_e32 v29, 31, v28
	s_wait_dscnt 0x1
	s_delay_alu instid0(VALU_DEP_2) | instskip(NEXT) | instid1(VALU_DEP_2)
	v_add_f32_e32 v32, v30, v36
	v_lshlrev_b64_e32 v[29:30], 2, v[28:29]
	s_wait_dscnt 0x0
	s_delay_alu instid0(VALU_DEP_2) | instskip(NEXT) | instid1(VALU_DEP_2)
	v_add_f32_e32 v31, v32, v31
	v_add_co_u32 v29, vcc_lo, s88, v29
	s_wait_alu 0xfffd
	s_delay_alu instid0(VALU_DEP_3)
	v_add_co_ci_u32_e64 v30, null, s89, v30, vcc_lo
	global_store_b32 v[29:30], v31, off
.LBB141_121:                            ;   in Loop: Header=BB141_71 Depth=2
	s_wait_alu 0xfffe
	s_or_b32 exec_lo, exec_lo, s18
	v_fmac_f32_e32 v95, v149, v0
	v_add_co_u32 v100, vcc_lo, v100, s52
	s_wait_alu 0xfffd
	v_add_co_ci_u32_e64 v101, null, s53, v101, vcc_lo
	s_delay_alu instid0(VALU_DEP_3) | instskip(SKIP_3) | instid1(VALU_DEP_3)
	v_dual_fmac_f32 v95, v146, v1 :: v_dual_add_nc_u32 v28, 64, v28
	v_add_co_u32 v102, vcc_lo, v102, s52
	s_wait_alu 0xfffd
	v_add_co_ci_u32_e64 v103, null, s53, v103, vcc_lo
	v_fmac_f32_e32 v95, v148, v2
	v_add_co_u32 v104, vcc_lo, v104, s52
	s_wait_alu 0xfffd
	v_add_co_ci_u32_e64 v105, null, s53, v105, vcc_lo
	s_delay_alu instid0(VALU_DEP_3) | instskip(SKIP_3) | instid1(VALU_DEP_3)
	v_fmac_f32_e32 v95, v147, v3
	v_add_co_u32 v98, vcc_lo, v98, s52
	s_wait_alu 0xfffd
	v_add_co_ci_u32_e64 v99, null, s53, v99, vcc_lo
	v_fmac_f32_e32 v95, v151, v4
	v_add_co_u32 v106, vcc_lo, v106, s52
	s_wait_alu 0xfffd
	v_add_co_ci_u32_e64 v107, null, s53, v107, vcc_lo
	s_delay_alu instid0(VALU_DEP_3) | instskip(SKIP_3) | instid1(VALU_DEP_3)
	v_fmac_f32_e32 v95, v150, v5
	v_add_co_u32 v108, vcc_lo, v108, s52
	s_wait_alu 0xfffd
	v_add_co_ci_u32_e64 v109, null, s53, v109, vcc_lo
	v_fmac_f32_e32 v95, v153, v6
	v_add_co_u32 v110, vcc_lo, v110, s52
	s_wait_alu 0xfffd
	v_add_co_ci_u32_e64 v111, null, s53, v111, vcc_lo
	s_delay_alu instid0(VALU_DEP_3) | instskip(SKIP_3) | instid1(VALU_DEP_3)
	v_fmac_f32_e32 v95, v152, v7
	v_add_co_u32 v112, vcc_lo, v112, s52
	s_wait_alu 0xfffd
	v_add_co_ci_u32_e64 v113, null, s53, v113, vcc_lo
	v_fmac_f32_e32 v95, v155, v8
	v_add_co_u32 v114, vcc_lo, v114, s52
	s_wait_alu 0xfffd
	v_add_co_ci_u32_e64 v115, null, s53, v115, vcc_lo
	s_delay_alu instid0(VALU_DEP_3)
	v_fmac_f32_e32 v95, v154, v9
	v_add_co_u32 v116, vcc_lo, v116, s52
	s_wait_alu 0xfffd
	v_add_co_ci_u32_e64 v117, null, s53, v117, vcc_lo
	v_add_co_u32 v118, vcc_lo, v118, s52
	s_wait_alu 0xfffd
	v_add_co_ci_u32_e64 v119, null, s53, v119, vcc_lo
	v_add_co_u32 v120, vcc_lo, v120, s52
	v_fmac_f32_e32 v95, v157, v10
	s_wait_alu 0xfffd
	v_add_co_ci_u32_e64 v121, null, s53, v121, vcc_lo
	v_add_co_u32 v122, vcc_lo, v122, s52
	s_wait_alu 0xfffd
	v_add_co_ci_u32_e64 v123, null, s53, v123, vcc_lo
	v_add_co_u32 v124, vcc_lo, v124, s52
	v_fmac_f32_e32 v95, v156, v11
	s_wait_alu 0xfffd
	v_add_co_ci_u32_e64 v125, null, s53, v125, vcc_lo
	v_add_co_u32 v126, vcc_lo, v126, s52
	s_wait_alu 0xfffd
	v_add_co_ci_u32_e64 v127, null, s53, v127, vcc_lo
	v_add_co_u32 v128, vcc_lo, v128, s52
	s_wait_alu 0xfffd
	v_add_co_ci_u32_e64 v129, null, s53, v129, vcc_lo
	v_add_co_u32 v130, vcc_lo, v130, s52
	v_fmac_f32_e32 v95, v159, v12
	s_wait_alu 0xfffd
	v_add_co_ci_u32_e64 v131, null, s53, v131, vcc_lo
	v_add_co_u32 v132, vcc_lo, v132, s52
	s_wait_alu 0xfffd
	v_add_co_ci_u32_e64 v133, null, s53, v133, vcc_lo
	v_add_co_u32 v134, vcc_lo, v134, s52
	v_fmac_f32_e32 v95, v158, v13
	s_wait_alu 0xfffd
	v_add_co_ci_u32_e64 v135, null, s53, v135, vcc_lo
	;; [unrolled: 17-line block ×3, first 2 shown]
	s_add_co_i32 s18, s19, 1
	s_add_co_i32 s19, s19, 2
	;; [unrolled: 1-line block ×3, first 2 shown]
	s_wait_alu 0xfffe
	s_cmp_ge_u32 s19, s30
	s_wait_loadcnt 0x0
	s_wait_storecnt 0x0
	s_barrier_signal -1
	s_barrier_wait -1
	global_inv scope:SCOPE_SE
	s_cbranch_scc1 .LBB141_123
; %bb.122:                              ;   in Loop: Header=BB141_71 Depth=2
	s_mov_b32 s19, s18
	s_wait_alu 0xfffe
	s_cmp_eq_u32 s97, s19
	s_cselect_b32 s101, s94, 0
	s_and_saveexec_b32 s18, s0
	s_cbranch_execnz .LBB141_68
	s_branch .LBB141_71
.LBB141_123:                            ;   in Loop: Header=BB141_4 Depth=1
	ds_store_b32 v65, v95
	s_wait_loadcnt_dscnt 0x0
	s_barrier_signal -1
	s_barrier_wait -1
	global_inv scope:SCOPE_SE
	s_and_saveexec_b32 s18, s99
	s_cbranch_execz .LBB141_2
; %bb.124:                              ;   in Loop: Header=BB141_4 Depth=1
	ds_load_2addr_b32 v[0:1], v42 offset1:67
	ds_load_2addr_b32 v[2:3], v42 offset0:134 offset1:201
	s_wait_dscnt 0x1
	v_add_f32_e32 v0, v0, v1
	s_wait_dscnt 0x0
	s_delay_alu instid0(VALU_DEP_1) | instskip(NEXT) | instid1(VALU_DEP_1)
	v_add_f32_e32 v0, v0, v2
	v_add_f32_e32 v2, v0, v3
	s_wait_alu 0xfffe
	v_add_co_u32 v0, vcc_lo, s88, v26
	s_wait_alu 0xfffd
	v_add_co_ci_u32_e64 v1, null, s89, v27, vcc_lo
	global_store_b32 v[0:1], v2, off
	s_branch .LBB141_2
.LBB141_125:                            ;   in Loop: Header=BB141_4 Depth=1
	ds_load_b32 v0, v89
	s_wait_dscnt 0x0
	ds_store_b32 v45, v0
	s_wait_alu 0xfffe
	s_or_b32 exec_lo, exec_lo, s18
	s_and_saveexec_b32 s18, s7
	s_cbranch_execz .LBB141_26
.LBB141_126:                            ;   in Loop: Header=BB141_4 Depth=1
	ds_load_b32 v0, v90
	s_wait_dscnt 0x0
	ds_store_b32 v45, v0 offset:4
	s_wait_alu 0xfffe
	s_or_b32 exec_lo, exec_lo, s18
	s_and_saveexec_b32 s18, s8
	s_cbranch_execz .LBB141_27
.LBB141_127:                            ;   in Loop: Header=BB141_4 Depth=1
	ds_load_b32 v0, v90 offset:132
	s_wait_dscnt 0x0
	ds_store_b32 v45, v0 offset:8
	s_wait_alu 0xfffe
	s_or_b32 exec_lo, exec_lo, s18
	s_and_saveexec_b32 s18, s9
	s_cbranch_execnz .LBB141_28
	s_branch .LBB141_29
.LBB141_128:                            ;   in Loop: Header=BB141_4 Depth=1
	ds_load_b32 v2, v89
	s_wait_dscnt 0x0
	ds_store_b32 v45, v2
	s_wait_alu 0xfffe
	s_or_b32 exec_lo, exec_lo, s18
	s_and_saveexec_b32 s18, s7
	s_cbranch_execz .LBB141_45
.LBB141_129:                            ;   in Loop: Header=BB141_4 Depth=1
	ds_load_b32 v2, v90
	s_wait_dscnt 0x0
	ds_store_b32 v45, v2 offset:4
	s_wait_alu 0xfffe
	s_or_b32 exec_lo, exec_lo, s18
	s_and_saveexec_b32 s18, s8
	s_cbranch_execz .LBB141_46
.LBB141_130:                            ;   in Loop: Header=BB141_4 Depth=1
	ds_load_b32 v2, v90 offset:132
	s_wait_dscnt 0x0
	ds_store_b32 v45, v2 offset:8
	s_wait_alu 0xfffe
	s_or_b32 exec_lo, exec_lo, s18
	s_and_saveexec_b32 s18, s9
	s_cbranch_execnz .LBB141_47
	s_branch .LBB141_48
.LBB141_131:
	s_nop 0
	s_sendmsg sendmsg(MSG_DEALLOC_VGPRS)
	s_endpgm
	.section	.rodata,"a",@progbits
	.p2align	6, 0x0
	.amdhsa_kernel _ZL26rocblas_hemvn_kernel_upperILb0ELi64ELi4ELi33ELi32ELi16EifPKPKfPfEviT6_lT7_lT5_lS6_lS7_lS5_lT8_i
		.amdhsa_group_segment_fixed_size 4800
		.amdhsa_private_segment_fixed_size 0
		.amdhsa_kernarg_size 368
		.amdhsa_user_sgpr_count 2
		.amdhsa_user_sgpr_dispatch_ptr 0
		.amdhsa_user_sgpr_queue_ptr 0
		.amdhsa_user_sgpr_kernarg_segment_ptr 1
		.amdhsa_user_sgpr_dispatch_id 0
		.amdhsa_user_sgpr_private_segment_size 0
		.amdhsa_wavefront_size32 1
		.amdhsa_uses_dynamic_stack 0
		.amdhsa_enable_private_segment 0
		.amdhsa_system_sgpr_workgroup_id_x 1
		.amdhsa_system_sgpr_workgroup_id_y 0
		.amdhsa_system_sgpr_workgroup_id_z 1
		.amdhsa_system_sgpr_workgroup_info 0
		.amdhsa_system_vgpr_workitem_id 1
		.amdhsa_next_free_vgpr 166
		.amdhsa_next_free_sgpr 103
		.amdhsa_reserve_vcc 1
		.amdhsa_float_round_mode_32 0
		.amdhsa_float_round_mode_16_64 0
		.amdhsa_float_denorm_mode_32 3
		.amdhsa_float_denorm_mode_16_64 3
		.amdhsa_fp16_overflow 0
		.amdhsa_workgroup_processor_mode 1
		.amdhsa_memory_ordered 1
		.amdhsa_forward_progress 1
		.amdhsa_inst_pref_size 73
		.amdhsa_round_robin_scheduling 0
		.amdhsa_exception_fp_ieee_invalid_op 0
		.amdhsa_exception_fp_denorm_src 0
		.amdhsa_exception_fp_ieee_div_zero 0
		.amdhsa_exception_fp_ieee_overflow 0
		.amdhsa_exception_fp_ieee_underflow 0
		.amdhsa_exception_fp_ieee_inexact 0
		.amdhsa_exception_int_div_zero 0
	.end_amdhsa_kernel
	.section	.text._ZL26rocblas_hemvn_kernel_upperILb0ELi64ELi4ELi33ELi32ELi16EifPKPKfPfEviT6_lT7_lT5_lS6_lS7_lS5_lT8_i,"axG",@progbits,_ZL26rocblas_hemvn_kernel_upperILb0ELi64ELi4ELi33ELi32ELi16EifPKPKfPfEviT6_lT7_lT5_lS6_lS7_lS5_lT8_i,comdat
.Lfunc_end141:
	.size	_ZL26rocblas_hemvn_kernel_upperILb0ELi64ELi4ELi33ELi32ELi16EifPKPKfPfEviT6_lT7_lT5_lS6_lS7_lS5_lT8_i, .Lfunc_end141-_ZL26rocblas_hemvn_kernel_upperILb0ELi64ELi4ELi33ELi32ELi16EifPKPKfPfEviT6_lT7_lT5_lS6_lS7_lS5_lT8_i
                                        ; -- End function
	.set _ZL26rocblas_hemvn_kernel_upperILb0ELi64ELi4ELi33ELi32ELi16EifPKPKfPfEviT6_lT7_lT5_lS6_lS7_lS5_lT8_i.num_vgpr, 166
	.set _ZL26rocblas_hemvn_kernel_upperILb0ELi64ELi4ELi33ELi32ELi16EifPKPKfPfEviT6_lT7_lT5_lS6_lS7_lS5_lT8_i.num_agpr, 0
	.set _ZL26rocblas_hemvn_kernel_upperILb0ELi64ELi4ELi33ELi32ELi16EifPKPKfPfEviT6_lT7_lT5_lS6_lS7_lS5_lT8_i.numbered_sgpr, 103
	.set _ZL26rocblas_hemvn_kernel_upperILb0ELi64ELi4ELi33ELi32ELi16EifPKPKfPfEviT6_lT7_lT5_lS6_lS7_lS5_lT8_i.num_named_barrier, 0
	.set _ZL26rocblas_hemvn_kernel_upperILb0ELi64ELi4ELi33ELi32ELi16EifPKPKfPfEviT6_lT7_lT5_lS6_lS7_lS5_lT8_i.private_seg_size, 0
	.set _ZL26rocblas_hemvn_kernel_upperILb0ELi64ELi4ELi33ELi32ELi16EifPKPKfPfEviT6_lT7_lT5_lS6_lS7_lS5_lT8_i.uses_vcc, 1
	.set _ZL26rocblas_hemvn_kernel_upperILb0ELi64ELi4ELi33ELi32ELi16EifPKPKfPfEviT6_lT7_lT5_lS6_lS7_lS5_lT8_i.uses_flat_scratch, 1
	.set _ZL26rocblas_hemvn_kernel_upperILb0ELi64ELi4ELi33ELi32ELi16EifPKPKfPfEviT6_lT7_lT5_lS6_lS7_lS5_lT8_i.has_dyn_sized_stack, 0
	.set _ZL26rocblas_hemvn_kernel_upperILb0ELi64ELi4ELi33ELi32ELi16EifPKPKfPfEviT6_lT7_lT5_lS6_lS7_lS5_lT8_i.has_recursion, 0
	.set _ZL26rocblas_hemvn_kernel_upperILb0ELi64ELi4ELi33ELi32ELi16EifPKPKfPfEviT6_lT7_lT5_lS6_lS7_lS5_lT8_i.has_indirect_call, 0
	.section	.AMDGPU.csdata,"",@progbits
; Kernel info:
; codeLenInByte = 9228
; TotalNumSgprs: 105
; NumVgprs: 166
; ScratchSize: 0
; MemoryBound: 0
; FloatMode: 240
; IeeeMode: 1
; LDSByteSize: 4800 bytes/workgroup (compile time only)
; SGPRBlocks: 0
; VGPRBlocks: 20
; NumSGPRsForWavesPerEU: 105
; NumVGPRsForWavesPerEU: 166
; Occupancy: 9
; WaveLimiterHint : 1
; COMPUTE_PGM_RSRC2:SCRATCH_EN: 0
; COMPUTE_PGM_RSRC2:USER_SGPR: 2
; COMPUTE_PGM_RSRC2:TRAP_HANDLER: 0
; COMPUTE_PGM_RSRC2:TGID_X_EN: 1
; COMPUTE_PGM_RSRC2:TGID_Y_EN: 0
; COMPUTE_PGM_RSRC2:TGID_Z_EN: 1
; COMPUTE_PGM_RSRC2:TIDIG_COMP_CNT: 1
	.section	.text._ZL36rocblas_hemvn_kernel_upper_block_sumILi64EifPKPffEviT1_lS3_lT2_lT0_lPT3_i,"axG",@progbits,_ZL36rocblas_hemvn_kernel_upper_block_sumILi64EifPKPffEviT1_lS3_lT2_lT0_lPT3_i,comdat
	.globl	_ZL36rocblas_hemvn_kernel_upper_block_sumILi64EifPKPffEviT1_lS3_lT2_lT0_lPT3_i ; -- Begin function _ZL36rocblas_hemvn_kernel_upper_block_sumILi64EifPKPffEviT1_lS3_lT2_lT0_lPT3_i
	.p2align	8
	.type	_ZL36rocblas_hemvn_kernel_upper_block_sumILi64EifPKPffEviT1_lS3_lT2_lT0_lPT3_i,@function
_ZL36rocblas_hemvn_kernel_upper_block_sumILi64EifPKPffEviT1_lS3_lT2_lT0_lPT3_i: ; @_ZL36rocblas_hemvn_kernel_upper_block_sumILi64EifPKPffEviT1_lS3_lT2_lT0_lPT3_i
; %bb.0:
	s_load_b32 s16, s[0:1], 0x48
	s_lshr_b32 s2, ttmp7, 16
	s_wait_kmcnt 0x0
	s_cmp_ge_u32 s2, s16
	s_cbranch_scc1 .LBB142_25
; %bb.1:
	s_clause 0x3
	s_load_b64 s[8:9], s[0:1], 0x0
	s_load_b32 s10, s[0:1], 0x30
	s_load_b32 s17, s[0:1], 0x10
	s_load_b64 s[12:13], s[0:1], 0x40
	v_lshl_or_b32 v0, ttmp9, 6, v0
	s_load_b128 s[4:7], s[0:1], 0x20
	s_mov_b32 s3, 0
	s_delay_alu instid0(VALU_DEP_1) | instskip(NEXT) | instid1(VALU_DEP_1)
	v_ashrrev_i32_e32 v1, 31, v0
	v_lshlrev_b64_e32 v[4:5], 2, v[0:1]
	s_wait_kmcnt 0x0
	s_cmp_eq_f32 s9, 0
	v_mul_lo_u32 v2, s10, v0
	s_add_nc_u64 s[10:11], s[0:1], 0x50
	v_cmp_gt_i32_e64 s0, s8, v0
	s_cselect_b32 s18, -1, 0
	s_cmp_neq_f32 s9, 0
	v_add_co_u32 v0, vcc_lo, s12, v4
	s_delay_alu instid0(VALU_DEP_1)
	v_add_co_ci_u32_e64 v1, null, s13, v5, vcc_lo
	s_cselect_b32 s1, -1, 0
	s_cmp_neq_f32 s17, 1.0
	v_ashrrev_i32_e32 v3, 31, v2
	s_mov_b32 s14, s8
	s_cselect_b32 s15, -1, 0
	s_wait_alu 0xfffe
	s_or_b32 s1, s1, s15
	s_cmp_neq_f32 s17, 0
	v_lshlrev_b64_e32 v[2:3], 2, v[2:3]
	s_cselect_b32 s19, -1, 0
	s_cmp_eq_f32 s17, 0
	s_cselect_b32 s20, -1, 0
	s_ashr_i32 s15, s8, 31
	s_cmp_gt_i32 ttmp9, -1
	s_cselect_b32 s8, -1, 0
	s_add_co_i32 s21, ttmp9, 1
	s_lshl_b64 s[12:13], s[14:15], 2
	s_lshl_b64 s[6:7], s[6:7], 2
	s_branch .LBB142_4
.LBB142_2:                              ;   in Loop: Header=BB142_4 Depth=1
	s_or_b32 exec_lo, exec_lo, s23
.LBB142_3:                              ;   in Loop: Header=BB142_4 Depth=1
	s_add_co_i32 s2, s2, 0x10000
	s_wait_alu 0xfffe
	s_cmp_lt_u32 s2, s16
	s_cbranch_scc0 .LBB142_25
.LBB142_4:                              ; =>This Loop Header: Depth=1
                                        ;     Child Loop BB142_16 Depth 2
	s_wait_alu 0xfffe
	s_and_not1_b32 vcc_lo, exec_lo, s1
	s_wait_alu 0xfffe
	s_cbranch_vccnz .LBB142_3
; %bb.5:                                ;   in Loop: Header=BB142_4 Depth=1
	s_lshl_b64 s[14:15], s[2:3], 3
	s_and_not1_b32 vcc_lo, exec_lo, s18
	s_wait_alu 0xfffe
	s_add_nc_u64 s[14:15], s[4:5], s[14:15]
	s_load_b64 s[14:15], s[14:15], 0x0
	s_wait_kmcnt 0x0
	s_add_nc_u64 s[14:15], s[14:15], s[6:7]
	s_cbranch_vccnz .LBB142_9
; %bb.6:                                ;   in Loop: Header=BB142_4 Depth=1
	s_mov_b32 s23, 0
	s_mov_b32 s22, 0
                                        ; implicit-def: $vgpr4
	s_and_saveexec_b32 s24, s0
	s_cbranch_execz .LBB142_10
; %bb.7:                                ;   in Loop: Header=BB142_4 Depth=1
	s_and_not1_b32 vcc_lo, exec_lo, s19
	s_wait_alu 0xfffe
	s_cbranch_vccnz .LBB142_11
; %bb.8:                                ;   in Loop: Header=BB142_4 Depth=1
	v_add_co_u32 v4, vcc_lo, s14, v2
	s_wait_alu 0xfffd
	v_add_co_ci_u32_e64 v5, null, s15, v3, vcc_lo
	flat_load_b32 v4, v[4:5]
	s_wait_loadcnt_dscnt 0x0
	v_mul_f32_e32 v4, s17, v4
	s_branch .LBB142_12
.LBB142_9:                              ;   in Loop: Header=BB142_4 Depth=1
	s_mov_b32 s22, 0
                                        ; implicit-def: $vgpr4
	s_cbranch_execnz .LBB142_13
	s_branch .LBB142_23
.LBB142_10:                             ;   in Loop: Header=BB142_4 Depth=1
	s_wait_alu 0xfffe
	s_or_b32 exec_lo, exec_lo, s24
	s_delay_alu instid0(SALU_CYCLE_1)
	s_and_b32 vcc_lo, exec_lo, s23
	s_wait_alu 0xfffe
	s_cbranch_vccnz .LBB142_13
	s_branch .LBB142_23
.LBB142_11:                             ;   in Loop: Header=BB142_4 Depth=1
	v_mov_b32_e32 v4, 0
.LBB142_12:                             ;   in Loop: Header=BB142_4 Depth=1
	s_mov_b32 s22, exec_lo
	s_or_b32 exec_lo, exec_lo, s24
	s_delay_alu instid0(SALU_CYCLE_1)
	s_and_b32 vcc_lo, exec_lo, s23
	s_wait_alu 0xfffe
	s_cbranch_vccz .LBB142_23
.LBB142_13:                             ;   in Loop: Header=BB142_4 Depth=1
                                        ; implicit-def: $vgpr4
	s_and_saveexec_b32 s23, s0
	s_cbranch_execz .LBB142_22
; %bb.14:                               ;   in Loop: Header=BB142_4 Depth=1
	v_mov_b32_e32 v6, 0
	s_and_not1_b32 vcc_lo, exec_lo, s8
	s_wait_alu 0xfffe
	s_cbranch_vccnz .LBB142_17
; %bb.15:                               ;   in Loop: Header=BB142_4 Depth=1
	s_load_b32 s24, s[10:11], 0x0
	s_mov_b32 s25, s3
	s_wait_kmcnt 0x0
	s_wait_alu 0xfffe
	s_mul_u64 s[24:25], s[12:13], s[24:25]
	s_wait_alu 0xfffe
	v_mad_co_u64_u32 v[4:5], null, s24, s2, v[0:1]
	s_mov_b32 s24, s21
	v_mad_co_u64_u32 v[5:6], null, s25, s2, v[5:6]
	v_mov_b32_e32 v6, 0
.LBB142_16:                             ;   Parent Loop BB142_4 Depth=1
                                        ; =>  This Inner Loop Header: Depth=2
	global_load_b32 v7, v[4:5], off
	v_add_co_u32 v4, vcc_lo, v4, s12
	s_wait_alu 0xfffd
	v_add_co_ci_u32_e64 v5, null, s13, v5, vcc_lo
	s_wait_alu 0xfffe
	s_add_co_i32 s24, s24, -1
	s_wait_alu 0xfffe
	s_cmp_eq_u32 s24, 0
	s_wait_loadcnt 0x0
	v_add_f32_e32 v6, v6, v7
	s_cbranch_scc0 .LBB142_16
.LBB142_17:                             ;   in Loop: Header=BB142_4 Depth=1
	s_and_b32 vcc_lo, exec_lo, s20
	s_mov_b32 s24, -1
                                        ; implicit-def: $vgpr4
	s_wait_alu 0xfffe
	s_cbranch_vccz .LBB142_19
; %bb.18:                               ;   in Loop: Header=BB142_4 Depth=1
	v_mul_f32_e32 v4, s9, v6
	s_mov_b32 s24, 0
.LBB142_19:                             ;   in Loop: Header=BB142_4 Depth=1
	s_wait_alu 0xfffe
	s_and_not1_b32 vcc_lo, exec_lo, s24
	s_wait_alu 0xfffe
	s_cbranch_vccnz .LBB142_21
; %bb.20:                               ;   in Loop: Header=BB142_4 Depth=1
	v_add_co_u32 v4, vcc_lo, s14, v2
	s_wait_alu 0xfffd
	v_add_co_ci_u32_e64 v5, null, s15, v3, vcc_lo
	flat_load_b32 v4, v[4:5]
	s_wait_loadcnt_dscnt 0x0
	v_mul_f32_e32 v4, s17, v4
	s_delay_alu instid0(VALU_DEP_1)
	v_fmac_f32_e32 v4, s9, v6
.LBB142_21:                             ;   in Loop: Header=BB142_4 Depth=1
	s_or_b32 s22, s22, exec_lo
.LBB142_22:                             ;   in Loop: Header=BB142_4 Depth=1
	s_or_b32 exec_lo, exec_lo, s23
.LBB142_23:                             ;   in Loop: Header=BB142_4 Depth=1
	s_and_saveexec_b32 s23, s22
	s_cbranch_execz .LBB142_2
; %bb.24:                               ;   in Loop: Header=BB142_4 Depth=1
	s_wait_alu 0xfffe
	v_add_co_u32 v5, vcc_lo, s14, v2
	s_wait_alu 0xfffd
	v_add_co_ci_u32_e64 v6, null, s15, v3, vcc_lo
	flat_store_b32 v[5:6], v4
	s_branch .LBB142_2
.LBB142_25:
	s_endpgm
	.section	.rodata,"a",@progbits
	.p2align	6, 0x0
	.amdhsa_kernel _ZL36rocblas_hemvn_kernel_upper_block_sumILi64EifPKPffEviT1_lS3_lT2_lT0_lPT3_i
		.amdhsa_group_segment_fixed_size 0
		.amdhsa_private_segment_fixed_size 0
		.amdhsa_kernarg_size 336
		.amdhsa_user_sgpr_count 2
		.amdhsa_user_sgpr_dispatch_ptr 0
		.amdhsa_user_sgpr_queue_ptr 0
		.amdhsa_user_sgpr_kernarg_segment_ptr 1
		.amdhsa_user_sgpr_dispatch_id 0
		.amdhsa_user_sgpr_private_segment_size 0
		.amdhsa_wavefront_size32 1
		.amdhsa_uses_dynamic_stack 0
		.amdhsa_enable_private_segment 0
		.amdhsa_system_sgpr_workgroup_id_x 1
		.amdhsa_system_sgpr_workgroup_id_y 0
		.amdhsa_system_sgpr_workgroup_id_z 1
		.amdhsa_system_sgpr_workgroup_info 0
		.amdhsa_system_vgpr_workitem_id 0
		.amdhsa_next_free_vgpr 8
		.amdhsa_next_free_sgpr 26
		.amdhsa_reserve_vcc 1
		.amdhsa_float_round_mode_32 0
		.amdhsa_float_round_mode_16_64 0
		.amdhsa_float_denorm_mode_32 3
		.amdhsa_float_denorm_mode_16_64 3
		.amdhsa_fp16_overflow 0
		.amdhsa_workgroup_processor_mode 1
		.amdhsa_memory_ordered 1
		.amdhsa_forward_progress 1
		.amdhsa_inst_pref_size 6
		.amdhsa_round_robin_scheduling 0
		.amdhsa_exception_fp_ieee_invalid_op 0
		.amdhsa_exception_fp_denorm_src 0
		.amdhsa_exception_fp_ieee_div_zero 0
		.amdhsa_exception_fp_ieee_overflow 0
		.amdhsa_exception_fp_ieee_underflow 0
		.amdhsa_exception_fp_ieee_inexact 0
		.amdhsa_exception_int_div_zero 0
	.end_amdhsa_kernel
	.section	.text._ZL36rocblas_hemvn_kernel_upper_block_sumILi64EifPKPffEviT1_lS3_lT2_lT0_lPT3_i,"axG",@progbits,_ZL36rocblas_hemvn_kernel_upper_block_sumILi64EifPKPffEviT1_lS3_lT2_lT0_lPT3_i,comdat
.Lfunc_end142:
	.size	_ZL36rocblas_hemvn_kernel_upper_block_sumILi64EifPKPffEviT1_lS3_lT2_lT0_lPT3_i, .Lfunc_end142-_ZL36rocblas_hemvn_kernel_upper_block_sumILi64EifPKPffEviT1_lS3_lT2_lT0_lPT3_i
                                        ; -- End function
	.set _ZL36rocblas_hemvn_kernel_upper_block_sumILi64EifPKPffEviT1_lS3_lT2_lT0_lPT3_i.num_vgpr, 8
	.set _ZL36rocblas_hemvn_kernel_upper_block_sumILi64EifPKPffEviT1_lS3_lT2_lT0_lPT3_i.num_agpr, 0
	.set _ZL36rocblas_hemvn_kernel_upper_block_sumILi64EifPKPffEviT1_lS3_lT2_lT0_lPT3_i.numbered_sgpr, 26
	.set _ZL36rocblas_hemvn_kernel_upper_block_sumILi64EifPKPffEviT1_lS3_lT2_lT0_lPT3_i.num_named_barrier, 0
	.set _ZL36rocblas_hemvn_kernel_upper_block_sumILi64EifPKPffEviT1_lS3_lT2_lT0_lPT3_i.private_seg_size, 0
	.set _ZL36rocblas_hemvn_kernel_upper_block_sumILi64EifPKPffEviT1_lS3_lT2_lT0_lPT3_i.uses_vcc, 1
	.set _ZL36rocblas_hemvn_kernel_upper_block_sumILi64EifPKPffEviT1_lS3_lT2_lT0_lPT3_i.uses_flat_scratch, 0
	.set _ZL36rocblas_hemvn_kernel_upper_block_sumILi64EifPKPffEviT1_lS3_lT2_lT0_lPT3_i.has_dyn_sized_stack, 0
	.set _ZL36rocblas_hemvn_kernel_upper_block_sumILi64EifPKPffEviT1_lS3_lT2_lT0_lPT3_i.has_recursion, 0
	.set _ZL36rocblas_hemvn_kernel_upper_block_sumILi64EifPKPffEviT1_lS3_lT2_lT0_lPT3_i.has_indirect_call, 0
	.section	.AMDGPU.csdata,"",@progbits
; Kernel info:
; codeLenInByte = 728
; TotalNumSgprs: 28
; NumVgprs: 8
; ScratchSize: 0
; MemoryBound: 0
; FloatMode: 240
; IeeeMode: 1
; LDSByteSize: 0 bytes/workgroup (compile time only)
; SGPRBlocks: 0
; VGPRBlocks: 0
; NumSGPRsForWavesPerEU: 28
; NumVGPRsForWavesPerEU: 8
; Occupancy: 16
; WaveLimiterHint : 1
; COMPUTE_PGM_RSRC2:SCRATCH_EN: 0
; COMPUTE_PGM_RSRC2:USER_SGPR: 2
; COMPUTE_PGM_RSRC2:TRAP_HANDLER: 0
; COMPUTE_PGM_RSRC2:TGID_X_EN: 1
; COMPUTE_PGM_RSRC2:TGID_Y_EN: 0
; COMPUTE_PGM_RSRC2:TGID_Z_EN: 1
; COMPUTE_PGM_RSRC2:TIDIG_COMP_CNT: 0
	.section	.text._ZL50rocblas_symv_kernel_lower_double_buffered_diagonalILi32ELi4E24rocblas_internal_val_ptrIfEPKPKfPKPfEvbiT1_lT2_lllSA_lllS9_lT3_llli,"axG",@progbits,_ZL50rocblas_symv_kernel_lower_double_buffered_diagonalILi32ELi4E24rocblas_internal_val_ptrIfEPKPKfPKPfEvbiT1_lT2_lllSA_lllS9_lT3_llli,comdat
	.globl	_ZL50rocblas_symv_kernel_lower_double_buffered_diagonalILi32ELi4E24rocblas_internal_val_ptrIfEPKPKfPKPfEvbiT1_lT2_lllSA_lllS9_lT3_llli ; -- Begin function _ZL50rocblas_symv_kernel_lower_double_buffered_diagonalILi32ELi4E24rocblas_internal_val_ptrIfEPKPKfPKPfEvbiT1_lT2_lllSA_lllS9_lT3_llli
	.p2align	8
	.type	_ZL50rocblas_symv_kernel_lower_double_buffered_diagonalILi32ELi4E24rocblas_internal_val_ptrIfEPKPKfPKPfEvbiT1_lT2_lllSA_lllS9_lT3_llli,@function
_ZL50rocblas_symv_kernel_lower_double_buffered_diagonalILi32ELi4E24rocblas_internal_val_ptrIfEPKPKfPKPfEvbiT1_lT2_lllSA_lllS9_lT3_llli: ; @_ZL50rocblas_symv_kernel_lower_double_buffered_diagonalILi32ELi4E24rocblas_internal_val_ptrIfEPKPKfPKPfEvbiT1_lT2_lllSA_lllS9_lT3_llli
; %bb.0:
	s_load_b64 s[0:1], s[0:1], 0x4
	s_clause 0x1
	s_load_b256 s[12:19], s[2:3], 0x8
	s_load_b128 s[20:23], s[2:3], 0x58
	v_bfe_u32 v1, v0, 10, 10
	s_load_b32 s11, s[2:3], 0x88
	v_and_b32_e32 v6, 0x3ff, v0
	v_bfe_u32 v0, v0, 20, 10
	s_wait_kmcnt 0x0
	v_mul_u32_u24_e32 v2, s1, v1
	s_lshr_b32 s0, s0, 16
	v_mov_b32_e32 v3, s13
	s_wait_alu 0xfffe
	s_mul_i32 s0, s0, s1
	v_mov_b32_e32 v5, s21
	s_wait_alu 0xfffe
	v_mad_u32_u24 v2, s0, v6, v2
	s_delay_alu instid0(VALU_DEP_1)
	v_add_lshl_u32 v0, v2, v0, 3
	v_mov_b32_e32 v2, s12
	v_mov_b32_e32 v4, s20
	s_lshr_b32 s12, ttmp7, 16
	s_wait_alu 0xfffe
	s_cmp_ge_u32 s12, s11
	v_add_nc_u32_e32 v7, 0x80, v0
	ds_store_2addr_stride64_b64 v7, v[4:5], v[2:3] offset0:10 offset1:12
	s_cbranch_scc1 .LBB143_48
; %bb.1:
	s_clause 0x5
	s_load_b128 s[28:31], s[2:3], 0x70
	s_load_b64 s[34:35], s[2:3], 0x28
	s_load_b64 s[4:5], s[2:3], 0x48
	s_load_b32 s1, s[2:3], 0x0
	s_load_b64 s[20:21], s[2:3], 0x68
	s_load_b128 s[24:27], s[2:3], 0x38
	v_dual_mov_b32 v14, 0 :: v_dual_add_nc_u32 v13, 0x1480, v0
	v_sub_co_u32 v16, s33, v6, v1
	v_lshl_add_u32 v19, v1, 5, v6
	v_cmp_eq_u32_e64 s0, 0, v1
	v_lshlrev_b32_e32 v21, 2, v6
	s_mov_b32 s13, 0
	v_lshl_add_u32 v19, v19, 2, 0x1000
	s_wait_kmcnt 0x0
	v_mad_co_u64_u32 v[2:3], null, s30, v6, 0
	v_mad_co_u64_u32 v[4:5], null, s34, v1, 0
	;; [unrolled: 1-line block ×3, first 2 shown]
	v_add_nc_u32_e32 v12, 0x1880, v0
	v_lshlrev_b32_e32 v28, 2, v6
	v_mov_b32_e32 v0, v3
	s_bitcmp1_b32 s1, 0
	v_mov_b32_e32 v3, v5
	s_cselect_b32 s1, -1, 0
	v_mov_b32_e32 v5, v8
	v_mad_co_u64_u32 v[8:9], null, s31, v6, v[0:1]
	s_delay_alu instid0(VALU_DEP_3) | instskip(NEXT) | instid1(VALU_DEP_3)
	v_mad_co_u64_u32 v[9:10], null, s35, v1, v[3:4]
	v_mad_co_u64_u32 v[10:11], null, s5, v6, v[5:6]
	v_sub_nc_u32_e32 v0, 0, v16
	s_delay_alu instid0(VALU_DEP_4)
	v_dual_mov_b32 v3, v8 :: v_dual_lshlrev_b32 v20, 7, v1
	v_mul_u32_u24_e32 v11, 0x7c, v6
	v_lshlrev_b32_e32 v1, 2, v1
	v_dual_mov_b32 v5, v9 :: v_dual_mov_b32 v8, v10
	v_add_nc_u32_e32 v15, 0x1400, v28
	v_max_i32_e32 v0, v16, v0
	s_lshl_b32 s6, ttmp9, 5
	v_add_nc_u32_e32 v9, 0x200, v20
	v_add_nc_u32_e32 v10, 0x400, v20
	v_add_nc_u32_e32 v24, 0x600, v20
	v_add3_u32 v17, v28, v11, v1
	v_add_nc_u32_e32 v11, 0xe00, v20
	v_add_nc_u32_e32 v26, 0x800, v20
	;; [unrolled: 1-line block ×4, first 2 shown]
	s_add_nc_u64 s[2:3], s[34:35], 1
	s_ashr_i32 s7, s6, 31
	v_cmp_gt_u32_e64 s8, 28, v0
	s_mul_u64 s[36:37], s[30:31], s[6:7]
	s_mul_u64 s[38:39], s[2:3], s[6:7]
	;; [unrolled: 1-line block ×3, first 2 shown]
	v_cmp_gt_u32_e64 s2, 4, v0
	v_cmp_gt_u32_e64 s3, 8, v0
	v_cmp_gt_u32_e64 s4, 12, v0
	v_cmp_gt_u32_e64 s5, 16, v0
	v_cmp_gt_u32_e64 s6, 20, v0
	v_cmp_gt_u32_e64 s7, 24, v0
	v_add_nc_u32_e32 v18, 0x1400, v1
	v_lshlrev_b64_e32 v[0:1], 2, v[2:3]
	v_lshlrev_b64_e32 v[2:3], 2, v[7:8]
	;; [unrolled: 1-line block ×3, first 2 shown]
	s_wait_alu 0xfffe
	s_xor_b32 s42, s1, -1
	v_cmp_lt_u32_e64 s1, 15, v6
	v_add_nc_u32_e32 v16, v28, v20
	v_or_b32_e32 v20, 0x1000, v28
	v_add_nc_u32_e32 v22, v28, v9
	v_add_nc_u32_e32 v23, v28, v10
	;; [unrolled: 1-line block ×7, first 2 shown]
	s_lshl_b64 s[44:45], s[34:35], 2
	s_lshl_b64 s[30:31], s[34:35], 4
	;; [unrolled: 1-line block ×9, first 2 shown]
	s_branch .LBB143_4
.LBB143_2:                              ;   in Loop: Header=BB143_4 Depth=1
	s_wait_alu 0xfffe
	s_or_b32 exec_lo, exec_lo, s9
.LBB143_3:                              ;   in Loop: Header=BB143_4 Depth=1
	s_delay_alu instid0(SALU_CYCLE_1)
	s_or_b32 exec_lo, exec_lo, s43
	s_add_co_i32 s12, s12, 0x10000
	s_wait_alu 0xfffe
	s_cmp_lt_u32 s12, s11
	s_cbranch_scc0 .LBB143_48
.LBB143_4:                              ; =>This Inner Loop Header: Depth=1
	s_and_b32 vcc_lo, exec_lo, s42
	s_mov_b32 s9, -1
                                        ; implicit-def: $vgpr29
	s_wait_alu 0xfffe
	s_cbranch_vccnz .LBB143_38
; %bb.5:                                ;   in Loop: Header=BB143_4 Depth=1
	s_and_not1_b32 vcc_lo, exec_lo, s9
	s_wait_alu 0xfffe
	s_cbranch_vccz .LBB143_39
.LBB143_6:                              ;   in Loop: Header=BB143_4 Depth=1
	s_and_b32 vcc_lo, exec_lo, s42
	s_mov_b32 s9, -1
                                        ; implicit-def: $vgpr30
	s_wait_alu 0xfffe
	s_cbranch_vccnz .LBB143_40
.LBB143_7:                              ;   in Loop: Header=BB143_4 Depth=1
	s_and_not1_b32 vcc_lo, exec_lo, s9
	s_wait_alu 0xfffe
	s_cbranch_vccnz .LBB143_9
.LBB143_8:                              ;   in Loop: Header=BB143_4 Depth=1
	s_wait_loadcnt_dscnt 0x0
	ds_load_b32 v30, v13
.LBB143_9:                              ;   in Loop: Header=BB143_4 Depth=1
	s_wait_loadcnt_dscnt 0x0
	v_cmp_neq_f32_e32 vcc_lo, 0, v29
	v_cmp_neq_f32_e64 s9, 1.0, v30
	s_or_b32 s9, vcc_lo, s9
	s_wait_alu 0xfffe
	s_and_saveexec_b32 s43, s9
	s_cbranch_execz .LBB143_3
; %bb.10:                               ;   in Loop: Header=BB143_4 Depth=1
	v_cmp_neq_f32_e64 s9, 0, v29
	v_cmp_eq_f32_e32 vcc_lo, 0, v29
	v_dual_mov_b32 v10, s12 :: v_dual_mov_b32 v11, s13
	s_and_saveexec_b32 s10, vcc_lo
	s_wait_alu 0xfffe
	s_xor_b32 s10, exec_lo, s10
; %bb.11:                               ;   in Loop: Header=BB143_4 Depth=1
	v_dual_mov_b32 v10, s12 :: v_dual_mov_b32 v11, s13
; %bb.12:                               ;   in Loop: Header=BB143_4 Depth=1
	s_wait_alu 0xfffe
	s_or_saveexec_b32 s44, s10
	v_mov_b32_e32 v8, 0
	v_dual_mov_b32 v9, 0 :: v_dual_mov_b32 v6, 0
	v_mov_b32_e32 v7, 0
	s_wait_alu 0xfffe
	s_xor_b32 exec_lo, exec_lo, s44
	s_cbranch_execz .LBB143_14
; %bb.13:                               ;   in Loop: Header=BB143_4 Depth=1
	s_lshl_b64 s[46:47], s[12:13], 3
	s_delay_alu instid0(SALU_CYCLE_1)
	s_add_nc_u64 s[46:47], s[16:17], s[46:47]
	global_load_b64 v[6:7], v14, s[46:47]
	s_wait_loadcnt 0x0
	v_add_co_u32 v6, s10, v6, s18
	s_wait_alu 0xf1ff
	v_add_co_ci_u32_e64 v7, null, s19, v7, s10
.LBB143_14:                             ;   in Loop: Header=BB143_4 Depth=1
	s_or_b32 exec_lo, exec_lo, s44
	v_lshlrev_b64_e32 v[10:11], 3, v[10:11]
	s_and_saveexec_b32 s10, s9
	s_cbranch_execz .LBB143_16
; %bb.15:                               ;   in Loop: Header=BB143_4 Depth=1
	s_delay_alu instid0(VALU_DEP_1) | instskip(SKIP_1) | instid1(VALU_DEP_2)
	v_add_co_u32 v8, s9, s24, v10
	s_wait_alu 0xf1ff
	v_add_co_ci_u32_e64 v9, null, s25, v11, s9
	global_load_b64 v[8:9], v[8:9], off
	s_wait_loadcnt 0x0
	v_add_co_u32 v8, s9, v8, s26
	s_wait_alu 0xf1ff
	v_add_co_ci_u32_e64 v9, null, s27, v9, s9
.LBB143_16:                             ;   in Loop: Header=BB143_4 Depth=1
	s_wait_alu 0xfffe
	s_or_b32 exec_lo, exec_lo, s10
	s_delay_alu instid0(VALU_DEP_1)
	v_add_co_u32 v10, s9, s20, v10
	s_wait_alu 0xf1ff
	v_add_co_ci_u32_e64 v11, null, s21, v11, s9
	global_load_b64 v[10:11], v[10:11], off
	s_wait_loadcnt 0x0
	v_add_co_u32 v10, s9, v10, s28
	s_wait_alu 0xf1ff
	v_add_co_ci_u32_e64 v11, null, s29, v11, s9
	s_delay_alu instid0(VALU_DEP_2) | instskip(SKIP_1) | instid1(VALU_DEP_2)
	v_add_co_u32 v10, s9, v10, s34
	s_wait_alu 0xf1ff
	v_add_co_ci_u32_e64 v11, null, s35, v11, s9
	s_and_saveexec_b32 s9, vcc_lo
	s_wait_alu 0xfffe
	s_xor_b32 s9, exec_lo, s9
	s_cbranch_execz .LBB143_20
; %bb.17:                               ;   in Loop: Header=BB143_4 Depth=1
	s_and_saveexec_b32 s10, s0
	s_cbranch_execz .LBB143_19
; %bb.18:                               ;   in Loop: Header=BB143_4 Depth=1
	v_add_co_u32 v6, vcc_lo, v10, v0
	s_wait_alu 0xfffd
	v_add_co_ci_u32_e64 v7, null, v11, v1, vcc_lo
	flat_load_b32 v8, v[6:7]
	s_wait_loadcnt_dscnt 0x0
	v_mul_f32_e32 v8, v30, v8
	flat_store_b32 v[6:7], v8
.LBB143_19:                             ;   in Loop: Header=BB143_4 Depth=1
	s_wait_alu 0xfffe
	s_or_b32 exec_lo, exec_lo, s10
                                        ; implicit-def: $vgpr29
                                        ; implicit-def: $vgpr30
                                        ; implicit-def: $vgpr10
                                        ; implicit-def: $vgpr11
                                        ; implicit-def: $vgpr6_vgpr7
                                        ; implicit-def: $vgpr8_vgpr9
.LBB143_20:                             ;   in Loop: Header=BB143_4 Depth=1
	s_wait_alu 0xfffe
	s_and_not1_saveexec_b32 s9, s9
	s_cbranch_execz .LBB143_3
; %bb.21:                               ;   in Loop: Header=BB143_4 Depth=1
	v_mov_b32_e32 v31, 0
	s_and_saveexec_b32 s9, s0
	s_cbranch_execz .LBB143_25
; %bb.22:                               ;   in Loop: Header=BB143_4 Depth=1
	v_mov_b32_e32 v31, 0
	s_mov_b32 s10, exec_lo
	v_cmpx_neq_f32_e32 0, v30
	s_cbranch_execz .LBB143_24
; %bb.23:                               ;   in Loop: Header=BB143_4 Depth=1
	v_add_co_u32 v31, vcc_lo, v10, v0
	s_wait_alu 0xfffd
	v_add_co_ci_u32_e64 v32, null, v11, v1, vcc_lo
	flat_load_b32 v31, v[31:32]
	s_wait_loadcnt_dscnt 0x0
	v_mul_f32_e32 v31, v30, v31
.LBB143_24:                             ;   in Loop: Header=BB143_4 Depth=1
	s_wait_alu 0xfffe
	s_or_b32 exec_lo, exec_lo, s10
	v_add_co_u32 v8, vcc_lo, v8, s36
	s_wait_alu 0xfffd
	v_add_co_ci_u32_e64 v9, null, s37, v9, vcc_lo
	s_delay_alu instid0(VALU_DEP_2) | instskip(SKIP_1) | instid1(VALU_DEP_2)
	v_add_co_u32 v8, vcc_lo, v8, v2
	s_wait_alu 0xfffd
	v_add_co_ci_u32_e64 v9, null, v9, v3, vcc_lo
	flat_load_b32 v8, v[8:9]
	s_wait_loadcnt_dscnt 0x0
	ds_store_b32 v15, v8
.LBB143_25:                             ;   in Loop: Header=BB143_4 Depth=1
	s_wait_alu 0xfffe
	s_or_b32 exec_lo, exec_lo, s9
	v_add_co_u32 v6, vcc_lo, v6, s38
	s_wait_alu 0xfffd
	v_add_co_ci_u32_e64 v7, null, s39, v7, vcc_lo
	s_delay_alu instid0(VALU_DEP_2) | instskip(SKIP_1) | instid1(VALU_DEP_2)
	v_add_co_u32 v6, vcc_lo, v6, v4
	s_wait_alu 0xfffd
	v_add_co_ci_u32_e64 v7, null, v7, v5, vcc_lo
	s_delay_alu instid0(VALU_DEP_2) | instskip(SKIP_1) | instid1(VALU_DEP_2)
	;; [unrolled: 4-line block ×5, first 2 shown]
	v_add_co_u32 v6, vcc_lo, v34, s30
	s_wait_alu 0xfffd
	v_add_co_ci_u32_e64 v7, null, s31, v35, vcc_lo
	s_clause 0x3
	flat_load_b32 v8, v[8:9]
	flat_load_b32 v9, v[32:33]
	;; [unrolled: 1-line block ×4, first 2 shown]
	s_wait_loadcnt_dscnt 0x303
	ds_store_b32 v16, v8
	s_wait_loadcnt_dscnt 0x203
	ds_store_b32 v22, v9
	s_wait_loadcnt_dscnt 0x103
	ds_store_b32 v23, v32
	s_wait_loadcnt_dscnt 0x3
	ds_store_b32 v24, v33
	s_and_saveexec_b32 s9, s1
	s_cbranch_execz .LBB143_27
; %bb.26:                               ;   in Loop: Header=BB143_4 Depth=1
	v_add_co_u32 v6, vcc_lo, v6, s30
	s_wait_alu 0xfffd
	v_add_co_ci_u32_e64 v7, null, s31, v7, vcc_lo
	s_delay_alu instid0(VALU_DEP_2) | instskip(SKIP_1) | instid1(VALU_DEP_2)
	v_add_co_u32 v8, vcc_lo, v6, s40
	s_wait_alu 0xfffd
	v_add_co_ci_u32_e64 v9, null, s41, v7, vcc_lo
	s_delay_alu instid0(VALU_DEP_2) | instskip(SKIP_1) | instid1(VALU_DEP_2)
	;; [unrolled: 4-line block ×3, first 2 shown]
	v_add_co_u32 v34, vcc_lo, v32, s30
	s_wait_alu 0xfffd
	v_add_co_ci_u32_e64 v35, null, s31, v33, vcc_lo
	s_clause 0x3
	flat_load_b32 v6, v[6:7]
	flat_load_b32 v7, v[8:9]
	;; [unrolled: 1-line block ×4, first 2 shown]
	s_wait_loadcnt_dscnt 0x202
	ds_store_2addr_stride64_b32 v16, v6, v7 offset0:8 offset1:10
	s_wait_loadcnt_dscnt 0x1
	ds_store_2addr_stride64_b32 v16, v8, v9 offset0:12 offset1:14
.LBB143_27:                             ;   in Loop: Header=BB143_4 Depth=1
	s_wait_alu 0xfffe
	s_or_b32 exec_lo, exec_lo, s9
	s_wait_storecnt_dscnt 0x0
	s_barrier_signal -1
	s_barrier_wait -1
	global_inv scope:SCOPE_SE
	s_and_saveexec_b32 s9, s33
	s_cbranch_execnz .LBB143_41
; %bb.28:                               ;   in Loop: Header=BB143_4 Depth=1
	s_wait_alu 0xfffe
	s_or_b32 exec_lo, exec_lo, s9
	s_and_saveexec_b32 s9, s2
	s_cbranch_execnz .LBB143_42
.LBB143_29:                             ;   in Loop: Header=BB143_4 Depth=1
	s_wait_alu 0xfffe
	s_or_b32 exec_lo, exec_lo, s9
	s_and_saveexec_b32 s9, s3
	s_cbranch_execnz .LBB143_43
.LBB143_30:                             ;   in Loop: Header=BB143_4 Depth=1
	s_wait_alu 0xfffe
	s_or_b32 exec_lo, exec_lo, s9
	s_and_saveexec_b32 s9, s4
	s_cbranch_execnz .LBB143_44
.LBB143_31:                             ;   in Loop: Header=BB143_4 Depth=1
	s_wait_alu 0xfffe
	s_or_b32 exec_lo, exec_lo, s9
	s_and_saveexec_b32 s9, s5
	s_cbranch_execnz .LBB143_45
.LBB143_32:                             ;   in Loop: Header=BB143_4 Depth=1
	s_wait_alu 0xfffe
	s_or_b32 exec_lo, exec_lo, s9
	s_and_saveexec_b32 s9, s6
	s_cbranch_execnz .LBB143_46
.LBB143_33:                             ;   in Loop: Header=BB143_4 Depth=1
	s_wait_alu 0xfffe
	s_or_b32 exec_lo, exec_lo, s9
	s_and_saveexec_b32 s9, s7
	s_cbranch_execnz .LBB143_47
.LBB143_34:                             ;   in Loop: Header=BB143_4 Depth=1
	s_wait_alu 0xfffe
	s_or_b32 exec_lo, exec_lo, s9
	s_and_saveexec_b32 s9, s8
	s_cbranch_execz .LBB143_36
.LBB143_35:                             ;   in Loop: Header=BB143_4 Depth=1
	ds_load_b32 v6, v17 offset:112
	s_wait_dscnt 0x0
	ds_store_b32 v25, v6
.LBB143_36:                             ;   in Loop: Header=BB143_4 Depth=1
	s_wait_alu 0xfffe
	s_or_b32 exec_lo, exec_lo, s9
	s_wait_loadcnt_dscnt 0x0
	s_barrier_signal -1
	s_barrier_wait -1
	global_inv scope:SCOPE_SE
	ds_load_2addr_b32 v[6:7], v18 offset1:4
	ds_load_b32 v34, v16
	ds_load_b32 v35, v22
	ds_load_2addr_b32 v[8:9], v18 offset0:8 offset1:12
	ds_load_b32 v36, v23
	ds_load_2addr_b32 v[32:33], v18 offset0:16 offset1:20
	ds_load_b32 v37, v24
	ds_load_b32 v38, v26
	;; [unrolled: 1-line block ×5, first 2 shown]
	s_wait_dscnt 0x9
	v_fma_f32 v34, v34, v6, 0
	s_wait_dscnt 0x8
	s_delay_alu instid0(VALU_DEP_1) | instskip(SKIP_4) | instid1(VALU_DEP_1)
	v_fmac_f32_e32 v34, v35, v7
	ds_load_2addr_b32 v[6:7], v18 offset0:24 offset1:28
	s_wait_dscnt 0x7
	v_fmac_f32_e32 v34, v36, v8
	s_wait_dscnt 0x5
	v_fmac_f32_e32 v34, v37, v9
	s_wait_dscnt 0x4
	s_delay_alu instid0(VALU_DEP_1) | instskip(SKIP_1) | instid1(VALU_DEP_1)
	v_fmac_f32_e32 v34, v38, v32
	s_wait_dscnt 0x3
	v_fmac_f32_e32 v34, v39, v33
	s_wait_dscnt 0x0
	s_delay_alu instid0(VALU_DEP_1) | instskip(NEXT) | instid1(VALU_DEP_1)
	v_fmac_f32_e32 v34, v40, v6
	v_fmac_f32_e32 v34, v41, v7
	ds_store_b32 v19, v34
	s_wait_loadcnt_dscnt 0x0
	s_barrier_signal -1
	s_barrier_wait -1
	global_inv scope:SCOPE_SE
	s_and_saveexec_b32 s9, s0
	s_cbranch_execz .LBB143_2
; %bb.37:                               ;   in Loop: Header=BB143_4 Depth=1
	ds_load_2addr_b32 v[6:7], v20 offset1:32
	ds_load_2addr_b32 v[8:9], v20 offset0:64 offset1:96
	v_cmp_neq_f32_e32 vcc_lo, 0, v30
	s_wait_dscnt 0x1
	v_add_f32_e32 v6, 0, v6
	s_delay_alu instid0(VALU_DEP_1) | instskip(SKIP_1) | instid1(VALU_DEP_1)
	v_add_f32_e32 v6, v6, v7
	s_wait_dscnt 0x0
	v_add_f32_e32 v6, v6, v8
	s_delay_alu instid0(VALU_DEP_1) | instskip(NEXT) | instid1(VALU_DEP_1)
	v_add_f32_e32 v6, v6, v9
	v_mul_f32_e32 v7, v29, v6
	v_fmac_f32_e32 v31, v29, v6
	s_wait_alu 0xfffd
	s_delay_alu instid0(VALU_DEP_1)
	v_cndmask_b32_e32 v8, v7, v31, vcc_lo
	v_add_co_u32 v6, vcc_lo, v10, v0
	s_wait_alu 0xfffd
	v_add_co_ci_u32_e64 v7, null, v11, v1, vcc_lo
	flat_store_b32 v[6:7], v8
	s_branch .LBB143_2
.LBB143_38:                             ;   in Loop: Header=BB143_4 Depth=1
	ds_load_b64 v[6:7], v12
	s_mul_u64 s[44:45], s[14:15], s[12:13]
	s_wait_alu 0xfffe
	s_lshl_b64 s[44:45], s[44:45], 2
	s_wait_dscnt 0x0
	s_wait_alu 0xfffe
	v_add_co_u32 v6, vcc_lo, v6, s44
	s_wait_alu 0xfffd
	v_add_co_ci_u32_e64 v7, null, s45, v7, vcc_lo
	flat_load_b32 v29, v[6:7]
	s_cbranch_execnz .LBB143_6
.LBB143_39:                             ;   in Loop: Header=BB143_4 Depth=1
	s_wait_loadcnt_dscnt 0x0
	ds_load_b32 v29, v12
	s_and_b32 vcc_lo, exec_lo, s42
	s_mov_b32 s9, -1
                                        ; implicit-def: $vgpr30
	s_wait_alu 0xfffe
	s_cbranch_vccz .LBB143_7
.LBB143_40:                             ;   in Loop: Header=BB143_4 Depth=1
	ds_load_b64 v[6:7], v13
	s_mul_u64 s[44:45], s[22:23], s[12:13]
	s_wait_alu 0xfffe
	s_lshl_b64 s[44:45], s[44:45], 2
	s_wait_dscnt 0x0
	s_wait_alu 0xfffe
	v_add_co_u32 v6, vcc_lo, v6, s44
	s_wait_alu 0xfffd
	v_add_co_ci_u32_e64 v7, null, s45, v7, vcc_lo
	flat_load_b32 v30, v[6:7]
	s_cbranch_execz .LBB143_8
	s_branch .LBB143_9
.LBB143_41:                             ;   in Loop: Header=BB143_4 Depth=1
	ds_load_b32 v6, v17
	s_wait_dscnt 0x0
	ds_store_b32 v16, v6
	s_wait_alu 0xfffe
	s_or_b32 exec_lo, exec_lo, s9
	s_and_saveexec_b32 s9, s2
	s_cbranch_execz .LBB143_29
.LBB143_42:                             ;   in Loop: Header=BB143_4 Depth=1
	ds_load_b32 v6, v17 offset:16
	s_wait_dscnt 0x0
	ds_store_b32 v22, v6
	s_wait_alu 0xfffe
	s_or_b32 exec_lo, exec_lo, s9
	s_and_saveexec_b32 s9, s3
	s_cbranch_execz .LBB143_30
.LBB143_43:                             ;   in Loop: Header=BB143_4 Depth=1
	ds_load_b32 v6, v17 offset:32
	s_wait_dscnt 0x0
	ds_store_b32 v23, v6
	s_wait_alu 0xfffe
	s_or_b32 exec_lo, exec_lo, s9
	s_and_saveexec_b32 s9, s4
	s_cbranch_execz .LBB143_31
.LBB143_44:                             ;   in Loop: Header=BB143_4 Depth=1
	ds_load_b32 v6, v17 offset:48
	s_wait_dscnt 0x0
	ds_store_b32 v24, v6
	s_wait_alu 0xfffe
	s_or_b32 exec_lo, exec_lo, s9
	s_and_saveexec_b32 s9, s5
	s_cbranch_execz .LBB143_32
.LBB143_45:                             ;   in Loop: Header=BB143_4 Depth=1
	ds_load_b32 v6, v17 offset:64
	s_wait_dscnt 0x0
	ds_store_b32 v16, v6 offset:2048
	s_wait_alu 0xfffe
	s_or_b32 exec_lo, exec_lo, s9
	s_and_saveexec_b32 s9, s6
	s_cbranch_execz .LBB143_33
.LBB143_46:                             ;   in Loop: Header=BB143_4 Depth=1
	ds_load_b32 v6, v17 offset:80
	s_wait_dscnt 0x0
	ds_store_b32 v16, v6 offset:2560
	s_wait_alu 0xfffe
	s_or_b32 exec_lo, exec_lo, s9
	s_and_saveexec_b32 s9, s7
	s_cbranch_execz .LBB143_34
.LBB143_47:                             ;   in Loop: Header=BB143_4 Depth=1
	ds_load_b32 v6, v17 offset:96
	s_wait_dscnt 0x0
	ds_store_b32 v16, v6 offset:3072
	s_wait_alu 0xfffe
	s_or_b32 exec_lo, exec_lo, s9
	s_and_saveexec_b32 s9, s8
	s_cbranch_execnz .LBB143_35
	s_branch .LBB143_36
.LBB143_48:
	s_endpgm
	.section	.rodata,"a",@progbits
	.p2align	6, 0x0
	.amdhsa_kernel _ZL50rocblas_symv_kernel_lower_double_buffered_diagonalILi32ELi4E24rocblas_internal_val_ptrIfEPKPKfPKPfEvbiT1_lT2_lllSA_lllS9_lT3_llli
		.amdhsa_group_segment_fixed_size 7296
		.amdhsa_private_segment_fixed_size 0
		.amdhsa_kernarg_size 140
		.amdhsa_user_sgpr_count 4
		.amdhsa_user_sgpr_dispatch_ptr 1
		.amdhsa_user_sgpr_queue_ptr 0
		.amdhsa_user_sgpr_kernarg_segment_ptr 1
		.amdhsa_user_sgpr_dispatch_id 0
		.amdhsa_user_sgpr_private_segment_size 0
		.amdhsa_wavefront_size32 1
		.amdhsa_uses_dynamic_stack 0
		.amdhsa_enable_private_segment 0
		.amdhsa_system_sgpr_workgroup_id_x 1
		.amdhsa_system_sgpr_workgroup_id_y 0
		.amdhsa_system_sgpr_workgroup_id_z 1
		.amdhsa_system_sgpr_workgroup_info 0
		.amdhsa_system_vgpr_workitem_id 2
		.amdhsa_next_free_vgpr 42
		.amdhsa_next_free_sgpr 48
		.amdhsa_reserve_vcc 1
		.amdhsa_float_round_mode_32 0
		.amdhsa_float_round_mode_16_64 0
		.amdhsa_float_denorm_mode_32 3
		.amdhsa_float_denorm_mode_16_64 3
		.amdhsa_fp16_overflow 0
		.amdhsa_workgroup_processor_mode 1
		.amdhsa_memory_ordered 1
		.amdhsa_forward_progress 1
		.amdhsa_inst_pref_size 22
		.amdhsa_round_robin_scheduling 0
		.amdhsa_exception_fp_ieee_invalid_op 0
		.amdhsa_exception_fp_denorm_src 0
		.amdhsa_exception_fp_ieee_div_zero 0
		.amdhsa_exception_fp_ieee_overflow 0
		.amdhsa_exception_fp_ieee_underflow 0
		.amdhsa_exception_fp_ieee_inexact 0
		.amdhsa_exception_int_div_zero 0
	.end_amdhsa_kernel
	.section	.text._ZL50rocblas_symv_kernel_lower_double_buffered_diagonalILi32ELi4E24rocblas_internal_val_ptrIfEPKPKfPKPfEvbiT1_lT2_lllSA_lllS9_lT3_llli,"axG",@progbits,_ZL50rocblas_symv_kernel_lower_double_buffered_diagonalILi32ELi4E24rocblas_internal_val_ptrIfEPKPKfPKPfEvbiT1_lT2_lllSA_lllS9_lT3_llli,comdat
.Lfunc_end143:
	.size	_ZL50rocblas_symv_kernel_lower_double_buffered_diagonalILi32ELi4E24rocblas_internal_val_ptrIfEPKPKfPKPfEvbiT1_lT2_lllSA_lllS9_lT3_llli, .Lfunc_end143-_ZL50rocblas_symv_kernel_lower_double_buffered_diagonalILi32ELi4E24rocblas_internal_val_ptrIfEPKPKfPKPfEvbiT1_lT2_lllSA_lllS9_lT3_llli
                                        ; -- End function
	.set _ZL50rocblas_symv_kernel_lower_double_buffered_diagonalILi32ELi4E24rocblas_internal_val_ptrIfEPKPKfPKPfEvbiT1_lT2_lllSA_lllS9_lT3_llli.num_vgpr, 42
	.set _ZL50rocblas_symv_kernel_lower_double_buffered_diagonalILi32ELi4E24rocblas_internal_val_ptrIfEPKPKfPKPfEvbiT1_lT2_lllSA_lllS9_lT3_llli.num_agpr, 0
	.set _ZL50rocblas_symv_kernel_lower_double_buffered_diagonalILi32ELi4E24rocblas_internal_val_ptrIfEPKPKfPKPfEvbiT1_lT2_lllSA_lllS9_lT3_llli.numbered_sgpr, 48
	.set _ZL50rocblas_symv_kernel_lower_double_buffered_diagonalILi32ELi4E24rocblas_internal_val_ptrIfEPKPKfPKPfEvbiT1_lT2_lllSA_lllS9_lT3_llli.num_named_barrier, 0
	.set _ZL50rocblas_symv_kernel_lower_double_buffered_diagonalILi32ELi4E24rocblas_internal_val_ptrIfEPKPKfPKPfEvbiT1_lT2_lllSA_lllS9_lT3_llli.private_seg_size, 0
	.set _ZL50rocblas_symv_kernel_lower_double_buffered_diagonalILi32ELi4E24rocblas_internal_val_ptrIfEPKPKfPKPfEvbiT1_lT2_lllSA_lllS9_lT3_llli.uses_vcc, 1
	.set _ZL50rocblas_symv_kernel_lower_double_buffered_diagonalILi32ELi4E24rocblas_internal_val_ptrIfEPKPKfPKPfEvbiT1_lT2_lllSA_lllS9_lT3_llli.uses_flat_scratch, 1
	.set _ZL50rocblas_symv_kernel_lower_double_buffered_diagonalILi32ELi4E24rocblas_internal_val_ptrIfEPKPKfPKPfEvbiT1_lT2_lllSA_lllS9_lT3_llli.has_dyn_sized_stack, 0
	.set _ZL50rocblas_symv_kernel_lower_double_buffered_diagonalILi32ELi4E24rocblas_internal_val_ptrIfEPKPKfPKPfEvbiT1_lT2_lllSA_lllS9_lT3_llli.has_recursion, 0
	.set _ZL50rocblas_symv_kernel_lower_double_buffered_diagonalILi32ELi4E24rocblas_internal_val_ptrIfEPKPKfPKPfEvbiT1_lT2_lllSA_lllS9_lT3_llli.has_indirect_call, 0
	.section	.AMDGPU.csdata,"",@progbits
; Kernel info:
; codeLenInByte = 2692
; TotalNumSgprs: 50
; NumVgprs: 42
; ScratchSize: 0
; MemoryBound: 0
; FloatMode: 240
; IeeeMode: 1
; LDSByteSize: 7296 bytes/workgroup (compile time only)
; SGPRBlocks: 0
; VGPRBlocks: 5
; NumSGPRsForWavesPerEU: 50
; NumVGPRsForWavesPerEU: 42
; Occupancy: 16
; WaveLimiterHint : 1
; COMPUTE_PGM_RSRC2:SCRATCH_EN: 0
; COMPUTE_PGM_RSRC2:USER_SGPR: 4
; COMPUTE_PGM_RSRC2:TRAP_HANDLER: 0
; COMPUTE_PGM_RSRC2:TGID_X_EN: 1
; COMPUTE_PGM_RSRC2:TGID_Y_EN: 0
; COMPUTE_PGM_RSRC2:TGID_Z_EN: 1
; COMPUTE_PGM_RSRC2:TIDIG_COMP_CNT: 2
	.section	.text._ZL54rocblas_symv_kernel_lower_double_buffered_non_diagonalILi32ELi4ELi4E24rocblas_internal_val_ptrIfEPKPKfPKPfEvbiT2_lT3_lllSA_lllT4_llli,"axG",@progbits,_ZL54rocblas_symv_kernel_lower_double_buffered_non_diagonalILi32ELi4ELi4E24rocblas_internal_val_ptrIfEPKPKfPKPfEvbiT2_lT3_lllSA_lllT4_llli,comdat
	.globl	_ZL54rocblas_symv_kernel_lower_double_buffered_non_diagonalILi32ELi4ELi4E24rocblas_internal_val_ptrIfEPKPKfPKPfEvbiT2_lT3_lllSA_lllT4_llli ; -- Begin function _ZL54rocblas_symv_kernel_lower_double_buffered_non_diagonalILi32ELi4ELi4E24rocblas_internal_val_ptrIfEPKPKfPKPfEvbiT2_lT3_lllSA_lllT4_llli
	.p2align	8
	.type	_ZL54rocblas_symv_kernel_lower_double_buffered_non_diagonalILi32ELi4ELi4E24rocblas_internal_val_ptrIfEPKPKfPKPfEvbiT2_lT3_lllSA_lllT4_llli,@function
_ZL54rocblas_symv_kernel_lower_double_buffered_non_diagonalILi32ELi4ELi4E24rocblas_internal_val_ptrIfEPKPKfPKPfEvbiT2_lT3_lllSA_lllT4_llli: ; @_ZL54rocblas_symv_kernel_lower_double_buffered_non_diagonalILi32ELi4ELi4E24rocblas_internal_val_ptrIfEPKPKfPKPfEvbiT2_lT3_lllSA_lllT4_llli
; %bb.0:
	s_load_b64 s[12:13], s[0:1], 0x4
	s_clause 0x1
	s_load_b256 s[4:11], s[2:3], 0x8
	s_load_b32 s1, s[2:3], 0x78
	v_bfe_u32 v3, v0, 10, 10
	v_and_b32_e32 v2, 0x3ff, v0
	v_bfe_u32 v0, v0, 20, 10
	s_wait_kmcnt 0x0
	s_delay_alu instid0(VALU_DEP_3)
	v_mul_u32_u24_e32 v1, s13, v3
	s_lshr_b32 s0, s12, 16
	v_mov_b32_e32 v5, s5
	s_mul_i32 s0, s0, s13
	v_mov_b32_e32 v4, s4
	v_mad_u32_u24 v1, s0, v2, v1
	s_lshr_b32 s4, ttmp7, 16
	s_wait_alu 0xfffe
	s_cmp_ge_u32 s4, s1
	s_delay_alu instid0(VALU_DEP_1)
	v_add_lshl_u32 v0, v1, v0, 3
	ds_store_b64 v0, v[4:5] offset:3200
	s_cbranch_scc1 .LBB144_29
; %bb.1:
	s_clause 0x3
	s_load_b32 s0, s[2:3], 0x0
	s_load_b64 s[34:35], s[2:3], 0x28
	s_load_b64 s[20:21], s[2:3], 0x48
	s_load_b128 s[12:15], s[2:3], 0x38
	v_lshl_add_u32 v19, v3, 5, v2
	s_clause 0x1
	s_load_b64 s[22:23], s[2:3], 0x58
	s_load_b128 s[16:19], s[2:3], 0x60
	s_add_nc_u64 s[2:3], s[2:3], 0x80
	s_mov_b32 s5, 0
	v_mov_b32_e32 v1, 0
	v_lshrrev_b32_e32 v22, 4, v19
	s_delay_alu instid0(VALU_DEP_1)
	v_lshlrev_b32_e32 v12, 2, v22
	v_lshlrev_b32_e32 v51, 7, v22
	s_wait_kmcnt 0x0
	s_bitcmp1_b32 s0, 0
	s_add_nc_u64 s[24:25], s[34:35], 1
	v_mad_co_u64_u32 v[8:9], null, s20, v2, 0
	v_add_nc_u32_e32 v23, 0xc80, v0
	v_and_b32_e32 v0, 15, v2
	s_cselect_b32 s0, -1, 0
	v_mad_co_u64_u32 v[16:17], null, s18, v2, 0
	s_wait_alu 0xfffe
	s_xor_b32 s53, s0, -1
	v_mad_co_u64_u32 v[10:11], null, s34, v12, v[0:1]
	v_lshlrev_b32_e32 v20, 2, v2
	v_mov_b32_e32 v4, v9
	v_cmp_eq_u32_e64 s0, 0, v3
	s_lshl_b32 s30, ttmp9, 5
	s_lshl_b64 s[28:29], s[34:35], 2
	s_ashr_i32 s31, s30, 31
	v_dual_mov_b32 v5, v11 :: v_dual_add_nc_u32 v26, 0x800, v20
	s_mul_u64 s[38:39], s[24:25], s[30:31]
	s_mul_u64 s[36:37], s[20:21], s[30:31]
	;; [unrolled: 1-line block ×3, first 2 shown]
	s_delay_alu instid0(VALU_DEP_1)
	v_mad_co_u64_u32 v[6:7], null, s21, v2, v[4:5]
	v_or_b32_e32 v7, 16, v0
	s_lshl_b64 s[30:31], s[30:31], 2
	s_and_b32 s33, ttmp7, 0xffff
	s_not_b32 s52, ttmp9
	s_lshl_b32 s54, s33, 5
	v_mad_co_u64_u32 v[14:15], null, s20, v7, 0
	s_delay_alu instid0(VALU_DEP_3)
	v_mov_b32_e32 v9, v6
	v_mad_co_u64_u32 v[4:5], null, s35, v12, v[5:6]
	v_mad_co_u64_u32 v[12:13], null, s20, v0, 0
	v_add_nc_u32_e32 v24, 0xc00, v20
	v_mad_co_u64_u32 v[20:21], null, s34, v22, 0
	s_lshl_b64 s[24:25], s[20:21], 7
	v_dual_mov_b32 v11, v4 :: v_dual_mov_b32 v4, v15
	v_mov_b32_e32 v3, v13
	s_lshl_b64 s[26:27], s[18:19], 7
	s_lshl_b64 s[14:15], s[14:15], 2
	;; [unrolled: 1-line block ×4, first 2 shown]
	v_mad_co_u64_u32 v[5:6], null, s21, v0, v[3:4]
	v_lshlrev_b32_e32 v18, 2, v0
	s_lshl_b64 s[38:39], s[38:39], 2
	s_delay_alu instid0(VALU_DEP_2)
	v_mad_co_u64_u32 v[3:4], null, s21, v7, v[4:5]
	v_dual_mov_b32 v4, v17 :: v_dual_mov_b32 v13, v5
	v_add_nc_u32_e32 v7, 3, v2
	v_or_b32_e32 v44, s30, v18
	v_or_b32_e32 v50, 0x800, v18
	v_mov_b32_e32 v15, v3
	v_mad_co_u64_u32 v[4:5], null, s19, v2, v[4:5]
	v_add_nc_u32_e32 v3, 1, v2
	v_and_b32_e32 v6, 0xfff0, v19
	v_lshlrev_b32_e32 v5, 6, v2
	v_and_b32_e32 v7, 15, v7
	v_add_nc_u32_e32 v19, 4, v2
	v_and_b32_e32 v3, 15, v3
	v_dual_mov_b32 v17, v4 :: v_dual_add_nc_u32 v4, 2, v2
	s_delay_alu instid0(VALU_DEP_4) | instskip(SKIP_1) | instid1(VALU_DEP_4)
	v_lshl_or_b32 v30, v7, 2, v5
	v_add_nc_u32_e32 v7, 7, v2
	v_lshl_or_b32 v28, v3, 2, v5
	v_add_nc_u32_e32 v3, 5, v2
	v_and_b32_e32 v4, 15, v4
	v_and_b32_e32 v19, 15, v19
	;; [unrolled: 1-line block ×3, first 2 shown]
	v_add_nc_u32_e32 v25, 0xc00, v6
	v_and_b32_e32 v3, 15, v3
	v_lshl_or_b32 v29, v4, 2, v5
	v_add_nc_u32_e32 v4, 6, v2
	v_lshl_or_b32 v31, v19, 2, v5
	v_add_nc_u32_e32 v19, 10, v2
	;; [unrolled: 2-line block ×3, first 2 shown]
	v_and_b32_e32 v4, 15, v4
	v_or_b32_e32 v45, 12, v6
	v_and_b32_e32 v19, 15, v19
	v_or_b32_e32 v46, 4, v6
	v_and_b32_e32 v3, 15, v3
	v_lshl_or_b32 v33, v4, 2, v5
	v_xor_b32_e32 v4, 8, v0
	v_lshl_or_b32 v0, v7, 2, v5
	v_add_nc_u32_e32 v7, 11, v2
	v_lshl_or_b32 v35, v3, 2, v5
	v_add_nc_u32_e32 v3, 12, v2
	v_lshl_or_b32 v34, v4, 2, v5
	v_lshl_or_b32 v36, v19, 2, v5
	v_and_b32_e32 v4, 15, v7
	v_add_nc_u32_e32 v19, -1, v2
	v_add_nc_u32_e32 v7, 13, v2
	v_and_b32_e32 v3, 15, v3
	v_or_b32_e32 v27, v5, v18
	v_lshl_or_b32 v37, v4, 2, v5
	v_add_nc_u32_e32 v4, 14, v2
	v_dual_mov_b32 v2, v21 :: v_dual_and_b32 v19, 15, v19
	v_lshl_or_b32 v38, v3, 2, v5
	v_and_b32_e32 v7, 15, v7
	s_delay_alu instid0(VALU_DEP_4) | instskip(NEXT) | instid1(VALU_DEP_4)
	v_and_b32_e32 v4, 15, v4
	v_mad_co_u64_u32 v[2:3], null, s35, v22, v[2:3]
	v_lshlrev_b32_e32 v52, 8, v22
	v_lshl_or_b32 v41, v19, 2, v5
	v_mov_b32_e32 v19, v1
	v_or_b32_e32 v22, 8, v6
	v_lshl_or_b32 v39, v7, 2, v5
	v_lshl_or_b32 v40, v4, 2, v5
	v_mov_b32_e32 v21, v2
	v_mad_co_u64_u32 v[4:5], null, s34, v45, v[18:19]
	v_mad_co_u64_u32 v[2:3], null, s34, v22, v[18:19]
	;; [unrolled: 1-line block ×3, first 2 shown]
	s_delay_alu instid0(VALU_DEP_4)
	v_lshlrev_b64_e32 v[19:20], 4, v[20:21]
	v_add_co_u32 v42, s34, 0xc0, v44
	s_wait_alu 0xf1ff
	v_add_co_ci_u32_e64 v43, null, s31, 0, s34
	v_mad_co_u64_u32 v[21:22], null, s35, v22, v[3:4]
	v_mad_co_u64_u32 v[47:48], null, s35, v45, v[5:6]
	;; [unrolled: 1-line block ×3, first 2 shown]
	v_add_co_u32 v3, s34, 0x80, v44
	v_add_co_u32 v44, vcc_lo, v19, v18
	v_lshlrev_b64_e32 v[7:8], 2, v[8:9]
	v_lshlrev_b64_e32 v[9:10], 2, v[10:11]
	;; [unrolled: 1-line block ×5, first 2 shown]
	s_wait_alu 0xf1ff
	v_add_co_ci_u32_e64 v5, null, s31, 0, s34
	v_add_co_ci_u32_e64 v45, null, 0, v20, vcc_lo
	v_dual_mov_b32 v46, v21 :: v_dual_add_nc_u32 v49, v50, v51
	v_add_nc_u32_e32 v50, v18, v52
	s_lshl_b64 s[34:35], s[36:37], 2
	s_lshl_b64 s[36:37], s[40:41], 2
	s_branch .LBB144_3
.LBB144_2:                              ;   in Loop: Header=BB144_3 Depth=1
	s_or_b32 exec_lo, exec_lo, s55
	s_add_co_i32 s4, s4, 0x10000
	s_wait_alu 0xfffe
	s_cmp_lt_u32 s4, s1
	s_cbranch_scc0 .LBB144_29
.LBB144_3:                              ; =>This Loop Header: Depth=1
                                        ;     Child Loop BB144_17 Depth 2
	s_and_b32 vcc_lo, exec_lo, s53
	s_mov_b32 s40, -1
                                        ; implicit-def: $vgpr51
	s_wait_alu 0xfffe
	s_cbranch_vccz .LBB144_5
; %bb.4:                                ;   in Loop: Header=BB144_3 Depth=1
	s_wait_loadcnt 0x0
	ds_load_b64 v[17:18], v23
	s_mul_u64 s[40:41], s[6:7], s[4:5]
	s_wait_alu 0xfffe
	s_lshl_b64 s[40:41], s[40:41], 2
	s_wait_dscnt 0x0
	s_wait_alu 0xfffe
	v_add_co_u32 v17, vcc_lo, v17, s40
	s_wait_alu 0xfffd
	v_add_co_ci_u32_e64 v18, null, s41, v18, vcc_lo
	s_mov_b32 s40, 0
	flat_load_b32 v51, v[17:18]
.LBB144_5:                              ;   in Loop: Header=BB144_3 Depth=1
	s_wait_alu 0xfffe
	s_and_not1_b32 vcc_lo, exec_lo, s40
	s_wait_alu 0xfffe
	s_cbranch_vccnz .LBB144_7
; %bb.6:                                ;   in Loop: Header=BB144_3 Depth=1
	s_wait_loadcnt_dscnt 0x0
	ds_load_b32 v51, v23
.LBB144_7:                              ;   in Loop: Header=BB144_3 Depth=1
	s_mov_b32 s55, exec_lo
	s_wait_loadcnt_dscnt 0x0
	v_cmpx_neq_f32_e32 0, v51
	s_cbranch_execz .LBB144_2
; %bb.8:                                ;   in Loop: Header=BB144_3 Depth=1
	s_load_b64 s[40:41], s[2:3], 0x0
	s_wait_kmcnt 0x0
	s_add_co_i32 s42, s40, -1
	s_wait_alu 0xfffe
	s_cmp_eq_u32 ttmp9, s42
	s_cbranch_scc1 .LBB144_2
; %bb.9:                                ;   in Loop: Header=BB144_3 Depth=1
	s_lshl_b64 s[46:47], s[4:5], 3
	s_wait_alu 0xfffe
	s_add_nc_u64 s[42:43], s[12:13], s[46:47]
	global_load_b64 v[19:20], v1, s[42:43]
	s_add_nc_u64 s[42:43], s[8:9], s[46:47]
	global_load_b64 v[17:18], v1, s[42:43]
	s_wait_loadcnt 0x1
	v_readfirstlane_b32 s42, v19
	v_readfirstlane_b32 s43, v20
	s_wait_alu 0xfffe
	s_add_nc_u64 s[42:43], s[42:43], s[14:15]
	s_wait_alu 0xfffe
	s_add_nc_u64 s[44:45], s[42:43], s[34:35]
	s_and_saveexec_b32 s48, s0
	s_cbranch_execz .LBB144_11
; %bb.10:                               ;   in Loop: Header=BB144_3 Depth=1
	s_wait_alu 0xfffe
	v_add_co_u32 v19, vcc_lo, s44, v7
	s_wait_alu 0xfffd
	v_add_co_ci_u32_e64 v20, null, s45, v8, vcc_lo
	flat_load_b32 v19, v[19:20]
	s_wait_loadcnt_dscnt 0x0
	ds_store_b32 v24, v19
.LBB144_11:                             ;   in Loop: Header=BB144_3 Depth=1
	s_wait_alu 0xfffe
	s_or_b32 exec_lo, exec_lo, s48
	s_cvt_f32_u32 s48, s41
	s_sub_co_i32 s49, 0, s41
	s_add_nc_u64 s[46:47], s[22:23], s[46:47]
	s_add_co_i32 s40, s40, s52
	s_wait_alu 0xfffe
	v_rcp_iflag_f32_e32 v19, s48
	s_load_b64 s[46:47], s[46:47], 0x0
	s_delay_alu instid0(TRANS32_DEP_1) | instskip(SKIP_2) | instid1(SALU_CYCLE_2)
	v_readfirstlane_b32 s48, v19
	s_mul_f32 s48, s48, 0x4f7ffffe
	s_wait_alu 0xfffe
	s_cvt_u32_f32 s48, s48
	s_wait_alu 0xfffe
	s_delay_alu instid0(SALU_CYCLE_2)
	s_mul_i32 s49, s49, s48
	s_wait_alu 0xfffe
	s_mul_hi_u32 s49, s48, s49
	s_wait_alu 0xfffe
	s_add_co_i32 s48, s48, s49
	s_wait_alu 0xfffe
	s_mul_hi_u32 s48, s40, s48
	s_wait_alu 0xfffe
	s_mul_i32 s49, s48, s41
	s_add_co_i32 s50, s48, 1
	s_wait_alu 0xfffe
	s_sub_co_i32 s49, s40, s49
	s_wait_alu 0xfffe
	s_sub_co_i32 s51, s49, s41
	s_cmp_ge_u32 s49, s41
	s_cselect_b32 s48, s50, s48
	s_wait_alu 0xfffe
	s_cselect_b32 s49, s51, s49
	s_add_co_i32 s50, s48, 1
	s_wait_alu 0xfffe
	s_cmp_ge_u32 s49, s41
	s_cselect_b32 s48, s50, s48
	s_add_co_i32 s49, s41, -1
	s_wait_alu 0xfffe
	s_mov_b32 s56, s48
	s_cmp_lg_u32 s33, s49
	s_cbranch_scc1 .LBB144_13
; %bb.12:                               ;   in Loop: Header=BB144_3 Depth=1
	s_mul_i32 s41, s48, s41
	s_wait_alu 0xfffe
	s_sub_co_i32 s40, s40, s41
	s_wait_alu 0xfffe
	s_add_co_i32 s56, s40, s48
.LBB144_13:                             ;   in Loop: Header=BB144_3 Depth=1
	s_delay_alu instid0(SALU_CYCLE_1)
	s_cmp_eq_u32 s56, 0
	s_cbranch_scc1 .LBB144_2
; %bb.14:                               ;   in Loop: Header=BB144_3 Depth=1
	s_wait_kmcnt 0x0
	s_add_nc_u64 s[40:41], s[46:47], s[16:17]
	s_cmp_lt_i32 s56, 1
	s_wait_alu 0xfffe
	s_add_nc_u64 s[40:41], s[40:41], s[36:37]
	s_wait_loadcnt_dscnt 0x0
	s_barrier_signal -1
	s_barrier_wait -1
	global_inv scope:SCOPE_SE
	s_cbranch_scc1 .LBB144_21
; %bb.15:                               ;   in Loop: Header=BB144_3 Depth=1
	v_add_co_u32 v17, vcc_lo, v17, s10
	s_wait_alu 0xfffd
	v_add_co_ci_u32_e64 v18, null, s11, v18, vcc_lo
	s_mul_i32 s48, s54, s48
	v_add_co_u32 v17, vcc_lo, v17, s38
	s_wait_alu 0xfffe
	s_ashr_i32 s49, s48, 31
	s_wait_alu 0xfffd
	v_add_co_ci_u32_e64 v18, null, s39, v18, vcc_lo
	s_wait_alu 0xfffe
	s_lshl_b64 s[46:47], s[48:49], 2
	s_mul_u64 s[50:51], s[18:19], s[48:49]
	s_wait_alu 0xfffe
	v_add_co_u32 v60, vcc_lo, v17, s46
	s_wait_alu 0xfffd
	v_add_co_ci_u32_e64 v61, null, s47, v18, vcc_lo
	s_lshl_b64 s[50:51], s[50:51], 2
	v_add_co_u32 v17, vcc_lo, v60, v9
	s_wait_alu 0xfffd
	v_add_co_ci_u32_e64 v18, null, v61, v10, vcc_lo
	s_wait_alu 0xfffe
	s_add_nc_u64 s[50:51], s[40:41], s[50:51]
	v_add_co_u32 v19, vcc_lo, v17, s28
	s_wait_alu 0xfffd
	v_add_co_ci_u32_e64 v20, null, s29, v18, vcc_lo
	s_cmp_eq_u32 s56, 1
	v_add_co_u32 v21, vcc_lo, v19, s28
	s_wait_alu 0xfffd
	v_add_co_ci_u32_e64 v22, null, s29, v20, vcc_lo
	s_delay_alu instid0(VALU_DEP_2) | instskip(SKIP_1) | instid1(VALU_DEP_2)
	v_add_co_u32 v52, vcc_lo, v21, s28
	s_wait_alu 0xfffd
	v_add_co_ci_u32_e64 v53, null, s29, v22, vcc_lo
	s_clause 0x3
	flat_load_b32 v59, v[17:18] offset:128
	flat_load_b32 v58, v[19:20] offset:128
	;; [unrolled: 1-line block ×4, first 2 shown]
	s_cbranch_scc1 .LBB144_22
; %bb.16:                               ;   in Loop: Header=BB144_3 Depth=1
	v_add_co_u32 v17, vcc_lo, v42, s46
	s_wait_alu 0xfffd
	v_add_co_ci_u32_e64 v18, null, s47, v43, vcc_lo
	v_add_co_u32 v21, vcc_lo, v3, s46
	s_wait_alu 0xfffd
	v_add_co_ci_u32_e64 v22, null, s47, v5, vcc_lo
	v_mul_lo_u32 v52, s21, v17
	v_mul_lo_u32 v18, s20, v18
	v_mad_co_u64_u32 v[19:20], null, s20, v17, 0
	v_mul_lo_u32 v17, s21, v21
	v_mul_lo_u32 v53, s20, v22
	v_mad_co_u64_u32 v[21:22], null, s20, v21, 0
	v_dual_mov_b32 v55, 0 :: v_dual_mov_b32 v54, 0
	v_add3_u32 v20, v20, v18, v52
	v_mov_b32_e32 v52, 0
	s_add_nc_u64 s[44:45], s[30:31], s[46:47]
	s_add_co_i32 s46, s56, -1
	s_delay_alu instid0(VALU_DEP_4)
	v_add3_u32 v22, v22, v53, v17
	s_wait_alu 0xfffe
	v_mov_b32_e32 v17, s50
	v_dual_mov_b32 v53, 0 :: v_dual_mov_b32 v18, s51
	s_mul_u64 s[44:45], s[20:21], s[44:45]
.LBB144_17:                             ;   Parent Loop BB144_3 Depth=1
                                        ; =>  This Inner Loop Header: Depth=2
	v_add_co_u32 v72, vcc_lo, v60, v44
	s_wait_alu 0xfffd
	v_add_co_ci_u32_e64 v73, null, v61, v45, vcc_lo
	v_add_co_u32 v64, vcc_lo, v60, v6
	s_wait_alu 0xfffd
	v_add_co_ci_u32_e64 v65, null, v61, v48, vcc_lo
	;; [unrolled: 3-line block ×3, first 2 shown]
	s_clause 0x2
	flat_load_b32 v67, v[72:73] offset:192
	flat_load_b32 v66, v[64:65] offset:192
	;; [unrolled: 1-line block ×3, first 2 shown]
	v_add_co_u32 v62, vcc_lo, v60, v4
	s_wait_alu 0xfffd
	v_add_co_ci_u32_e64 v63, null, v61, v47, vcc_lo
	v_add_co_u32 v70, vcc_lo, s42, v21
	s_wait_alu 0xfffd
	v_add_co_ci_u32_e64 v71, null, s43, v22, vcc_lo
	;; [unrolled: 3-line block ×3, first 2 shown]
	flat_load_b32 v69, v[62:63] offset:192
	s_clause 0x1
	flat_load_b32 v71, v[70:71]
	flat_load_b32 v70, v[76:77]
	s_clause 0x3
	flat_load_b32 v62, v[62:63] offset:256
	flat_load_b32 v63, v[74:75] offset:256
	;; [unrolled: 1-line block ×4, first 2 shown]
	ds_load_b128 v[72:75], v25
	s_wait_loadcnt_dscnt 0x0
	s_barrier_signal -1
	s_barrier_wait -1
	global_inv scope:SCOPE_SE
	v_fma_f32 v76, v59, v72, 0
	s_delay_alu instid0(VALU_DEP_1) | instskip(NEXT) | instid1(VALU_DEP_1)
	v_fmac_f32_e32 v76, v58, v73
	v_fmac_f32_e32 v76, v57, v74
	s_delay_alu instid0(VALU_DEP_1) | instskip(SKIP_1) | instid1(VALU_DEP_1)
	v_fmac_f32_e32 v76, v56, v75
	v_fma_f32 v72, v67, v72, 0
	v_fmac_f32_e32 v72, v66, v73
	s_delay_alu instid0(VALU_DEP_1) | instskip(NEXT) | instid1(VALU_DEP_1)
	v_fmac_f32_e32 v72, v68, v74
	v_fmac_f32_e32 v72, v69, v75
	ds_store_2addr_b32 v49, v76, v72 offset1:16
	s_wait_loadcnt_dscnt 0x0
	s_barrier_signal -1
	s_barrier_wait -1
	global_inv scope:SCOPE_SE
	s_and_saveexec_b32 s47, s0
	s_cbranch_execz .LBB144_19
; %bb.18:                               ;   in Loop: Header=BB144_17 Depth=2
	ds_load_2addr_b32 v[72:73], v26 offset1:32
	ds_load_2addr_b32 v[74:75], v26 offset0:64 offset1:96
	ds_load_2addr_b32 v[76:77], v26 offset0:128 offset1:160
	v_add_co_u32 v17, vcc_lo, v17, s26
	s_wait_alu 0xfffd
	v_add_co_ci_u32_e64 v18, null, s27, v18, vcc_lo
	s_wait_dscnt 0x2
	v_add_f32_e32 v72, 0, v72
	s_delay_alu instid0(VALU_DEP_1) | instskip(SKIP_1) | instid1(VALU_DEP_1)
	v_add_f32_e32 v72, v72, v73
	s_wait_dscnt 0x1
	v_add_f32_e32 v74, v72, v74
	ds_load_2addr_b32 v[72:73], v26 offset0:192 offset1:224
	v_add_f32_e32 v74, v74, v75
	s_wait_dscnt 0x1
	s_delay_alu instid0(VALU_DEP_1) | instskip(NEXT) | instid1(VALU_DEP_1)
	v_add_f32_e32 v74, v74, v76
	v_add_f32_e32 v74, v74, v77
	s_wait_dscnt 0x0
	s_delay_alu instid0(VALU_DEP_1) | instskip(NEXT) | instid1(VALU_DEP_1)
	v_add_f32_e32 v72, v74, v72
	v_add_f32_e32 v74, v72, v73
	v_add_co_u32 v72, vcc_lo, v17, v15
	s_wait_alu 0xfffd
	v_add_co_ci_u32_e64 v73, null, v18, v16, vcc_lo
	s_delay_alu instid0(VALU_DEP_3)
	v_mul_f32_e32 v74, v51, v74
	flat_atomic_add_f32 v[72:73], v74 scope:SCOPE_DEV
.LBB144_19:                             ;   in Loop: Header=BB144_17 Depth=2
	s_wait_alu 0xfffe
	s_or_b32 exec_lo, exec_lo, s47
	v_fmac_f32_e32 v54, v71, v57
	v_fmac_f32_e32 v53, v71, v59
	v_fmac_f32_e32 v52, v71, v56
	v_fmac_f32_e32 v55, v71, v58
	v_add_co_u32 v60, vcc_lo, 0x80, v60
	v_fmac_f32_e32 v54, v70, v68
	v_fmac_f32_e32 v53, v70, v67
	;; [unrolled: 1-line block ×4, first 2 shown]
	s_wait_alu 0xfffd
	v_add_co_ci_u32_e64 v61, null, 0, v61, vcc_lo
	s_add_co_i32 s46, s46, -1
	s_add_nc_u64 s[42:43], s[42:43], s[24:25]
	s_wait_alu 0xfffe
	s_cmp_eq_u32 s46, 0
	s_cbranch_scc1 .LBB144_23
; %bb.20:                               ;   in Loop: Header=BB144_17 Depth=2
	v_dual_mov_b32 v59, v65 :: v_dual_mov_b32 v58, v64
	v_dual_mov_b32 v57, v63 :: v_dual_mov_b32 v56, v62
	s_branch .LBB144_17
.LBB144_21:                             ;   in Loop: Header=BB144_3 Depth=1
	v_dual_mov_b32 v52, 0 :: v_dual_mov_b32 v55, 0
	v_dual_mov_b32 v54, 0 :: v_dual_mov_b32 v53, 0
	s_branch .LBB144_27
.LBB144_22:                             ;   in Loop: Header=BB144_3 Depth=1
	s_mul_u64 s[42:43], s[20:21], s[48:49]
	s_wait_alu 0xfffe
	v_dual_mov_b32 v17, s50 :: v_dual_mov_b32 v18, s51
	v_dual_mov_b32 v52, 0 :: v_dual_mov_b32 v55, 0
	;; [unrolled: 1-line block ×3, first 2 shown]
	s_lshl_b64 s[42:43], s[42:43], 2
	s_wait_alu 0xfffe
	s_add_nc_u64 s[42:43], s[44:45], s[42:43]
	s_branch .LBB144_24
.LBB144_23:                             ;   in Loop: Header=BB144_3 Depth=1
	v_dual_mov_b32 v56, v62 :: v_dual_mov_b32 v57, v63
	v_dual_mov_b32 v58, v64 :: v_dual_mov_b32 v59, v65
	s_add_nc_u64 s[42:43], s[42:43], s[44:45]
.LBB144_24:                             ;   in Loop: Header=BB144_3 Depth=1
	v_add_co_u32 v19, vcc_lo, v60, v9
	s_wait_alu 0xfffd
	v_add_co_ci_u32_e64 v20, null, v61, v10, vcc_lo
	s_wait_alu 0xfffe
	s_add_nc_u64 s[42:43], s[42:43], s[24:25]
	v_add_co_u32 v21, vcc_lo, v19, s28
	s_wait_alu 0xfffd
	v_add_co_ci_u32_e64 v22, null, s29, v20, vcc_lo
	flat_load_b32 v19, v[19:20] offset:192
	v_add_co_u32 v60, vcc_lo, v21, s28
	s_wait_alu 0xfffd
	v_add_co_ci_u32_e64 v61, null, s29, v22, vcc_lo
	flat_load_b32 v20, v[21:22] offset:192
	v_add_co_u32 v62, vcc_lo, v60, s28
	s_wait_alu 0xfffd
	v_add_co_ci_u32_e64 v63, null, s29, v61, vcc_lo
	s_clause 0x1
	flat_load_b32 v21, v[60:61] offset:192
	flat_load_b32 v22, v[62:63] offset:192
	s_wait_alu 0xfffe
	v_add_co_u32 v60, vcc_lo, s42, v11
	s_wait_alu 0xfffd
	v_add_co_ci_u32_e64 v61, null, s43, v12, vcc_lo
	v_add_co_u32 v62, vcc_lo, s42, v13
	s_wait_alu 0xfffd
	v_add_co_ci_u32_e64 v63, null, s43, v14, vcc_lo
	s_clause 0x1
	flat_load_b32 v61, v[60:61]
	flat_load_b32 v60, v[62:63]
	ds_load_b128 v[62:65], v25
	s_wait_storecnt 0x0
	s_wait_loadcnt_dscnt 0x0
	s_barrier_signal -1
	s_barrier_wait -1
	global_inv scope:SCOPE_SE
	v_fma_f32 v66, v59, v62, 0
	s_delay_alu instid0(VALU_DEP_1) | instskip(NEXT) | instid1(VALU_DEP_1)
	v_fmac_f32_e32 v66, v58, v63
	v_fmac_f32_e32 v66, v57, v64
	s_delay_alu instid0(VALU_DEP_1) | instskip(SKIP_1) | instid1(VALU_DEP_1)
	v_fmac_f32_e32 v66, v56, v65
	v_fma_f32 v62, v19, v62, 0
	v_fmac_f32_e32 v62, v20, v63
	s_delay_alu instid0(VALU_DEP_1) | instskip(NEXT) | instid1(VALU_DEP_1)
	v_fmac_f32_e32 v62, v21, v64
	v_fmac_f32_e32 v62, v22, v65
	ds_store_2addr_b32 v49, v66, v62 offset1:16
	s_wait_loadcnt_dscnt 0x0
	s_barrier_signal -1
	s_barrier_wait -1
	global_inv scope:SCOPE_SE
	s_and_saveexec_b32 s42, s0
	s_cbranch_execz .LBB144_26
; %bb.25:                               ;   in Loop: Header=BB144_3 Depth=1
	ds_load_2addr_b32 v[62:63], v26 offset1:32
	ds_load_2addr_b32 v[64:65], v26 offset0:64 offset1:96
	ds_load_2addr_b32 v[66:67], v26 offset0:128 offset1:160
	v_add_co_u32 v17, vcc_lo, v17, s26
	s_wait_alu 0xfffd
	v_add_co_ci_u32_e64 v18, null, s27, v18, vcc_lo
	s_delay_alu instid0(VALU_DEP_2) | instskip(SKIP_1) | instid1(VALU_DEP_2)
	v_add_co_u32 v17, vcc_lo, v17, v15
	s_wait_alu 0xfffd
	v_add_co_ci_u32_e64 v18, null, v18, v16, vcc_lo
	s_wait_dscnt 0x2
	v_add_f32_e32 v62, 0, v62
	s_delay_alu instid0(VALU_DEP_1) | instskip(SKIP_1) | instid1(VALU_DEP_1)
	v_add_f32_e32 v62, v62, v63
	s_wait_dscnt 0x1
	v_add_f32_e32 v64, v62, v64
	ds_load_2addr_b32 v[62:63], v26 offset0:192 offset1:224
	v_add_f32_e32 v64, v64, v65
	s_wait_dscnt 0x1
	s_delay_alu instid0(VALU_DEP_1) | instskip(NEXT) | instid1(VALU_DEP_1)
	v_add_f32_e32 v64, v64, v66
	v_add_f32_e32 v64, v64, v67
	s_wait_dscnt 0x0
	s_delay_alu instid0(VALU_DEP_1) | instskip(NEXT) | instid1(VALU_DEP_1)
	v_add_f32_e32 v62, v64, v62
	v_add_f32_e32 v62, v62, v63
	s_delay_alu instid0(VALU_DEP_1)
	v_mul_f32_e32 v62, v51, v62
	flat_atomic_add_f32 v[17:18], v62 scope:SCOPE_DEV
.LBB144_26:                             ;   in Loop: Header=BB144_3 Depth=1
	s_wait_alu 0xfffe
	s_or_b32 exec_lo, exec_lo, s42
	v_fmac_f32_e32 v55, v61, v58
	v_fmac_f32_e32 v54, v61, v57
	v_fmac_f32_e32 v53, v61, v59
	v_fmac_f32_e32 v52, v61, v56
	s_delay_alu instid0(VALU_DEP_4) | instskip(NEXT) | instid1(VALU_DEP_4)
	v_fmac_f32_e32 v55, v60, v20
	v_fmac_f32_e32 v54, v60, v21
	s_delay_alu instid0(VALU_DEP_4) | instskip(NEXT) | instid1(VALU_DEP_4)
	v_fmac_f32_e32 v53, v60, v19
	v_fmac_f32_e32 v52, v60, v22
.LBB144_27:                             ;   in Loop: Header=BB144_3 Depth=1
	ds_store_2addr_b32 v50, v53, v55 offset1:16
	ds_store_2addr_b32 v50, v54, v52 offset0:32 offset1:48
	s_wait_storecnt 0x0
	s_wait_loadcnt_dscnt 0x0
	s_barrier_signal -1
	s_barrier_wait -1
	global_inv scope:SCOPE_SE
	s_and_b32 exec_lo, exec_lo, s0
	s_cbranch_execz .LBB144_2
; %bb.28:                               ;   in Loop: Header=BB144_3 Depth=1
	ds_load_b32 v17, v27
	ds_load_b32 v18, v28
	;; [unrolled: 1-line block ×8, first 2 shown]
	s_wait_dscnt 0x7
	v_add_f32_e32 v17, 0, v17
	s_wait_dscnt 0x6
	s_delay_alu instid0(VALU_DEP_1)
	v_add_f32_e32 v17, v17, v18
	ds_load_b32 v18, v34
	s_wait_dscnt 0x6
	v_add_f32_e32 v17, v17, v19
	ds_load_b32 v19, v35
	s_wait_dscnt 0x6
	;; [unrolled: 3-line block ×3, first 2 shown]
	v_add_f32_e32 v17, v17, v21
	s_wait_dscnt 0x5
	s_delay_alu instid0(VALU_DEP_1) | instskip(SKIP_1) | instid1(VALU_DEP_1)
	v_add_f32_e32 v17, v17, v22
	s_wait_dscnt 0x4
	v_add_f32_e32 v17, v17, v52
	s_wait_dscnt 0x3
	s_delay_alu instid0(VALU_DEP_1)
	v_add_f32_e32 v17, v17, v53
	ds_load_b32 v21, v37
	ds_load_b32 v22, v38
	;; [unrolled: 1-line block ×5, first 2 shown]
	s_wait_dscnt 0x7
	v_add_f32_e32 v17, v17, v18
	s_wait_dscnt 0x6
	s_delay_alu instid0(VALU_DEP_1) | instskip(SKIP_1) | instid1(VALU_DEP_1)
	v_add_f32_e32 v17, v17, v19
	s_wait_dscnt 0x5
	v_add_f32_e32 v17, v17, v20
	s_wait_dscnt 0x4
	s_delay_alu instid0(VALU_DEP_1) | instskip(SKIP_1) | instid1(VALU_DEP_1)
	v_add_f32_e32 v17, v17, v21
	;; [unrolled: 5-line block ×3, first 2 shown]
	s_wait_dscnt 0x1
	v_add_f32_e32 v17, v17, v53
	s_wait_dscnt 0x0
	s_delay_alu instid0(VALU_DEP_1)
	v_add_f32_e32 v19, v17, v54
	s_wait_alu 0xfffe
	v_add_co_u32 v17, vcc_lo, s40, v15
	s_wait_alu 0xfffd
	v_add_co_ci_u32_e64 v18, null, s41, v16, vcc_lo
	v_mul_f32_e32 v19, v51, v19
	flat_atomic_add_f32 v[17:18], v19 scope:SCOPE_DEV
	s_branch .LBB144_2
.LBB144_29:
	s_endpgm
	.section	.rodata,"a",@progbits
	.p2align	6, 0x0
	.amdhsa_kernel _ZL54rocblas_symv_kernel_lower_double_buffered_non_diagonalILi32ELi4ELi4E24rocblas_internal_val_ptrIfEPKPKfPKPfEvbiT2_lT3_lllSA_lllT4_llli
		.amdhsa_group_segment_fixed_size 4224
		.amdhsa_private_segment_fixed_size 0
		.amdhsa_kernarg_size 384
		.amdhsa_user_sgpr_count 4
		.amdhsa_user_sgpr_dispatch_ptr 1
		.amdhsa_user_sgpr_queue_ptr 0
		.amdhsa_user_sgpr_kernarg_segment_ptr 1
		.amdhsa_user_sgpr_dispatch_id 0
		.amdhsa_user_sgpr_private_segment_size 0
		.amdhsa_wavefront_size32 1
		.amdhsa_uses_dynamic_stack 0
		.amdhsa_enable_private_segment 0
		.amdhsa_system_sgpr_workgroup_id_x 1
		.amdhsa_system_sgpr_workgroup_id_y 1
		.amdhsa_system_sgpr_workgroup_id_z 1
		.amdhsa_system_sgpr_workgroup_info 0
		.amdhsa_system_vgpr_workitem_id 2
		.amdhsa_next_free_vgpr 78
		.amdhsa_next_free_sgpr 57
		.amdhsa_reserve_vcc 1
		.amdhsa_float_round_mode_32 0
		.amdhsa_float_round_mode_16_64 0
		.amdhsa_float_denorm_mode_32 3
		.amdhsa_float_denorm_mode_16_64 3
		.amdhsa_fp16_overflow 0
		.amdhsa_workgroup_processor_mode 1
		.amdhsa_memory_ordered 1
		.amdhsa_forward_progress 1
		.amdhsa_inst_pref_size 28
		.amdhsa_round_robin_scheduling 0
		.amdhsa_exception_fp_ieee_invalid_op 0
		.amdhsa_exception_fp_denorm_src 0
		.amdhsa_exception_fp_ieee_div_zero 0
		.amdhsa_exception_fp_ieee_overflow 0
		.amdhsa_exception_fp_ieee_underflow 0
		.amdhsa_exception_fp_ieee_inexact 0
		.amdhsa_exception_int_div_zero 0
	.end_amdhsa_kernel
	.section	.text._ZL54rocblas_symv_kernel_lower_double_buffered_non_diagonalILi32ELi4ELi4E24rocblas_internal_val_ptrIfEPKPKfPKPfEvbiT2_lT3_lllSA_lllT4_llli,"axG",@progbits,_ZL54rocblas_symv_kernel_lower_double_buffered_non_diagonalILi32ELi4ELi4E24rocblas_internal_val_ptrIfEPKPKfPKPfEvbiT2_lT3_lllSA_lllT4_llli,comdat
.Lfunc_end144:
	.size	_ZL54rocblas_symv_kernel_lower_double_buffered_non_diagonalILi32ELi4ELi4E24rocblas_internal_val_ptrIfEPKPKfPKPfEvbiT2_lT3_lllSA_lllT4_llli, .Lfunc_end144-_ZL54rocblas_symv_kernel_lower_double_buffered_non_diagonalILi32ELi4ELi4E24rocblas_internal_val_ptrIfEPKPKfPKPfEvbiT2_lT3_lllSA_lllT4_llli
                                        ; -- End function
	.set _ZL54rocblas_symv_kernel_lower_double_buffered_non_diagonalILi32ELi4ELi4E24rocblas_internal_val_ptrIfEPKPKfPKPfEvbiT2_lT3_lllSA_lllT4_llli.num_vgpr, 78
	.set _ZL54rocblas_symv_kernel_lower_double_buffered_non_diagonalILi32ELi4ELi4E24rocblas_internal_val_ptrIfEPKPKfPKPfEvbiT2_lT3_lllSA_lllT4_llli.num_agpr, 0
	.set _ZL54rocblas_symv_kernel_lower_double_buffered_non_diagonalILi32ELi4ELi4E24rocblas_internal_val_ptrIfEPKPKfPKPfEvbiT2_lT3_lllSA_lllT4_llli.numbered_sgpr, 57
	.set _ZL54rocblas_symv_kernel_lower_double_buffered_non_diagonalILi32ELi4ELi4E24rocblas_internal_val_ptrIfEPKPKfPKPfEvbiT2_lT3_lllSA_lllT4_llli.num_named_barrier, 0
	.set _ZL54rocblas_symv_kernel_lower_double_buffered_non_diagonalILi32ELi4ELi4E24rocblas_internal_val_ptrIfEPKPKfPKPfEvbiT2_lT3_lllSA_lllT4_llli.private_seg_size, 0
	.set _ZL54rocblas_symv_kernel_lower_double_buffered_non_diagonalILi32ELi4ELi4E24rocblas_internal_val_ptrIfEPKPKfPKPfEvbiT2_lT3_lllSA_lllT4_llli.uses_vcc, 1
	.set _ZL54rocblas_symv_kernel_lower_double_buffered_non_diagonalILi32ELi4ELi4E24rocblas_internal_val_ptrIfEPKPKfPKPfEvbiT2_lT3_lllSA_lllT4_llli.uses_flat_scratch, 1
	.set _ZL54rocblas_symv_kernel_lower_double_buffered_non_diagonalILi32ELi4ELi4E24rocblas_internal_val_ptrIfEPKPKfPKPfEvbiT2_lT3_lllSA_lllT4_llli.has_dyn_sized_stack, 0
	.set _ZL54rocblas_symv_kernel_lower_double_buffered_non_diagonalILi32ELi4ELi4E24rocblas_internal_val_ptrIfEPKPKfPKPfEvbiT2_lT3_lllSA_lllT4_llli.has_recursion, 0
	.set _ZL54rocblas_symv_kernel_lower_double_buffered_non_diagonalILi32ELi4ELi4E24rocblas_internal_val_ptrIfEPKPKfPKPfEvbiT2_lT3_lllSA_lllT4_llli.has_indirect_call, 0
	.section	.AMDGPU.csdata,"",@progbits
; Kernel info:
; codeLenInByte = 3584
; TotalNumSgprs: 59
; NumVgprs: 78
; ScratchSize: 0
; MemoryBound: 0
; FloatMode: 240
; IeeeMode: 1
; LDSByteSize: 4224 bytes/workgroup (compile time only)
; SGPRBlocks: 0
; VGPRBlocks: 9
; NumSGPRsForWavesPerEU: 59
; NumVGPRsForWavesPerEU: 78
; Occupancy: 16
; WaveLimiterHint : 1
; COMPUTE_PGM_RSRC2:SCRATCH_EN: 0
; COMPUTE_PGM_RSRC2:USER_SGPR: 4
; COMPUTE_PGM_RSRC2:TRAP_HANDLER: 0
; COMPUTE_PGM_RSRC2:TGID_X_EN: 1
; COMPUTE_PGM_RSRC2:TGID_Y_EN: 1
; COMPUTE_PGM_RSRC2:TGID_Z_EN: 1
; COMPUTE_PGM_RSRC2:TIDIG_COMP_CNT: 2
	.section	.text._ZL58rocblas_symv_kernel_lower_double_buffered_diagonal_genericILi32ELi4E24rocblas_internal_val_ptrIfEPKPKfPKPfEvbiT1_lT2_lllSA_lllS9_lT3_lllii,"axG",@progbits,_ZL58rocblas_symv_kernel_lower_double_buffered_diagonal_genericILi32ELi4E24rocblas_internal_val_ptrIfEPKPKfPKPfEvbiT1_lT2_lllSA_lllS9_lT3_lllii,comdat
	.globl	_ZL58rocblas_symv_kernel_lower_double_buffered_diagonal_genericILi32ELi4E24rocblas_internal_val_ptrIfEPKPKfPKPfEvbiT1_lT2_lllSA_lllS9_lT3_lllii ; -- Begin function _ZL58rocblas_symv_kernel_lower_double_buffered_diagonal_genericILi32ELi4E24rocblas_internal_val_ptrIfEPKPKfPKPfEvbiT1_lT2_lllSA_lllS9_lT3_lllii
	.p2align	8
	.type	_ZL58rocblas_symv_kernel_lower_double_buffered_diagonal_genericILi32ELi4E24rocblas_internal_val_ptrIfEPKPKfPKPfEvbiT1_lT2_lllSA_lllS9_lT3_lllii,@function
_ZL58rocblas_symv_kernel_lower_double_buffered_diagonal_genericILi32ELi4E24rocblas_internal_val_ptrIfEPKPKfPKPfEvbiT1_lT2_lllSA_lllS9_lT3_lllii: ; @_ZL58rocblas_symv_kernel_lower_double_buffered_diagonal_genericILi32ELi4E24rocblas_internal_val_ptrIfEPKPKfPKPfEvbiT1_lT2_lllSA_lllS9_lT3_lllii
; %bb.0:
	s_load_b64 s[0:1], s[0:1], 0x4
	s_clause 0x1
	s_load_b256 s[12:19], s[2:3], 0x8
	s_load_b128 s[20:23], s[2:3], 0x58
	v_bfe_u32 v1, v0, 10, 10
	s_load_b64 s[34:35], s[2:3], 0x88
	v_and_b32_e32 v6, 0x3ff, v0
	v_bfe_u32 v0, v0, 20, 10
	s_wait_kmcnt 0x0
	v_mul_u32_u24_e32 v2, s1, v1
	s_lshr_b32 s0, s0, 16
	v_mov_b32_e32 v3, s13
	s_wait_alu 0xfffe
	s_mul_i32 s0, s0, s1
	v_mov_b32_e32 v5, s21
	s_wait_alu 0xfffe
	v_mad_u32_u24 v2, s0, v6, v2
	s_delay_alu instid0(VALU_DEP_1)
	v_add_lshl_u32 v0, v2, v0, 3
	v_mov_b32_e32 v2, s12
	v_mov_b32_e32 v4, s20
	s_lshr_b32 s12, ttmp7, 16
	s_wait_alu 0xfffe
	s_cmp_ge_u32 s12, s35
	v_add_nc_u32_e32 v7, 0x80, v0
	ds_store_2addr_stride64_b64 v7, v[4:5], v[2:3] offset0:10 offset1:12
	s_cbranch_scc1 .LBB145_75
; %bb.1:
	s_clause 0x5
	s_load_b128 s[28:31], s[2:3], 0x70
	s_load_b64 s[20:21], s[2:3], 0x28
	s_load_b64 s[4:5], s[2:3], 0x48
	s_load_b32 s6, s[2:3], 0x0
	s_load_b64 s[36:37], s[2:3], 0x68
	s_load_b128 s[24:27], s[2:3], 0x38
	v_dual_mov_b32 v14, 0 :: v_dual_add_nc_u32 v13, 0x1480, v0
	s_add_nc_u64 s[38:39], s[2:3], 0x90
	v_lshl_add_u32 v19, v1, 5, v6
	v_cmp_eq_u32_e64 s0, 0, v1
	v_lshlrev_b32_e32 v18, 2, v1
	v_cmp_gt_i32_e64 s33, s34, v6
	v_cmp_le_i32_e64 s1, s34, v6
	v_lshl_add_u32 v19, v19, 2, 0x1000
	v_lshlrev_b32_e32 v23, 2, v6
	s_mov_b32 s13, 0
	s_wait_kmcnt 0x0
	v_mad_co_u64_u32 v[2:3], null, s30, v6, 0
	v_mad_co_u64_u32 v[4:5], null, s20, v1, 0
	;; [unrolled: 1-line block ×3, first 2 shown]
	v_add_nc_u32_e32 v12, 0x1880, v0
	v_lshlrev_b32_e32 v30, 2, v6
	v_mov_b32_e32 v0, v3
	s_bitcmp1_b32 s6, 0
	v_mov_b32_e32 v3, v5
	s_cselect_b32 s8, -1, 0
	v_mov_b32_e32 v5, v8
	v_mad_co_u64_u32 v[8:9], null, s31, v6, v[0:1]
	s_delay_alu instid0(VALU_DEP_3) | instskip(SKIP_1) | instid1(VALU_DEP_4)
	v_mad_co_u64_u32 v[9:10], null, s21, v1, v[3:4]
	v_sub_co_u32 v0, s47, v6, v1
	v_mad_co_u64_u32 v[10:11], null, s5, v6, v[5:6]
	s_lshl_b32 s6, ttmp9, 5
	s_xor_b32 s46, s8, -1
	v_mov_b32_e32 v5, v9
	v_sub_nc_u32_e32 v9, 0, v0
	s_ashr_i32 s7, s6, 31
	s_lshr_b32 s48, s34, 2
	s_mul_u64 s[10:11], s[30:31], s[6:7]
	s_lshl_b64 s[30:31], s[20:21], 4
	v_max_i32_e32 v0, v0, v9
	s_add_nc_u64 s[2:3], s[20:21], 1
	s_cmp_gt_u32 s34, 3
	s_mul_u64 s[40:41], s[2:3], s[6:7]
	s_cselect_b32 s49, -1, 0
	s_and_b32 s2, s34, 3
	s_mul_u64 s[44:45], s[4:5], s[6:7]
	v_dual_mov_b32 v3, v8 :: v_dual_mov_b32 v8, v10
	v_lshlrev_b32_e32 v10, 7, v1
	v_cmp_gt_u32_e64 s2, s2, v1
	v_cmp_gt_u32_e64 s3, 4, v0
	;; [unrolled: 1-line block ×8, first 2 shown]
	v_lshlrev_b64_e32 v[0:1], 2, v[4:5]
	v_mul_u32_u24_e32 v11, 0x7c, v6
	s_lshl_b64 s[40:41], s[40:41], 2
	v_add_nc_u32_e32 v16, v30, v10
	v_add_nc_u32_e32 v9, 0x200, v10
	;; [unrolled: 1-line block ×3, first 2 shown]
	v_add_co_u32 v4, vcc_lo, s40, v0
	s_delay_alu instid0(VALU_DEP_1)
	v_add_co_ci_u32_e64 v5, null, s41, v1, vcc_lo
	v_add3_u32 v17, v30, v11, v18
	v_add_nc_u32_e32 v11, 0x400, v10
	v_add_nc_u32_e32 v27, 0xe00, v10
	;; [unrolled: 1-line block ×5, first 2 shown]
	v_add_co_u32 v21, vcc_lo, v4, v30
	s_wait_alu 0xfffd
	v_add_co_ci_u32_e64 v22, null, 0, v5, vcc_lo
	v_lshlrev_b64_e32 v[2:3], 2, v[2:3]
	v_lshlrev_b64_e32 v[4:5], 2, v[7:8]
	v_add_nc_u32_e32 v15, 0x1400, v30
	v_add_nc_u32_e32 v18, 0x1400, v18
	v_or_b32_e32 v20, 0x1000, v30
	v_add_nc_u32_e32 v24, v30, v9
	v_add_nc_u32_e32 v25, v30, v11
	;; [unrolled: 1-line block ×7, first 2 shown]
	s_lshl_b64 s[18:19], s[18:19], 2
	s_lshl_b64 s[26:27], s[26:27], 2
	;; [unrolled: 1-line block ×5, first 2 shown]
	s_branch .LBB145_4
.LBB145_2:                              ;   in Loop: Header=BB145_4 Depth=1
	s_wait_alu 0xfffe
	s_or_b32 exec_lo, exec_lo, s11
.LBB145_3:                              ;   in Loop: Header=BB145_4 Depth=1
	s_wait_alu 0xfffe
	s_or_b32 exec_lo, exec_lo, s34
	s_add_co_i32 s12, s12, 0x10000
	s_wait_alu 0xfffe
	s_cmp_lt_u32 s12, s35
	s_cbranch_scc0 .LBB145_75
.LBB145_4:                              ; =>This Loop Header: Depth=1
                                        ;     Child Loop BB145_46 Depth 2
	s_and_b32 vcc_lo, exec_lo, s46
	s_mov_b32 s10, -1
                                        ; implicit-def: $vgpr31
	s_wait_alu 0xfffe
	s_cbranch_vccnz .LBB145_65
; %bb.5:                                ;   in Loop: Header=BB145_4 Depth=1
	s_and_not1_b32 vcc_lo, exec_lo, s10
	s_wait_alu 0xfffe
	s_cbranch_vccz .LBB145_66
.LBB145_6:                              ;   in Loop: Header=BB145_4 Depth=1
	s_and_b32 vcc_lo, exec_lo, s46
	s_mov_b32 s10, -1
                                        ; implicit-def: $vgpr32
	s_wait_alu 0xfffe
	s_cbranch_vccnz .LBB145_67
.LBB145_7:                              ;   in Loop: Header=BB145_4 Depth=1
	s_and_not1_b32 vcc_lo, exec_lo, s10
	s_wait_alu 0xfffe
	s_cbranch_vccnz .LBB145_9
.LBB145_8:                              ;   in Loop: Header=BB145_4 Depth=1
	s_wait_loadcnt_dscnt 0x0
	ds_load_b32 v32, v13
.LBB145_9:                              ;   in Loop: Header=BB145_4 Depth=1
	s_wait_loadcnt_dscnt 0x0
	v_cmp_neq_f32_e32 vcc_lo, 0, v31
	v_cmp_neq_f32_e64 s10, 1.0, v32
	s_or_b32 s10, vcc_lo, s10
	s_wait_alu 0xfffe
	s_and_saveexec_b32 s34, s10
	s_cbranch_execz .LBB145_3
; %bb.10:                               ;   in Loop: Header=BB145_4 Depth=1
	v_cmp_neq_f32_e64 s10, 0, v31
	v_cmp_eq_f32_e32 vcc_lo, 0, v31
	v_dual_mov_b32 v10, s12 :: v_dual_mov_b32 v11, s13
	s_and_saveexec_b32 s11, vcc_lo
	s_wait_alu 0xfffe
	s_xor_b32 s11, exec_lo, s11
; %bb.11:                               ;   in Loop: Header=BB145_4 Depth=1
	v_dual_mov_b32 v10, s12 :: v_dual_mov_b32 v11, s13
; %bb.12:                               ;   in Loop: Header=BB145_4 Depth=1
	s_wait_alu 0xfffe
	s_or_saveexec_b32 s50, s11
	v_mov_b32_e32 v8, 0
	v_dual_mov_b32 v9, 0 :: v_dual_mov_b32 v6, 0
	v_mov_b32_e32 v7, 0
	s_wait_alu 0xfffe
	s_xor_b32 exec_lo, exec_lo, s50
	s_cbranch_execz .LBB145_14
; %bb.13:                               ;   in Loop: Header=BB145_4 Depth=1
	s_lshl_b64 s[52:53], s[12:13], 3
	s_wait_alu 0xfffe
	s_add_nc_u64 s[52:53], s[16:17], s[52:53]
	global_load_b64 v[6:7], v14, s[52:53]
	s_wait_loadcnt 0x0
	v_add_co_u32 v6, s11, v6, s18
	s_wait_alu 0xf1ff
	v_add_co_ci_u32_e64 v7, null, s19, v7, s11
.LBB145_14:                             ;   in Loop: Header=BB145_4 Depth=1
	s_or_b32 exec_lo, exec_lo, s50
	v_lshlrev_b64_e32 v[10:11], 3, v[10:11]
	s_and_saveexec_b32 s11, s10
	s_cbranch_execz .LBB145_16
; %bb.15:                               ;   in Loop: Header=BB145_4 Depth=1
	s_delay_alu instid0(VALU_DEP_1) | instskip(SKIP_1) | instid1(VALU_DEP_2)
	v_add_co_u32 v8, s10, s24, v10
	s_wait_alu 0xf1ff
	v_add_co_ci_u32_e64 v9, null, s25, v11, s10
	global_load_b64 v[8:9], v[8:9], off
	s_wait_loadcnt 0x0
	v_add_co_u32 v8, s10, v8, s26
	s_wait_alu 0xf1ff
	v_add_co_ci_u32_e64 v9, null, s27, v9, s10
.LBB145_16:                             ;   in Loop: Header=BB145_4 Depth=1
	s_wait_alu 0xfffe
	s_or_b32 exec_lo, exec_lo, s11
	s_delay_alu instid0(VALU_DEP_1)
	v_add_co_u32 v10, s10, s36, v10
	s_wait_alu 0xf1ff
	v_add_co_ci_u32_e64 v11, null, s37, v11, s10
	global_load_b64 v[10:11], v[10:11], off
	s_wait_loadcnt 0x0
	v_add_co_u32 v10, s10, v10, s28
	s_wait_alu 0xf1ff
	v_add_co_ci_u32_e64 v11, null, s29, v11, s10
	s_delay_alu instid0(VALU_DEP_2) | instskip(SKIP_1) | instid1(VALU_DEP_2)
	v_add_co_u32 v10, s10, v10, s42
	s_wait_alu 0xf1ff
	v_add_co_ci_u32_e64 v11, null, s43, v11, s10
	s_and_saveexec_b32 s10, vcc_lo
	s_wait_alu 0xfffe
	s_xor_b32 s10, exec_lo, s10
	s_cbranch_execz .LBB145_23
; %bb.17:                               ;   in Loop: Header=BB145_4 Depth=1
	s_and_saveexec_b32 s11, s0
	s_cbranch_execz .LBB145_22
; %bb.18:                               ;   in Loop: Header=BB145_4 Depth=1
	s_mov_b32 s51, s33
	s_and_saveexec_b32 s50, s1
	s_cbranch_execz .LBB145_20
; %bb.19:                               ;   in Loop: Header=BB145_4 Depth=1
	s_load_b32 s51, s[38:39], 0x0
	s_wait_kmcnt 0x0
	s_add_co_i32 s51, s51, -1
	s_wait_alu 0xfffe
	s_cmp_lt_u32 ttmp9, s51
	s_cselect_b32 s51, -1, 0
	s_and_not1_b32 s52, s33, exec_lo
	s_wait_alu 0xfffe
	s_and_b32 s51, s51, exec_lo
	s_wait_alu 0xfffe
	s_or_b32 s51, s52, s51
.LBB145_20:                             ;   in Loop: Header=BB145_4 Depth=1
	s_wait_alu 0xfffe
	s_or_b32 exec_lo, exec_lo, s50
	s_delay_alu instid0(SALU_CYCLE_1)
	s_and_b32 exec_lo, exec_lo, s51
	s_cbranch_execz .LBB145_22
; %bb.21:                               ;   in Loop: Header=BB145_4 Depth=1
	v_add_co_u32 v6, vcc_lo, v10, v2
	s_wait_alu 0xfffd
	v_add_co_ci_u32_e64 v7, null, v11, v3, vcc_lo
	flat_load_b32 v8, v[6:7]
	s_wait_loadcnt_dscnt 0x0
	v_mul_f32_e32 v8, v32, v8
	flat_store_b32 v[6:7], v8
.LBB145_22:                             ;   in Loop: Header=BB145_4 Depth=1
	s_wait_alu 0xfffe
	s_or_b32 exec_lo, exec_lo, s11
                                        ; implicit-def: $vgpr31
                                        ; implicit-def: $vgpr32
                                        ; implicit-def: $vgpr10
                                        ; implicit-def: $vgpr11
                                        ; implicit-def: $vgpr6_vgpr7
                                        ; implicit-def: $vgpr8_vgpr9
.LBB145_23:                             ;   in Loop: Header=BB145_4 Depth=1
	s_wait_alu 0xfffe
	s_and_not1_saveexec_b32 s10, s10
	s_cbranch_execz .LBB145_3
; %bb.24:                               ;   in Loop: Header=BB145_4 Depth=1
	s_load_b32 s10, s[38:39], 0x0
	v_add_co_u32 v8, vcc_lo, v8, s44
	s_wait_alu 0xfffd
	v_add_co_ci_u32_e64 v9, null, s45, v9, vcc_lo
	s_mov_b32 s11, -1
                                        ; implicit-def: $vgpr33
	s_wait_kmcnt 0x0
	s_add_co_i32 s10, s10, -1
	s_wait_alu 0xfffe
	s_cmp_lg_u32 ttmp9, s10
	s_cselect_b32 s10, -1, 0
	s_wait_alu 0xfffe
	s_and_b32 vcc_lo, exec_lo, s10
	s_wait_alu 0xfffe
	s_cbranch_vccz .LBB145_30
; %bb.25:                               ;   in Loop: Header=BB145_4 Depth=1
	v_mov_b32_e32 v33, 0
	s_and_saveexec_b32 s11, s0
	s_cbranch_execz .LBB145_29
; %bb.26:                               ;   in Loop: Header=BB145_4 Depth=1
	v_add_co_u32 v33, vcc_lo, v8, v4
	s_wait_alu 0xfffd
	v_add_co_ci_u32_e64 v34, null, v9, v5, vcc_lo
	s_mov_b32 s50, exec_lo
	flat_load_b32 v34, v[33:34]
	v_mov_b32_e32 v33, 0
	s_wait_loadcnt_dscnt 0x0
	ds_store_b32 v15, v34
	v_cmpx_neq_f32_e32 0, v32
	s_cbranch_execz .LBB145_28
; %bb.27:                               ;   in Loop: Header=BB145_4 Depth=1
	v_add_co_u32 v33, vcc_lo, v10, v2
	s_wait_alu 0xfffd
	v_add_co_ci_u32_e64 v34, null, v11, v3, vcc_lo
	flat_load_b32 v33, v[33:34]
	s_wait_loadcnt_dscnt 0x0
	v_mul_f32_e32 v33, v32, v33
.LBB145_28:                             ;   in Loop: Header=BB145_4 Depth=1
	s_wait_alu 0xfffe
	s_or_b32 exec_lo, exec_lo, s50
.LBB145_29:                             ;   in Loop: Header=BB145_4 Depth=1
	s_wait_alu 0xfffe
	s_or_b32 exec_lo, exec_lo, s11
	s_mov_b32 s11, 0
.LBB145_30:                             ;   in Loop: Header=BB145_4 Depth=1
	s_wait_alu 0xfffe
	s_and_not1_b32 vcc_lo, exec_lo, s11
	s_wait_alu 0xfffe
	s_cbranch_vccnz .LBB145_40
; %bb.31:                               ;   in Loop: Header=BB145_4 Depth=1
	v_mov_b32_e32 v33, 0
	s_and_saveexec_b32 s11, s0
	s_cbranch_execz .LBB145_39
; %bb.32:                               ;   in Loop: Header=BB145_4 Depth=1
	s_and_saveexec_b32 s50, s1
	s_wait_alu 0xfffe
	s_xor_b32 s50, exec_lo, s50
; %bb.33:                               ;   in Loop: Header=BB145_4 Depth=1
	ds_store_b32 v15, v14
                                        ; implicit-def: $vgpr8
                                        ; implicit-def: $vgpr9
; %bb.34:                               ;   in Loop: Header=BB145_4 Depth=1
	s_wait_alu 0xfffe
	s_or_saveexec_b32 s50, s50
	v_mov_b32_e32 v33, 0
	s_wait_alu 0xfffe
	s_xor_b32 exec_lo, exec_lo, s50
	s_cbranch_execz .LBB145_38
; %bb.35:                               ;   in Loop: Header=BB145_4 Depth=1
	v_add_co_u32 v8, vcc_lo, v8, v4
	s_wait_alu 0xfffd
	v_add_co_ci_u32_e64 v9, null, v9, v5, vcc_lo
	v_mov_b32_e32 v33, 0
	s_mov_b32 s51, exec_lo
	flat_load_b32 v8, v[8:9]
	s_wait_loadcnt_dscnt 0x0
	ds_store_b32 v15, v8
	v_cmpx_neq_f32_e32 0, v32
	s_cbranch_execz .LBB145_37
; %bb.36:                               ;   in Loop: Header=BB145_4 Depth=1
	v_add_co_u32 v8, vcc_lo, v10, v2
	s_wait_alu 0xfffd
	v_add_co_ci_u32_e64 v9, null, v11, v3, vcc_lo
	flat_load_b32 v8, v[8:9]
	s_wait_loadcnt_dscnt 0x0
	v_mul_f32_e32 v33, v32, v8
.LBB145_37:                             ;   in Loop: Header=BB145_4 Depth=1
	s_wait_alu 0xfffe
	s_or_b32 exec_lo, exec_lo, s51
.LBB145_38:                             ;   in Loop: Header=BB145_4 Depth=1
	s_delay_alu instid0(SALU_CYCLE_1)
	s_or_b32 exec_lo, exec_lo, s50
.LBB145_39:                             ;   in Loop: Header=BB145_4 Depth=1
	s_wait_alu 0xfffe
	s_or_b32 exec_lo, exec_lo, s11
.LBB145_40:                             ;   in Loop: Header=BB145_4 Depth=1
	v_add_co_u32 v8, vcc_lo, v6, s40
	s_wait_alu 0xfffd
	v_add_co_ci_u32_e64 v9, null, s41, v7, vcc_lo
	s_mov_b32 s11, -1
	v_add_co_u32 v8, vcc_lo, v8, v0
	s_wait_alu 0xfffd
	v_add_co_ci_u32_e64 v9, null, v9, v1, vcc_lo
	s_delay_alu instid0(VALU_DEP_2) | instskip(SKIP_1) | instid1(VALU_DEP_2)
	v_add_co_u32 v8, vcc_lo, v8, v23
	s_wait_alu 0xfffd
	v_add_co_ci_u32_e64 v9, null, 0, v9, vcc_lo
	s_and_not1_b32 vcc_lo, exec_lo, s10
	s_wait_alu 0xfffe
	s_cbranch_vccnz .LBB145_42
; %bb.41:                               ;   in Loop: Header=BB145_4 Depth=1
	v_add_co_u32 v34, vcc_lo, v8, s30
	s_wait_alu 0xfffd
	v_add_co_ci_u32_e64 v35, null, s31, v9, vcc_lo
	s_mov_b32 s11, 0
	v_add_co_u32 v36, vcc_lo, v34, s30
	s_wait_alu 0xfffd
	v_add_co_ci_u32_e64 v37, null, s31, v35, vcc_lo
	s_delay_alu instid0(VALU_DEP_2) | instskip(SKIP_1) | instid1(VALU_DEP_2)
	v_add_co_u32 v38, vcc_lo, v36, s30
	s_wait_alu 0xfffd
	v_add_co_ci_u32_e64 v39, null, s31, v37, vcc_lo
	s_delay_alu instid0(VALU_DEP_2) | instskip(SKIP_1) | instid1(VALU_DEP_2)
	;; [unrolled: 4-line block ×5, first 2 shown]
	v_add_co_u32 v46, vcc_lo, v44, s30
	s_wait_alu 0xfffd
	v_add_co_ci_u32_e64 v47, null, s31, v45, vcc_lo
	s_clause 0x7
	flat_load_b32 v48, v[8:9]
	flat_load_b32 v34, v[34:35]
	flat_load_b32 v35, v[36:37]
	flat_load_b32 v36, v[38:39]
	flat_load_b32 v37, v[40:41]
	flat_load_b32 v38, v[42:43]
	flat_load_b32 v39, v[44:45]
	flat_load_b32 v40, v[46:47]
	s_wait_loadcnt_dscnt 0x606
	ds_store_2addr_stride64_b32 v16, v48, v34 offset1:2
	s_wait_loadcnt_dscnt 0x405
	ds_store_2addr_stride64_b32 v16, v35, v36 offset0:4 offset1:6
	s_wait_loadcnt_dscnt 0x204
	ds_store_2addr_stride64_b32 v16, v37, v38 offset0:8 offset1:10
	;; [unrolled: 2-line block ×3, first 2 shown]
.LBB145_42:                             ;   in Loop: Header=BB145_4 Depth=1
	s_wait_alu 0xfffe
	s_and_not1_b32 vcc_lo, exec_lo, s11
	s_wait_alu 0xfffe
	s_cbranch_vccnz .LBB145_50
; %bb.43:                               ;   in Loop: Header=BB145_4 Depth=1
	ds_store_2addr_stride64_b32 v16, v14, v14 offset1:2
	ds_store_2addr_stride64_b32 v16, v14, v14 offset0:4 offset1:6
	ds_store_2addr_stride64_b32 v16, v14, v14 offset0:8 offset1:10
	;; [unrolled: 1-line block ×3, first 2 shown]
	s_and_saveexec_b32 s11, s33
	s_cbranch_execz .LBB145_49
; %bb.44:                               ;   in Loop: Header=BB145_4 Depth=1
	s_and_not1_b32 vcc_lo, exec_lo, s49
	s_mov_b32 s50, 0
	s_wait_alu 0xfffe
	s_cbranch_vccnz .LBB145_47
; %bb.45:                               ;   in Loop: Header=BB145_4 Depth=1
	v_add_co_u32 v6, vcc_lo, v6, v21
	s_wait_alu 0xfffd
	v_add_co_ci_u32_e64 v7, null, v7, v22, vcc_lo
	v_mov_b32_e32 v34, v16
	s_mov_b32 s51, s48
.LBB145_46:                             ;   Parent Loop BB145_4 Depth=1
                                        ; =>  This Inner Loop Header: Depth=2
	flat_load_b32 v35, v[6:7]
	v_add_co_u32 v6, vcc_lo, v6, s30
	s_wait_alu 0xfffd
	v_add_co_ci_u32_e64 v7, null, s31, v7, vcc_lo
	s_wait_alu 0xfffe
	s_add_co_i32 s51, s51, -1
	s_mov_b32 s50, s48
	s_wait_alu 0xfffe
	s_cmp_lg_u32 s51, 0
	s_wait_loadcnt_dscnt 0x0
	ds_store_b32 v34, v35
	v_add_nc_u32_e32 v34, 0x200, v34
	s_cbranch_scc1 .LBB145_46
.LBB145_47:                             ;   in Loop: Header=BB145_4 Depth=1
	s_and_b32 exec_lo, exec_lo, s2
	s_cbranch_execz .LBB145_49
; %bb.48:                               ;   in Loop: Header=BB145_4 Depth=1
	s_lshl_b32 s52, s50, 2
	s_mov_b32 s53, s13
	s_wait_alu 0xfffe
	s_mul_u64 s[52:53], s[20:21], s[52:53]
	s_wait_alu 0xfffe
	s_lshl_b64 s[52:53], s[52:53], 2
	s_wait_alu 0xfffe
	v_add_co_u32 v6, vcc_lo, v8, s52
	s_wait_alu 0xfffd
	v_add_co_ci_u32_e64 v7, null, s53, v9, vcc_lo
	flat_load_b32 v6, v[6:7]
	v_lshl_add_u32 v7, s50, 9, v16
	s_wait_loadcnt_dscnt 0x0
	ds_store_b32 v7, v6
.LBB145_49:                             ;   in Loop: Header=BB145_4 Depth=1
	s_wait_alu 0xfffe
	s_or_b32 exec_lo, exec_lo, s11
.LBB145_50:                             ;   in Loop: Header=BB145_4 Depth=1
	s_wait_storecnt_dscnt 0x0
	s_barrier_signal -1
	s_barrier_wait -1
	global_inv scope:SCOPE_SE
	s_and_saveexec_b32 s11, s47
	s_cbranch_execnz .LBB145_68
; %bb.51:                               ;   in Loop: Header=BB145_4 Depth=1
	s_wait_alu 0xfffe
	s_or_b32 exec_lo, exec_lo, s11
	s_and_saveexec_b32 s11, s3
	s_cbranch_execnz .LBB145_69
.LBB145_52:                             ;   in Loop: Header=BB145_4 Depth=1
	s_wait_alu 0xfffe
	s_or_b32 exec_lo, exec_lo, s11
	s_and_saveexec_b32 s11, s4
	s_cbranch_execnz .LBB145_70
.LBB145_53:                             ;   in Loop: Header=BB145_4 Depth=1
	s_wait_alu 0xfffe
	s_or_b32 exec_lo, exec_lo, s11
	s_and_saveexec_b32 s11, s5
	s_cbranch_execnz .LBB145_71
.LBB145_54:                             ;   in Loop: Header=BB145_4 Depth=1
	s_wait_alu 0xfffe
	s_or_b32 exec_lo, exec_lo, s11
	s_and_saveexec_b32 s11, s6
	s_cbranch_execnz .LBB145_72
.LBB145_55:                             ;   in Loop: Header=BB145_4 Depth=1
	s_wait_alu 0xfffe
	s_or_b32 exec_lo, exec_lo, s11
	s_and_saveexec_b32 s11, s7
	s_cbranch_execnz .LBB145_73
.LBB145_56:                             ;   in Loop: Header=BB145_4 Depth=1
	s_wait_alu 0xfffe
	s_or_b32 exec_lo, exec_lo, s11
	s_and_saveexec_b32 s11, s8
	s_cbranch_execnz .LBB145_74
.LBB145_57:                             ;   in Loop: Header=BB145_4 Depth=1
	s_wait_alu 0xfffe
	s_or_b32 exec_lo, exec_lo, s11
	s_and_saveexec_b32 s11, s9
	s_cbranch_execz .LBB145_59
.LBB145_58:                             ;   in Loop: Header=BB145_4 Depth=1
	ds_load_b32 v6, v17 offset:112
	s_wait_dscnt 0x0
	ds_store_b32 v27, v6
.LBB145_59:                             ;   in Loop: Header=BB145_4 Depth=1
	s_wait_alu 0xfffe
	s_or_b32 exec_lo, exec_lo, s11
	s_wait_loadcnt_dscnt 0x0
	s_barrier_signal -1
	s_barrier_wait -1
	global_inv scope:SCOPE_SE
	ds_load_2addr_b32 v[6:7], v18 offset1:4
	ds_load_b32 v36, v16
	ds_load_b32 v37, v24
	ds_load_2addr_b32 v[8:9], v18 offset0:8 offset1:12
	ds_load_b32 v38, v25
	ds_load_2addr_b32 v[34:35], v18 offset0:16 offset1:20
	ds_load_b32 v39, v26
	ds_load_b32 v40, v28
	;; [unrolled: 1-line block ×5, first 2 shown]
	s_wait_dscnt 0x9
	v_fma_f32 v36, v36, v6, 0
	s_wait_dscnt 0x8
	s_delay_alu instid0(VALU_DEP_1) | instskip(SKIP_4) | instid1(VALU_DEP_1)
	v_fmac_f32_e32 v36, v37, v7
	ds_load_2addr_b32 v[6:7], v18 offset0:24 offset1:28
	s_wait_dscnt 0x7
	v_fmac_f32_e32 v36, v38, v8
	s_wait_dscnt 0x5
	v_fmac_f32_e32 v36, v39, v9
	s_wait_dscnt 0x4
	s_delay_alu instid0(VALU_DEP_1) | instskip(SKIP_1) | instid1(VALU_DEP_1)
	v_fmac_f32_e32 v36, v40, v34
	s_wait_dscnt 0x3
	v_fmac_f32_e32 v36, v41, v35
	s_wait_dscnt 0x0
	s_delay_alu instid0(VALU_DEP_1) | instskip(NEXT) | instid1(VALU_DEP_1)
	v_fmac_f32_e32 v36, v42, v6
	v_fmac_f32_e32 v36, v43, v7
	ds_store_b32 v19, v36
	s_wait_loadcnt_dscnt 0x0
	s_barrier_signal -1
	s_barrier_wait -1
	global_inv scope:SCOPE_SE
	s_and_saveexec_b32 s11, s0
	s_cbranch_execz .LBB145_2
; %bb.60:                               ;   in Loop: Header=BB145_4 Depth=1
	ds_load_2addr_b32 v[6:7], v20 offset1:32
	ds_load_2addr_b32 v[8:9], v20 offset0:64 offset1:96
	v_cmp_neq_f32_e32 vcc_lo, 0, v32
	s_wait_dscnt 0x1
	v_add_f32_e32 v6, 0, v6
	s_delay_alu instid0(VALU_DEP_1) | instskip(SKIP_1) | instid1(VALU_DEP_1)
	v_add_f32_e32 v6, v6, v7
	s_wait_dscnt 0x0
	v_add_f32_e32 v6, v6, v8
	s_delay_alu instid0(VALU_DEP_1) | instskip(NEXT) | instid1(VALU_DEP_1)
	v_add_f32_e32 v6, v6, v9
	v_mul_f32_e32 v7, v31, v6
	v_fmac_f32_e32 v33, v31, v6
	s_wait_alu 0xfffd
	s_delay_alu instid0(VALU_DEP_1)
	v_cndmask_b32_e32 v6, v7, v33, vcc_lo
	s_and_b32 vcc_lo, exec_lo, s10
	s_mov_b32 s10, -1
	s_wait_alu 0xfffe
	s_cbranch_vccz .LBB145_62
; %bb.61:                               ;   in Loop: Header=BB145_4 Depth=1
	v_add_co_u32 v7, vcc_lo, v10, v2
	s_wait_alu 0xfffd
	v_add_co_ci_u32_e64 v8, null, v11, v3, vcc_lo
	s_mov_b32 s10, 0
	flat_store_b32 v[7:8], v6
.LBB145_62:                             ;   in Loop: Header=BB145_4 Depth=1
	s_wait_alu 0xfffe
	s_and_not1_b32 vcc_lo, exec_lo, s10
	s_wait_alu 0xfffe
	s_cbranch_vccnz .LBB145_2
; %bb.63:                               ;   in Loop: Header=BB145_4 Depth=1
	s_and_b32 exec_lo, exec_lo, s33
	s_cbranch_execz .LBB145_2
; %bb.64:                               ;   in Loop: Header=BB145_4 Depth=1
	v_add_co_u32 v7, vcc_lo, v10, v2
	s_wait_alu 0xfffd
	v_add_co_ci_u32_e64 v8, null, v11, v3, vcc_lo
	flat_store_b32 v[7:8], v6
	s_branch .LBB145_2
.LBB145_65:                             ;   in Loop: Header=BB145_4 Depth=1
	ds_load_b64 v[6:7], v12
	s_mul_u64 s[10:11], s[14:15], s[12:13]
	s_wait_alu 0xfffe
	s_lshl_b64 s[10:11], s[10:11], 2
	s_wait_dscnt 0x0
	s_wait_alu 0xfffe
	v_add_co_u32 v6, vcc_lo, v6, s10
	s_wait_alu 0xfffd
	v_add_co_ci_u32_e64 v7, null, s11, v7, vcc_lo
	flat_load_b32 v31, v[6:7]
	s_cbranch_execnz .LBB145_6
.LBB145_66:                             ;   in Loop: Header=BB145_4 Depth=1
	s_wait_loadcnt_dscnt 0x0
	ds_load_b32 v31, v12
	s_and_b32 vcc_lo, exec_lo, s46
	s_mov_b32 s10, -1
                                        ; implicit-def: $vgpr32
	s_wait_alu 0xfffe
	s_cbranch_vccz .LBB145_7
.LBB145_67:                             ;   in Loop: Header=BB145_4 Depth=1
	ds_load_b64 v[6:7], v13
	s_mul_u64 s[10:11], s[22:23], s[12:13]
	s_wait_alu 0xfffe
	s_lshl_b64 s[10:11], s[10:11], 2
	s_wait_dscnt 0x0
	s_wait_alu 0xfffe
	v_add_co_u32 v6, vcc_lo, v6, s10
	s_wait_alu 0xfffd
	v_add_co_ci_u32_e64 v7, null, s11, v7, vcc_lo
	flat_load_b32 v32, v[6:7]
	s_cbranch_execz .LBB145_8
	s_branch .LBB145_9
.LBB145_68:                             ;   in Loop: Header=BB145_4 Depth=1
	ds_load_b32 v6, v17
	s_wait_dscnt 0x0
	ds_store_b32 v16, v6
	s_wait_alu 0xfffe
	s_or_b32 exec_lo, exec_lo, s11
	s_and_saveexec_b32 s11, s3
	s_cbranch_execz .LBB145_52
.LBB145_69:                             ;   in Loop: Header=BB145_4 Depth=1
	ds_load_b32 v6, v17 offset:16
	s_wait_dscnt 0x0
	ds_store_b32 v24, v6
	s_wait_alu 0xfffe
	s_or_b32 exec_lo, exec_lo, s11
	s_and_saveexec_b32 s11, s4
	s_cbranch_execz .LBB145_53
.LBB145_70:                             ;   in Loop: Header=BB145_4 Depth=1
	ds_load_b32 v6, v17 offset:32
	s_wait_dscnt 0x0
	ds_store_b32 v25, v6
	s_wait_alu 0xfffe
	s_or_b32 exec_lo, exec_lo, s11
	s_and_saveexec_b32 s11, s5
	s_cbranch_execz .LBB145_54
.LBB145_71:                             ;   in Loop: Header=BB145_4 Depth=1
	ds_load_b32 v6, v17 offset:48
	s_wait_dscnt 0x0
	ds_store_b32 v26, v6
	s_wait_alu 0xfffe
	s_or_b32 exec_lo, exec_lo, s11
	s_and_saveexec_b32 s11, s6
	s_cbranch_execz .LBB145_55
.LBB145_72:                             ;   in Loop: Header=BB145_4 Depth=1
	ds_load_b32 v6, v17 offset:64
	s_wait_dscnt 0x0
	ds_store_b32 v16, v6 offset:2048
	s_wait_alu 0xfffe
	s_or_b32 exec_lo, exec_lo, s11
	s_and_saveexec_b32 s11, s7
	s_cbranch_execz .LBB145_56
.LBB145_73:                             ;   in Loop: Header=BB145_4 Depth=1
	ds_load_b32 v6, v17 offset:80
	s_wait_dscnt 0x0
	ds_store_b32 v16, v6 offset:2560
	s_wait_alu 0xfffe
	s_or_b32 exec_lo, exec_lo, s11
	s_and_saveexec_b32 s11, s8
	s_cbranch_execz .LBB145_57
.LBB145_74:                             ;   in Loop: Header=BB145_4 Depth=1
	ds_load_b32 v6, v17 offset:96
	s_wait_dscnt 0x0
	ds_store_b32 v16, v6 offset:3072
	s_wait_alu 0xfffe
	s_or_b32 exec_lo, exec_lo, s11
	s_and_saveexec_b32 s11, s9
	s_cbranch_execnz .LBB145_58
	s_branch .LBB145_59
.LBB145_75:
	s_endpgm
	.section	.rodata,"a",@progbits
	.p2align	6, 0x0
	.amdhsa_kernel _ZL58rocblas_symv_kernel_lower_double_buffered_diagonal_genericILi32ELi4E24rocblas_internal_val_ptrIfEPKPKfPKPfEvbiT1_lT2_lllSA_lllS9_lT3_lllii
		.amdhsa_group_segment_fixed_size 7296
		.amdhsa_private_segment_fixed_size 0
		.amdhsa_kernarg_size 400
		.amdhsa_user_sgpr_count 4
		.amdhsa_user_sgpr_dispatch_ptr 1
		.amdhsa_user_sgpr_queue_ptr 0
		.amdhsa_user_sgpr_kernarg_segment_ptr 1
		.amdhsa_user_sgpr_dispatch_id 0
		.amdhsa_user_sgpr_private_segment_size 0
		.amdhsa_wavefront_size32 1
		.amdhsa_uses_dynamic_stack 0
		.amdhsa_enable_private_segment 0
		.amdhsa_system_sgpr_workgroup_id_x 1
		.amdhsa_system_sgpr_workgroup_id_y 0
		.amdhsa_system_sgpr_workgroup_id_z 1
		.amdhsa_system_sgpr_workgroup_info 0
		.amdhsa_system_vgpr_workitem_id 2
		.amdhsa_next_free_vgpr 49
		.amdhsa_next_free_sgpr 54
		.amdhsa_reserve_vcc 1
		.amdhsa_float_round_mode_32 0
		.amdhsa_float_round_mode_16_64 0
		.amdhsa_float_denorm_mode_32 3
		.amdhsa_float_denorm_mode_16_64 3
		.amdhsa_fp16_overflow 0
		.amdhsa_workgroup_processor_mode 1
		.amdhsa_memory_ordered 1
		.amdhsa_forward_progress 1
		.amdhsa_inst_pref_size 27
		.amdhsa_round_robin_scheduling 0
		.amdhsa_exception_fp_ieee_invalid_op 0
		.amdhsa_exception_fp_denorm_src 0
		.amdhsa_exception_fp_ieee_div_zero 0
		.amdhsa_exception_fp_ieee_overflow 0
		.amdhsa_exception_fp_ieee_underflow 0
		.amdhsa_exception_fp_ieee_inexact 0
		.amdhsa_exception_int_div_zero 0
	.end_amdhsa_kernel
	.section	.text._ZL58rocblas_symv_kernel_lower_double_buffered_diagonal_genericILi32ELi4E24rocblas_internal_val_ptrIfEPKPKfPKPfEvbiT1_lT2_lllSA_lllS9_lT3_lllii,"axG",@progbits,_ZL58rocblas_symv_kernel_lower_double_buffered_diagonal_genericILi32ELi4E24rocblas_internal_val_ptrIfEPKPKfPKPfEvbiT1_lT2_lllSA_lllS9_lT3_lllii,comdat
.Lfunc_end145:
	.size	_ZL58rocblas_symv_kernel_lower_double_buffered_diagonal_genericILi32ELi4E24rocblas_internal_val_ptrIfEPKPKfPKPfEvbiT1_lT2_lllSA_lllS9_lT3_lllii, .Lfunc_end145-_ZL58rocblas_symv_kernel_lower_double_buffered_diagonal_genericILi32ELi4E24rocblas_internal_val_ptrIfEPKPKfPKPfEvbiT1_lT2_lllSA_lllS9_lT3_lllii
                                        ; -- End function
	.set _ZL58rocblas_symv_kernel_lower_double_buffered_diagonal_genericILi32ELi4E24rocblas_internal_val_ptrIfEPKPKfPKPfEvbiT1_lT2_lllSA_lllS9_lT3_lllii.num_vgpr, 49
	.set _ZL58rocblas_symv_kernel_lower_double_buffered_diagonal_genericILi32ELi4E24rocblas_internal_val_ptrIfEPKPKfPKPfEvbiT1_lT2_lllSA_lllS9_lT3_lllii.num_agpr, 0
	.set _ZL58rocblas_symv_kernel_lower_double_buffered_diagonal_genericILi32ELi4E24rocblas_internal_val_ptrIfEPKPKfPKPfEvbiT1_lT2_lllSA_lllS9_lT3_lllii.numbered_sgpr, 54
	.set _ZL58rocblas_symv_kernel_lower_double_buffered_diagonal_genericILi32ELi4E24rocblas_internal_val_ptrIfEPKPKfPKPfEvbiT1_lT2_lllSA_lllS9_lT3_lllii.num_named_barrier, 0
	.set _ZL58rocblas_symv_kernel_lower_double_buffered_diagonal_genericILi32ELi4E24rocblas_internal_val_ptrIfEPKPKfPKPfEvbiT1_lT2_lllSA_lllS9_lT3_lllii.private_seg_size, 0
	.set _ZL58rocblas_symv_kernel_lower_double_buffered_diagonal_genericILi32ELi4E24rocblas_internal_val_ptrIfEPKPKfPKPfEvbiT1_lT2_lllSA_lllS9_lT3_lllii.uses_vcc, 1
	.set _ZL58rocblas_symv_kernel_lower_double_buffered_diagonal_genericILi32ELi4E24rocblas_internal_val_ptrIfEPKPKfPKPfEvbiT1_lT2_lllSA_lllS9_lT3_lllii.uses_flat_scratch, 1
	.set _ZL58rocblas_symv_kernel_lower_double_buffered_diagonal_genericILi32ELi4E24rocblas_internal_val_ptrIfEPKPKfPKPfEvbiT1_lT2_lllSA_lllS9_lT3_lllii.has_dyn_sized_stack, 0
	.set _ZL58rocblas_symv_kernel_lower_double_buffered_diagonal_genericILi32ELi4E24rocblas_internal_val_ptrIfEPKPKfPKPfEvbiT1_lT2_lllSA_lllS9_lT3_lllii.has_recursion, 0
	.set _ZL58rocblas_symv_kernel_lower_double_buffered_diagonal_genericILi32ELi4E24rocblas_internal_val_ptrIfEPKPKfPKPfEvbiT1_lT2_lllSA_lllS9_lT3_lllii.has_indirect_call, 0
	.section	.AMDGPU.csdata,"",@progbits
; Kernel info:
; codeLenInByte = 3396
; TotalNumSgprs: 56
; NumVgprs: 49
; ScratchSize: 0
; MemoryBound: 0
; FloatMode: 240
; IeeeMode: 1
; LDSByteSize: 7296 bytes/workgroup (compile time only)
; SGPRBlocks: 0
; VGPRBlocks: 6
; NumSGPRsForWavesPerEU: 56
; NumVGPRsForWavesPerEU: 49
; Occupancy: 16
; WaveLimiterHint : 1
; COMPUTE_PGM_RSRC2:SCRATCH_EN: 0
; COMPUTE_PGM_RSRC2:USER_SGPR: 4
; COMPUTE_PGM_RSRC2:TRAP_HANDLER: 0
; COMPUTE_PGM_RSRC2:TGID_X_EN: 1
; COMPUTE_PGM_RSRC2:TGID_Y_EN: 0
; COMPUTE_PGM_RSRC2:TGID_Z_EN: 1
; COMPUTE_PGM_RSRC2:TIDIG_COMP_CNT: 2
	.section	.text._ZL62rocblas_symv_kernel_lower_double_buffered_non_diagonal_genericILi32ELi4ELi4E24rocblas_internal_val_ptrIfEPKPKfPKPfEvbiT2_lT3_lllSA_lllT4_lllii,"axG",@progbits,_ZL62rocblas_symv_kernel_lower_double_buffered_non_diagonal_genericILi32ELi4ELi4E24rocblas_internal_val_ptrIfEPKPKfPKPfEvbiT2_lT3_lllSA_lllT4_lllii,comdat
	.globl	_ZL62rocblas_symv_kernel_lower_double_buffered_non_diagonal_genericILi32ELi4ELi4E24rocblas_internal_val_ptrIfEPKPKfPKPfEvbiT2_lT3_lllSA_lllT4_lllii ; -- Begin function _ZL62rocblas_symv_kernel_lower_double_buffered_non_diagonal_genericILi32ELi4ELi4E24rocblas_internal_val_ptrIfEPKPKfPKPfEvbiT2_lT3_lllSA_lllT4_lllii
	.p2align	8
	.type	_ZL62rocblas_symv_kernel_lower_double_buffered_non_diagonal_genericILi32ELi4ELi4E24rocblas_internal_val_ptrIfEPKPKfPKPfEvbiT2_lT3_lllSA_lllT4_lllii,@function
_ZL62rocblas_symv_kernel_lower_double_buffered_non_diagonal_genericILi32ELi4ELi4E24rocblas_internal_val_ptrIfEPKPKfPKPfEvbiT2_lT3_lllSA_lllT4_lllii: ; @_ZL62rocblas_symv_kernel_lower_double_buffered_non_diagonal_genericILi32ELi4ELi4E24rocblas_internal_val_ptrIfEPKPKfPKPfEvbiT2_lT3_lllSA_lllT4_lllii
; %bb.0:
	s_load_b64 s[0:1], s[0:1], 0x4
	s_clause 0x1
	s_load_b256 s[4:11], s[2:3], 0x8
	s_load_b64 s[20:21], s[2:3], 0x78
	v_bfe_u32 v1, v0, 10, 10
	v_and_b32_e32 v4, 0x3ff, v0
	v_bfe_u32 v0, v0, 20, 10
	s_wait_kmcnt 0x0
	s_delay_alu instid0(VALU_DEP_3)
	v_mul_u32_u24_e32 v2, s1, v1
	s_lshr_b32 s0, s0, 16
	v_mov_b32_e32 v3, s5
	s_wait_alu 0xfffe
	s_mul_i32 s0, s0, s1
	s_wait_alu 0xfffe
	v_mad_u32_u24 v5, s0, v4, v2
	v_mov_b32_e32 v2, s4
	s_lshr_b32 s4, ttmp7, 16
	s_wait_alu 0xfffe
	s_cmp_ge_u32 s4, s21
	v_add_lshl_u32 v0, v5, v0, 3
	ds_store_b64 v0, v[2:3] offset:3200
	s_cbranch_scc1 .LBB146_38
; %bb.1:
	s_clause 0x3
	s_load_b32 s1, s[2:3], 0x0
	s_load_b64 s[22:23], s[2:3], 0x48
	s_load_b64 s[40:41], s[2:3], 0x28
	s_load_b128 s[12:15], s[2:3], 0x38
	v_lshl_add_u32 v8, v1, 5, v4
	v_cmp_eq_u32_e64 s0, 0, v1
	s_clause 0x1
	s_load_b64 s[24:25], s[2:3], 0x58
	s_load_b128 s[16:19], s[2:3], 0x60
	s_add_nc_u64 s[26:27], s[2:3], 0x80
	v_cmp_gt_i32_e32 vcc_lo, s20, v4
	v_lshrrev_b32_e32 v9, 4, v8
	v_and_b32_e32 v41, 0xfff0, v8
	s_mov_b32 s5, 0
	v_dual_mov_b32 v1, 0 :: v_dual_lshlrev_b32 v42, 6, v4
	s_delay_alu instid0(VALU_DEP_3) | instskip(NEXT) | instid1(VALU_DEP_3)
	v_lshlrev_b32_e32 v7, 2, v9
	v_or_b32_e32 v45, 8, v41
	v_or_b32_e32 v46, 12, v41
	;; [unrolled: 1-line block ×3, first 2 shown]
	v_add_nc_u32_e32 v25, 0xc00, v41
	v_lshlrev_b32_e32 v50, 8, v9
	s_wait_kmcnt 0x0
	s_bitcmp1_b32 s1, 0
	v_mad_co_u64_u32 v[10:11], null, s22, v4, 0
	v_add_nc_u32_e32 v23, 0xc80, v0
	v_and_b32_e32 v0, 15, v4
	s_cselect_b32 s1, -1, 0
	v_mad_co_u64_u32 v[16:17], null, s18, v4, 0
	s_wait_alu 0xfffe
	s_xor_b32 s66, s1, -1
	v_mad_co_u64_u32 v[12:13], null, s40, v7, v[0:1]
	v_mov_b32_e32 v2, v11
	v_mad_co_u64_u32 v[14:15], null, s22, v0, 0
	v_or_b32_e32 v20, 16, v0
	v_lshlrev_b32_e32 v18, 2, v0
	v_cmp_gt_i32_e64 s1, s20, v0
	v_mov_b32_e32 v3, v13
	s_lshl_b32 s42, ttmp9, 5
	v_cmp_gt_i32_e64 s2, s20, v20
	s_ashr_i32 s43, s42, 31
	v_or_b32_e32 v28, v42, v18
	v_mad_co_u64_u32 v[5:6], null, s23, v4, v[2:3]
	v_mad_co_u64_u32 v[6:7], null, s41, v7, v[3:4]
	;; [unrolled: 1-line block ×3, first 2 shown]
	s_add_nc_u64 s[28:29], s[40:41], 1
	s_lshl_b64 s[30:31], s[40:41], 3
	v_mov_b32_e32 v11, v5
	v_mov_b32_e32 v5, v15
	;; [unrolled: 1-line block ×3, first 2 shown]
	s_mul_u64 s[34:35], s[40:41], 12
	s_mul_u64 s[50:51], s[40:41], 3
	s_lshl_b64 s[38:39], s[40:41], 2
	v_mad_co_u64_u32 v[5:6], null, s23, v0, v[5:6]
	v_mad_co_u64_u32 v[6:7], null, s23, v20, v[3:4]
	v_mov_b32_e32 v3, v17
	v_mad_co_u64_u32 v[20:21], null, s40, v9, 0
	v_lshlrev_b32_e32 v19, 2, v4
	v_mov_b32_e32 v15, v5
	s_delay_alu instid0(VALU_DEP_4)
	v_mad_co_u64_u32 v[7:8], null, s19, v4, v[3:4]
	v_or_b32_e32 v5, 0x800, v18
	v_dual_mov_b32 v3, v6 :: v_dual_lshlrev_b32 v6, 7, v9
	v_add_nc_u32_e32 v24, 0xc00, v19
	v_add_nc_u32_e32 v26, 0x800, v19
	v_add_nc_u32_e32 v8, 4, v4
	v_add_nc_u32_e32 v19, 5, v4
	v_add_nc_u32_e32 v27, v5, v6
	v_add_nc_u32_e32 v5, 1, v4
	v_dual_mov_b32 v17, v7 :: v_dual_add_nc_u32 v6, 2, v4
	v_add_nc_u32_e32 v7, 3, v4
	s_and_b32 s20, s0, vcc_lo
	s_delay_alu instid0(VALU_DEP_3) | instskip(NEXT) | instid1(VALU_DEP_3)
	v_and_b32_e32 v5, 15, v5
	v_and_b32_e32 v6, 15, v6
	v_add_nc_u32_e32 v50, v18, v50
	s_and_b32 s3, ttmp7, 0xffff
	s_mul_u64 s[46:47], s[28:29], s[42:43]
	v_lshl_or_b32 v29, v5, 2, v42
	v_lshl_or_b32 v30, v6, 2, v42
	v_and_b32_e32 v5, 15, v7
	v_and_b32_e32 v6, 15, v8
	;; [unrolled: 1-line block ×3, first 2 shown]
	v_add_nc_u32_e32 v8, 6, v4
	v_add_nc_u32_e32 v19, 7, v4
	v_lshl_or_b32 v31, v5, 2, v42
	v_lshl_or_b32 v32, v6, 2, v42
	;; [unrolled: 1-line block ×3, first 2 shown]
	v_and_b32_e32 v5, 15, v8
	v_and_b32_e32 v6, 15, v19
	v_add_nc_u32_e32 v7, 9, v4
	v_add_nc_u32_e32 v8, 10, v4
	v_xor_b32_e32 v19, 8, v0
	v_lshl_or_b32 v0, v5, 2, v42
	v_lshl_or_b32 v34, v6, 2, v42
	v_and_b32_e32 v5, 15, v7
	v_and_b32_e32 v6, 15, v8
	v_add_nc_u32_e32 v7, 11, v4
	v_add_nc_u32_e32 v8, 12, v4
	v_lshl_or_b32 v35, v19, 2, v42
	v_lshl_or_b32 v36, v5, 2, v42
	;; [unrolled: 1-line block ×3, first 2 shown]
	v_add_nc_u32_e32 v5, 13, v4
	v_and_b32_e32 v6, 15, v7
	v_and_b32_e32 v7, 15, v8
	v_dual_mov_b32 v19, v1 :: v_dual_add_nc_u32 v8, 14, v4
	s_delay_alu instid0(VALU_DEP_4) | instskip(NEXT) | instid1(VALU_DEP_4)
	v_and_b32_e32 v5, 15, v5
	v_lshl_or_b32 v38, v6, 2, v42
	v_add_nc_u32_e32 v6, -1, v4
	v_mov_b32_e32 v4, v21
	v_lshl_or_b32 v39, v7, 2, v42
	v_lshl_or_b32 v40, v5, 2, v42
	v_and_b32_e32 v43, 15, v8
	v_and_b32_e32 v44, 15, v6
	v_mad_co_u64_u32 v[21:22], null, s41, v9, v[4:5]
	v_mad_co_u64_u32 v[4:5], null, s40, v45, v[18:19]
	;; [unrolled: 1-line block ×4, first 2 shown]
	v_lshl_or_b32 v41, v43, 2, v42
	v_lshl_or_b32 v42, v44, 2, v42
	v_lshlrev_b64_e32 v[19:20], 4, v[20:21]
	s_mul_u64 s[44:45], s[22:23], s[42:43]
	v_mad_co_u64_u32 v[21:22], null, s41, v45, v[5:6]
	v_mad_co_u64_u32 v[44:45], null, s41, v46, v[7:8]
	;; [unrolled: 1-line block ×3, first 2 shown]
	s_lshl_b64 s[40:41], s[42:43], 2
	v_add_co_u32 v5, vcc_lo, v19, v18
	s_wait_alu 0xfffe
	v_or_b32_e32 v9, s40, v18
	v_add_co_ci_u32_e64 v7, null, 0, v20, vcc_lo
	v_mov_b32_e32 v43, v21
	s_mul_u64 s[48:49], s[18:19], s[42:43]
	s_delay_alu instid0(VALU_DEP_3) | instskip(NEXT) | instid1(VALU_DEP_1)
	v_add_co_u32 v46, s52, 0x100, v9
	v_add_co_ci_u32_e64 v47, null, s41, 0, s52
	v_add_co_u32 v48, s52, 0xc0, v9
	v_lshlrev_b64_e32 v[9:10], 2, v[10:11]
	v_lshlrev_b64_e32 v[11:12], 2, v[12:13]
	;; [unrolled: 1-line block ×4, first 2 shown]
	s_wait_alu 0xf1ff
	v_add_co_ci_u32_e64 v49, null, s41, 0, s52
	s_not_b32 s33, ttmp9
	s_lshl_b32 s67, s3, 5
	s_lshl_b64 s[28:29], s[22:23], 5
	s_lshl_b64 s[36:37], s[18:19], 7
	;; [unrolled: 1-line block ×10, first 2 shown]
	s_sub_nc_u64 s[52:53], 0, s[38:39]
	s_branch .LBB146_3
.LBB146_2:                              ;   in Loop: Header=BB146_3 Depth=1
	s_or_b32 exec_lo, exec_lo, s68
	s_add_co_i32 s4, s4, 0x10000
	s_wait_alu 0xfffe
	s_cmp_lt_u32 s4, s21
	s_cbranch_scc0 .LBB146_38
.LBB146_3:                              ; =>This Loop Header: Depth=1
                                        ;     Child Loop BB146_19 Depth 2
	s_and_b32 vcc_lo, exec_lo, s66
	s_wait_kmcnt 0x0
	s_mov_b32 s54, -1
                                        ; implicit-def: $vgpr51
	s_wait_alu 0xfffe
	s_cbranch_vccz .LBB146_5
; %bb.4:                                ;   in Loop: Header=BB146_3 Depth=1
	s_wait_loadcnt 0x0
	ds_load_b64 v[17:18], v23
	s_mul_u64 s[54:55], s[6:7], s[4:5]
	s_wait_alu 0xfffe
	s_lshl_b64 s[54:55], s[54:55], 2
	s_wait_dscnt 0x0
	s_wait_alu 0xfffe
	v_add_co_u32 v17, vcc_lo, v17, s54
	s_wait_alu 0xfffd
	v_add_co_ci_u32_e64 v18, null, s55, v18, vcc_lo
	s_mov_b32 s54, 0
	flat_load_b32 v51, v[17:18]
.LBB146_5:                              ;   in Loop: Header=BB146_3 Depth=1
	s_wait_alu 0xfffe
	s_and_not1_b32 vcc_lo, exec_lo, s54
	s_wait_alu 0xfffe
	s_cbranch_vccnz .LBB146_7
; %bb.6:                                ;   in Loop: Header=BB146_3 Depth=1
	s_wait_loadcnt_dscnt 0x0
	ds_load_b32 v51, v23
.LBB146_7:                              ;   in Loop: Header=BB146_3 Depth=1
	s_mov_b32 s68, exec_lo
	s_wait_loadcnt_dscnt 0x0
	v_cmpx_neq_f32_e32 0, v51
	s_cbranch_execz .LBB146_2
; %bb.8:                                ;   in Loop: Header=BB146_3 Depth=1
	s_load_b64 s[62:63], s[26:27], 0x0
	s_wait_kmcnt 0x0
	s_add_co_i32 s60, s62, -1
	s_wait_alu 0xfffe
	s_cmp_eq_u32 ttmp9, s60
	s_cbranch_scc1 .LBB146_2
; %bb.9:                                ;   in Loop: Header=BB146_3 Depth=1
	s_lshl_b64 s[54:55], s[4:5], 3
	s_wait_alu 0xfffe
	s_add_nc_u64 s[56:57], s[12:13], s[54:55]
	global_load_b64 v[19:20], v1, s[56:57]
	s_add_nc_u64 s[56:57], s[8:9], s[54:55]
	global_load_b64 v[17:18], v1, s[56:57]
	s_wait_loadcnt 0x1
	v_readfirstlane_b32 s56, v19
	v_readfirstlane_b32 s57, v20
	s_wait_alu 0xfffe
	s_add_nc_u64 s[56:57], s[56:57], s[14:15]
	s_wait_alu 0xfffe
	s_add_nc_u64 s[58:59], s[56:57], s[44:45]
	s_and_saveexec_b32 s61, s0
	s_cbranch_execz .LBB146_11
; %bb.10:                               ;   in Loop: Header=BB146_3 Depth=1
	s_wait_alu 0xfffe
	v_add_co_u32 v19, vcc_lo, s58, v9
	s_wait_alu 0xfffd
	v_add_co_ci_u32_e64 v20, null, s59, v10, vcc_lo
	flat_load_b32 v19, v[19:20]
	s_wait_loadcnt_dscnt 0x0
	ds_store_b32 v24, v19
.LBB146_11:                             ;   in Loop: Header=BB146_3 Depth=1
	s_wait_alu 0xfffe
	s_or_b32 exec_lo, exec_lo, s61
	s_cvt_f32_u32 s61, s63
	s_sub_co_i32 s64, 0, s63
	s_add_co_i32 s60, s60, s33
	s_add_nc_u64 s[54:55], s[24:25], s[54:55]
	s_wait_alu 0xfffe
	v_rcp_iflag_f32_e32 v19, s61
	s_load_b64 s[54:55], s[54:55], 0x0
	s_delay_alu instid0(TRANS32_DEP_1) | instskip(SKIP_2) | instid1(SALU_CYCLE_2)
	v_readfirstlane_b32 s61, v19
	s_mul_f32 s61, s61, 0x4f7ffffe
	s_wait_alu 0xfffe
	s_cvt_u32_f32 s61, s61
	s_wait_alu 0xfffe
	s_delay_alu instid0(SALU_CYCLE_2) | instskip(NEXT) | instid1(SALU_CYCLE_1)
	s_mul_i32 s64, s64, s61
	s_mul_hi_u32 s64, s61, s64
	s_delay_alu instid0(SALU_CYCLE_1)
	s_add_co_i32 s61, s61, s64
	s_wait_alu 0xfffe
	s_mul_hi_u32 s61, s60, s61
	s_wait_alu 0xfffe
	s_mul_i32 s64, s61, s63
	s_add_co_i32 s65, s61, 1
	s_sub_co_i32 s64, s60, s64
	s_delay_alu instid0(SALU_CYCLE_1)
	s_sub_co_i32 s69, s64, s63
	s_cmp_ge_u32 s64, s63
	s_cselect_b32 s61, s65, s61
	s_cselect_b32 s64, s69, s64
	s_wait_alu 0xfffe
	s_add_co_i32 s65, s61, 1
	s_cmp_ge_u32 s64, s63
	s_cselect_b32 s61, s65, s61
	s_add_co_i32 s64, s63, -1
	s_wait_alu 0xfffe
	s_mov_b32 s70, s61
	s_cmp_eq_u32 s3, s64
	s_cselect_b32 s69, -1, 0
	s_cmp_lg_u32 s3, s64
	s_cbranch_scc1 .LBB146_13
; %bb.12:                               ;   in Loop: Header=BB146_3 Depth=1
	s_mul_i32 s63, s61, s63
	s_wait_alu 0xfffe
	s_sub_co_i32 s60, s60, s63
	s_wait_alu 0xfffe
	s_add_co_i32 s70, s60, s61
.LBB146_13:                             ;   in Loop: Header=BB146_3 Depth=1
	s_cmp_lg_u32 s3, s64
	s_cselect_b32 s60, -1, 0
	s_cmp_eq_u32 s70, 0
	s_cselect_b32 s63, -1, 0
	s_wait_alu 0xfffe
	s_and_b32 s60, s60, s63
	s_wait_alu 0xfffe
	s_and_b32 vcc_lo, exec_lo, s60
	s_wait_alu 0xfffe
	s_cbranch_vccnz .LBB146_2
; %bb.14:                               ;   in Loop: Header=BB146_3 Depth=1
	s_wait_loadcnt 0x0
	v_add_co_u32 v17, vcc_lo, v17, s10
	s_wait_alu 0xfffd
	v_add_co_ci_u32_e64 v18, null, s11, v18, vcc_lo
	s_mul_i32 s64, s67, s61
	v_add_co_u32 v17, vcc_lo, v17, s46
	s_ashr_i32 s65, s64, 31
	s_wait_alu 0xfffd
	v_add_co_ci_u32_e64 v18, null, s47, v18, vcc_lo
	s_lshl_b64 s[60:61], s[64:65], 2
	s_mul_u64 s[72:73], s[22:23], s[64:65]
	s_wait_alu 0xfffe
	v_add_co_u32 v56, vcc_lo, v17, s60
	s_wait_alu 0xfffd
	v_add_co_ci_u32_e64 v57, null, s61, v18, vcc_lo
	v_dual_mov_b32 v52, 0 :: v_dual_mov_b32 v63, 0
	v_dual_mov_b32 v64, 0 :: v_dual_mov_b32 v65, 0
	;; [unrolled: 1-line block ×3, first 2 shown]
	s_lshl_b64 s[72:73], s[72:73], 2
	s_add_co_i32 s62, s62, -2
	s_add_nc_u64 s[58:59], s[58:59], s[72:73]
	s_wait_alu 0xfffe
	s_cmp_ge_u32 ttmp9, s62
	s_wait_dscnt 0x0
	s_barrier_signal -1
	s_barrier_wait -1
	global_inv scope:SCOPE_SE
	s_cbranch_scc1 .LBB146_16
; %bb.15:                               ;   in Loop: Header=BB146_3 Depth=1
	v_add_co_u32 v17, vcc_lo, v56, v11
	s_wait_alu 0xfffd
	v_add_co_ci_u32_e64 v18, null, v57, v12, vcc_lo
	s_lshl_b64 s[62:63], s[28:29], 2
	v_add_co_u32 v19, vcc_lo, v17, s38
	s_wait_alu 0xfffd
	v_add_co_ci_u32_e64 v20, null, s39, v18, vcc_lo
	v_add_co_u32 v21, vcc_lo, v17, s30
	s_wait_alu 0xfffe
	s_add_nc_u64 s[62:63], s[58:59], s[62:63]
	s_wait_alu 0xfffd
	v_add_co_ci_u32_e64 v22, null, s31, v18, vcc_lo
	v_add_co_u32 v53, vcc_lo, v17, s34
	s_wait_alu 0xfffd
	v_add_co_ci_u32_e64 v54, null, s35, v18, vcc_lo
	s_wait_alu 0xfffe
	v_add_co_u32 v58, vcc_lo, s62, v13
	s_wait_alu 0xfffd
	v_add_co_ci_u32_e64 v59, null, s63, v14, vcc_lo
	s_clause 0x3
	flat_load_b32 v64, v[17:18] offset:128
	flat_load_b32 v65, v[19:20] offset:128
	flat_load_b32 v66, v[21:22] offset:128
	flat_load_b32 v67, v[53:54] offset:128
	flat_load_b32 v63, v[58:59]
.LBB146_16:                             ;   in Loop: Header=BB146_3 Depth=1
	s_wait_kmcnt 0x0
	s_add_nc_u64 s[54:55], s[54:55], s[16:17]
	s_mul_u64 s[62:63], s[18:19], s[64:65]
	s_wait_alu 0xfffe
	s_add_nc_u64 s[54:55], s[54:55], s[48:49]
	s_lshl_b64 s[62:63], s[62:63], 2
	s_cmp_lt_i32 s70, 1
	s_wait_alu 0xfffe
	s_add_nc_u64 s[62:63], s[54:55], s[62:63]
	s_cbranch_scc1 .LBB146_23
; %bb.17:                               ;   in Loop: Header=BB146_3 Depth=1
	v_mov_b32_e32 v52, 0
	s_cmp_eq_u32 s70, 1
	s_cbranch_scc1 .LBB146_24
; %bb.18:                               ;   in Loop: Header=BB146_3 Depth=1
	v_add_co_u32 v17, vcc_lo, v46, s60
	s_wait_alu 0xfffd
	v_add_co_ci_u32_e64 v18, null, s61, v47, vcc_lo
	v_add_co_u32 v21, vcc_lo, v48, s60
	s_wait_alu 0xfffd
	v_add_co_ci_u32_e64 v22, null, s61, v49, vcc_lo
	v_mul_lo_u32 v52, s23, v17
	v_mul_lo_u32 v18, s22, v18
	v_mad_co_u64_u32 v[19:20], null, s22, v17, 0
	v_mul_lo_u32 v17, s23, v21
	v_mul_lo_u32 v53, s22, v22
	v_mad_co_u64_u32 v[21:22], null, s22, v21, 0
	v_dual_mov_b32 v55, 0 :: v_dual_mov_b32 v54, 0
	v_add3_u32 v20, v20, v18, v52
	v_mov_b32_e32 v52, 0
	s_add_nc_u64 s[58:59], s[40:41], s[60:61]
	s_add_co_i32 s60, s70, -1
	s_delay_alu instid0(VALU_DEP_4)
	v_add3_u32 v22, v22, v53, v17
	s_wait_alu 0xfffe
	v_mov_b32_e32 v17, s62
	v_dual_mov_b32 v53, 0 :: v_dual_mov_b32 v18, s63
	s_mul_u64 s[58:59], s[22:23], s[58:59]
.LBB146_19:                             ;   Parent Loop BB146_3 Depth=1
                                        ; =>  This Inner Loop Header: Depth=2
	v_add_co_u32 v73, vcc_lo, v56, v5
	s_wait_alu 0xfffd
	v_add_co_ci_u32_e64 v74, null, v57, v7, vcc_lo
	v_add_co_u32 v61, vcc_lo, v56, v8
	s_wait_alu 0xfffd
	v_add_co_ci_u32_e64 v62, null, v57, v45, vcc_lo
	;; [unrolled: 3-line block ×3, first 2 shown]
	s_clause 0x2
	flat_load_b32 v69, v[73:74] offset:192
	flat_load_b32 v68, v[61:62] offset:192
	;; [unrolled: 1-line block ×3, first 2 shown]
	v_add_co_u32 v58, vcc_lo, v56, v6
	s_wait_alu 0xfffd
	v_add_co_ci_u32_e64 v59, null, v57, v44, vcc_lo
	v_add_co_u32 v77, vcc_lo, s56, v21
	s_wait_alu 0xfffd
	v_add_co_ci_u32_e64 v78, null, s57, v22, vcc_lo
	flat_load_b32 v71, v[58:59] offset:192
	flat_load_b32 v72, v[77:78]
	v_add_co_u32 v77, vcc_lo, s56, v19
	s_wait_alu 0xfffd
	v_add_co_ci_u32_e64 v78, null, s57, v20, vcc_lo
	s_clause 0x3
	flat_load_b32 v59, v[58:59] offset:256
	flat_load_b32 v60, v[75:76] offset:256
	;; [unrolled: 1-line block ×4, first 2 shown]
	flat_load_b32 v58, v[77:78]
	ds_load_b128 v[73:76], v25
	s_wait_loadcnt_dscnt 0x0
	s_barrier_signal -1
	s_barrier_wait -1
	global_inv scope:SCOPE_SE
	v_fma_f32 v77, v64, v73, 0
	s_delay_alu instid0(VALU_DEP_1) | instskip(NEXT) | instid1(VALU_DEP_1)
	v_fmac_f32_e32 v77, v65, v74
	v_fmac_f32_e32 v77, v66, v75
	s_delay_alu instid0(VALU_DEP_1) | instskip(SKIP_1) | instid1(VALU_DEP_1)
	v_fmac_f32_e32 v77, v67, v76
	v_fma_f32 v73, v69, v73, 0
	v_fmac_f32_e32 v73, v68, v74
	s_delay_alu instid0(VALU_DEP_1) | instskip(NEXT) | instid1(VALU_DEP_1)
	v_fmac_f32_e32 v73, v70, v75
	v_fmac_f32_e32 v73, v71, v76
	ds_store_2addr_b32 v27, v77, v73 offset1:16
	s_wait_loadcnt_dscnt 0x0
	s_barrier_signal -1
	s_barrier_wait -1
	global_inv scope:SCOPE_SE
	s_and_saveexec_b32 s61, s0
	s_cbranch_execz .LBB146_21
; %bb.20:                               ;   in Loop: Header=BB146_19 Depth=2
	ds_load_2addr_b32 v[73:74], v26 offset1:32
	ds_load_2addr_b32 v[75:76], v26 offset0:64 offset1:96
	ds_load_2addr_b32 v[77:78], v26 offset0:128 offset1:160
	v_add_co_u32 v17, vcc_lo, v17, s36
	s_wait_alu 0xfffd
	v_add_co_ci_u32_e64 v18, null, s37, v18, vcc_lo
	s_wait_dscnt 0x2
	v_add_f32_e32 v73, 0, v73
	s_delay_alu instid0(VALU_DEP_1) | instskip(SKIP_1) | instid1(VALU_DEP_1)
	v_add_f32_e32 v73, v73, v74
	s_wait_dscnt 0x1
	v_add_f32_e32 v75, v73, v75
	ds_load_2addr_b32 v[73:74], v26 offset0:192 offset1:224
	v_add_f32_e32 v75, v75, v76
	s_wait_dscnt 0x1
	s_delay_alu instid0(VALU_DEP_1) | instskip(NEXT) | instid1(VALU_DEP_1)
	v_add_f32_e32 v75, v75, v77
	v_add_f32_e32 v75, v75, v78
	s_wait_dscnt 0x0
	s_delay_alu instid0(VALU_DEP_1) | instskip(NEXT) | instid1(VALU_DEP_1)
	v_add_f32_e32 v73, v75, v73
	v_add_f32_e32 v75, v73, v74
	v_add_co_u32 v73, vcc_lo, v17, v15
	s_wait_alu 0xfffd
	v_add_co_ci_u32_e64 v74, null, v18, v16, vcc_lo
	s_delay_alu instid0(VALU_DEP_3)
	v_mul_f32_e32 v75, v51, v75
	flat_atomic_add_f32 v[73:74], v75 scope:SCOPE_DEV
.LBB146_21:                             ;   in Loop: Header=BB146_19 Depth=2
	s_wait_alu 0xfffe
	s_or_b32 exec_lo, exec_lo, s61
	v_fmac_f32_e32 v54, v63, v66
	v_fmac_f32_e32 v53, v63, v64
	;; [unrolled: 1-line block ×4, first 2 shown]
	v_add_co_u32 v56, vcc_lo, 0x80, v56
	v_fmac_f32_e32 v54, v72, v70
	v_fmac_f32_e32 v53, v72, v69
	;; [unrolled: 1-line block ×4, first 2 shown]
	s_wait_alu 0xfffd
	v_add_co_ci_u32_e64 v57, null, 0, v57, vcc_lo
	s_add_co_i32 s60, s60, -1
	s_add_nc_u64 s[56:57], s[56:57], s[42:43]
	s_wait_alu 0xfffe
	s_cmp_eq_u32 s60, 0
	s_cbranch_scc1 .LBB146_25
; %bb.22:                               ;   in Loop: Header=BB146_19 Depth=2
	v_dual_mov_b32 v63, v58 :: v_dual_mov_b32 v64, v62
	v_dual_mov_b32 v65, v61 :: v_dual_mov_b32 v66, v60
	v_mov_b32_e32 v67, v59
	s_branch .LBB146_19
.LBB146_23:                             ;   in Loop: Header=BB146_3 Depth=1
	s_wait_alu 0xfffe
	v_dual_mov_b32 v17, s62 :: v_dual_mov_b32 v18, s63
	v_dual_mov_b32 v54, 0 :: v_dual_mov_b32 v55, 0
	s_wait_loadcnt_dscnt 0x0
	v_dual_mov_b32 v53, 0 :: v_dual_mov_b32 v58, v63
	v_mov_b32_e32 v19, 0
	s_and_b32 vcc_lo, exec_lo, s69
	s_wait_alu 0xfffe
	s_cbranch_vccnz .LBB146_29
	s_branch .LBB146_36
.LBB146_24:                             ;   in Loop: Header=BB146_3 Depth=1
	s_wait_alu 0xfffe
	v_dual_mov_b32 v17, s62 :: v_dual_mov_b32 v18, s63
	s_wait_loadcnt_dscnt 0x101
	v_dual_mov_b32 v59, v67 :: v_dual_mov_b32 v60, v66
	v_dual_mov_b32 v61, v65 :: v_dual_mov_b32 v62, v64
	;; [unrolled: 1-line block ×3, first 2 shown]
	s_wait_loadcnt_dscnt 0x0
	v_dual_mov_b32 v53, 0 :: v_dual_mov_b32 v58, v63
	s_branch .LBB146_26
.LBB146_25:                             ;   in Loop: Header=BB146_3 Depth=1
	s_add_nc_u64 s[58:59], s[56:57], s[58:59]
.LBB146_26:                             ;   in Loop: Header=BB146_3 Depth=1
	v_add_co_u32 v63, vcc_lo, v56, v11
	s_wait_alu 0xfffd
	v_add_co_ci_u32_e64 v64, null, v57, v12, vcc_lo
	v_lshlrev_b64_e32 v[67:68], 2, v[2:3]
	s_delay_alu instid0(VALU_DEP_3) | instskip(SKIP_1) | instid1(VALU_DEP_3)
	v_add_co_u32 v65, vcc_lo, v63, s50
	s_wait_alu 0xfffd
	v_add_co_ci_u32_e64 v66, null, s51, v64, vcc_lo
	s_lshl_b64 s[56:57], s[28:29], 2
	v_add_co_u32 v19, vcc_lo, v65, s52
	s_wait_alu 0xfffd
	v_add_co_ci_u32_e64 v20, null, s53, v66, vcc_lo
	s_wait_alu 0xfffe
	s_add_nc_u64 s[58:59], s[58:59], s[56:57]
	v_add_co_u32 v21, vcc_lo, v19, s52
	s_wait_alu 0xfffd
	v_add_co_ci_u32_e64 v22, null, s53, v20, vcc_lo
	s_clause 0x2
	flat_load_b32 v20, v[19:20] offset:192
	flat_load_b32 v22, v[21:22] offset:192
	;; [unrolled: 1-line block ×3, first 2 shown]
	s_wait_alu 0xfffe
	v_add_co_u32 v64, vcc_lo, s58, v67
	flat_load_b32 v21, v[65:66] offset:192
	s_wait_alu 0xfffd
	v_add_co_ci_u32_e64 v65, null, s59, v68, vcc_lo
	flat_load_b32 v19, v[64:65]
	ds_load_b128 v[64:67], v25
	s_wait_storecnt 0x0
	s_wait_loadcnt_dscnt 0x0
	s_barrier_signal -1
	s_barrier_wait -1
	global_inv scope:SCOPE_SE
	v_fma_f32 v68, v62, v64, 0
	s_delay_alu instid0(VALU_DEP_1) | instskip(NEXT) | instid1(VALU_DEP_1)
	v_fmac_f32_e32 v68, v61, v65
	v_fmac_f32_e32 v68, v60, v66
	s_delay_alu instid0(VALU_DEP_1) | instskip(SKIP_1) | instid1(VALU_DEP_1)
	v_fmac_f32_e32 v68, v59, v67
	v_fma_f32 v64, v63, v64, 0
	v_fmac_f32_e32 v64, v22, v65
	s_delay_alu instid0(VALU_DEP_1) | instskip(NEXT) | instid1(VALU_DEP_1)
	v_fmac_f32_e32 v64, v20, v66
	v_fmac_f32_e32 v64, v21, v67
	ds_store_2addr_b32 v27, v68, v64 offset1:16
	s_wait_loadcnt_dscnt 0x0
	s_barrier_signal -1
	s_barrier_wait -1
	global_inv scope:SCOPE_SE
	s_and_saveexec_b32 s56, s0
	s_cbranch_execz .LBB146_28
; %bb.27:                               ;   in Loop: Header=BB146_3 Depth=1
	ds_load_2addr_b32 v[64:65], v26 offset1:32
	ds_load_2addr_b32 v[66:67], v26 offset0:64 offset1:96
	ds_load_2addr_b32 v[68:69], v26 offset0:128 offset1:160
	v_add_co_u32 v17, vcc_lo, v17, s36
	s_wait_alu 0xfffd
	v_add_co_ci_u32_e64 v18, null, s37, v18, vcc_lo
	s_wait_dscnt 0x2
	v_add_f32_e32 v64, 0, v64
	s_delay_alu instid0(VALU_DEP_1) | instskip(SKIP_1) | instid1(VALU_DEP_1)
	v_add_f32_e32 v64, v64, v65
	s_wait_dscnt 0x1
	v_add_f32_e32 v66, v64, v66
	ds_load_2addr_b32 v[64:65], v26 offset0:192 offset1:224
	v_add_f32_e32 v66, v66, v67
	s_wait_dscnt 0x1
	s_delay_alu instid0(VALU_DEP_1) | instskip(NEXT) | instid1(VALU_DEP_1)
	v_add_f32_e32 v66, v66, v68
	v_add_f32_e32 v66, v66, v69
	s_wait_dscnt 0x0
	s_delay_alu instid0(VALU_DEP_1) | instskip(NEXT) | instid1(VALU_DEP_1)
	v_add_f32_e32 v64, v66, v64
	v_add_f32_e32 v66, v64, v65
	v_add_co_u32 v64, vcc_lo, v17, v15
	s_wait_alu 0xfffd
	v_add_co_ci_u32_e64 v65, null, v18, v16, vcc_lo
	s_delay_alu instid0(VALU_DEP_3)
	v_mul_f32_e32 v66, v51, v66
	flat_atomic_add_f32 v[64:65], v66 scope:SCOPE_DEV
.LBB146_28:                             ;   in Loop: Header=BB146_3 Depth=1
	s_wait_alu 0xfffe
	s_or_b32 exec_lo, exec_lo, s56
	v_fmac_f32_e32 v55, v58, v61
	v_fmac_f32_e32 v54, v58, v60
	;; [unrolled: 1-line block ×4, first 2 shown]
	v_add_co_u32 v56, vcc_lo, 0x80, v56
	v_fmac_f32_e32 v55, v19, v22
	v_fmac_f32_e32 v54, v19, v20
	v_fmac_f32_e32 v53, v19, v63
	v_fmac_f32_e32 v52, v19, v21
	s_wait_alu 0xfffd
	v_add_co_ci_u32_e64 v57, null, 0, v57, vcc_lo
	s_and_b32 vcc_lo, exec_lo, s69
	s_wait_alu 0xfffe
	s_cbranch_vccz .LBB146_36
.LBB146_29:                             ;   in Loop: Header=BB146_3 Depth=1
	v_dual_mov_b32 v20, 0 :: v_dual_mov_b32 v21, 0
	v_dual_mov_b32 v22, 0 :: v_dual_mov_b32 v59, 0
	v_mov_b32_e32 v60, 0
	s_lshl_b64 s[56:57], s[28:29], 2
	s_wait_alu 0xfffe
	s_add_nc_u64 s[56:57], s[58:59], s[56:57]
	s_and_saveexec_b32 s58, s1
	s_cbranch_execz .LBB146_31
; %bb.30:                               ;   in Loop: Header=BB146_3 Depth=1
	v_add_co_u32 v21, vcc_lo, v56, v11
	s_wait_alu 0xfffd
	v_add_co_ci_u32_e64 v22, null, v57, v12, vcc_lo
	s_delay_alu instid0(VALU_DEP_2) | instskip(SKIP_1) | instid1(VALU_DEP_2)
	v_add_co_u32 v58, vcc_lo, v21, s38
	s_wait_alu 0xfffd
	v_add_co_ci_u32_e64 v59, null, s39, v22, vcc_lo
	v_add_co_u32 v60, vcc_lo, v21, s30
	s_wait_alu 0xfffd
	v_add_co_ci_u32_e64 v61, null, s31, v22, vcc_lo
	;; [unrolled: 3-line block ×3, first 2 shown]
	s_wait_alu 0xfffe
	v_add_co_u32 v64, vcc_lo, s56, v13
	s_wait_alu 0xfffd
	v_add_co_ci_u32_e64 v65, null, s57, v14, vcc_lo
	s_clause 0x3
	flat_load_b32 v21, v[21:22] offset:128
	flat_load_b32 v22, v[58:59] offset:128
	;; [unrolled: 1-line block ×4, first 2 shown]
	flat_load_b32 v58, v[64:65]
.LBB146_31:                             ;   in Loop: Header=BB146_3 Depth=1
	s_wait_alu 0xfffe
	s_or_b32 exec_lo, exec_lo, s58
	v_dual_mov_b32 v61, 0 :: v_dual_mov_b32 v62, 0
	v_mov_b32_e32 v63, 0
	s_and_saveexec_b32 s58, s2
	s_cbranch_execz .LBB146_33
; %bb.32:                               ;   in Loop: Header=BB146_3 Depth=1
	v_add_co_u32 v19, vcc_lo, v56, v11
	s_wait_alu 0xfffd
	v_add_co_ci_u32_e64 v20, null, v57, v12, vcc_lo
	v_lshlrev_b64_e32 v[64:65], 2, v[2:3]
	s_delay_alu instid0(VALU_DEP_3) | instskip(SKIP_1) | instid1(VALU_DEP_3)
	v_add_co_u32 v56, vcc_lo, v19, s38
	s_wait_alu 0xfffd
	v_add_co_ci_u32_e64 v57, null, s39, v20, vcc_lo
	v_add_co_u32 v62, vcc_lo, v19, s30
	s_wait_alu 0xfffd
	v_add_co_ci_u32_e64 v63, null, s31, v20, vcc_lo
	v_add_co_u32 v66, vcc_lo, v19, s34
	s_wait_alu 0xfffd
	v_add_co_ci_u32_e64 v67, null, s35, v20, vcc_lo
	v_add_co_u32 v64, vcc_lo, s56, v64
	s_wait_alu 0xfffd
	v_add_co_ci_u32_e64 v65, null, s57, v65, vcc_lo
	s_clause 0x3
	flat_load_b32 v20, v[19:20] offset:192
	flat_load_b32 v61, v[56:57] offset:192
	;; [unrolled: 1-line block ×4, first 2 shown]
	flat_load_b32 v19, v[64:65]
.LBB146_33:                             ;   in Loop: Header=BB146_3 Depth=1
	s_wait_alu 0xfffe
	s_or_b32 exec_lo, exec_lo, s58
	ds_load_b128 v[64:67], v25
	s_wait_storecnt 0x0
	s_wait_loadcnt_dscnt 0x0
	s_barrier_signal -1
	s_barrier_wait -1
	global_inv scope:SCOPE_SE
	v_fma_f32 v56, v20, v64, 0
	v_fma_f32 v57, v21, v64, 0
	s_delay_alu instid0(VALU_DEP_1) | instskip(NEXT) | instid1(VALU_DEP_1)
	v_fmac_f32_e32 v57, v22, v65
	v_dual_fmac_f32 v56, v61, v65 :: v_dual_fmac_f32 v57, v59, v66
	s_delay_alu instid0(VALU_DEP_1) | instskip(NEXT) | instid1(VALU_DEP_1)
	v_dual_fmac_f32 v56, v62, v66 :: v_dual_fmac_f32 v57, v60, v67
	v_fmac_f32_e32 v56, v63, v67
	ds_store_2addr_b32 v27, v57, v56 offset1:16
	s_wait_loadcnt_dscnt 0x0
	s_barrier_signal -1
	s_barrier_wait -1
	global_inv scope:SCOPE_SE
	s_and_saveexec_b32 s56, s20
	s_cbranch_execz .LBB146_35
; %bb.34:                               ;   in Loop: Header=BB146_3 Depth=1
	ds_load_2addr_b32 v[56:57], v26 offset1:32
	ds_load_2addr_b32 v[64:65], v26 offset0:64 offset1:96
	ds_load_2addr_b32 v[66:67], v26 offset0:128 offset1:160
	v_add_co_u32 v17, vcc_lo, v17, s36
	s_wait_alu 0xfffd
	v_add_co_ci_u32_e64 v18, null, s37, v18, vcc_lo
	s_delay_alu instid0(VALU_DEP_2) | instskip(SKIP_1) | instid1(VALU_DEP_2)
	v_add_co_u32 v17, vcc_lo, v17, v15
	s_wait_alu 0xfffd
	v_add_co_ci_u32_e64 v18, null, v18, v16, vcc_lo
	s_wait_dscnt 0x2
	v_add_f32_e32 v56, 0, v56
	s_delay_alu instid0(VALU_DEP_1) | instskip(SKIP_1) | instid1(VALU_DEP_1)
	v_add_f32_e32 v56, v56, v57
	s_wait_dscnt 0x1
	v_add_f32_e32 v64, v56, v64
	ds_load_2addr_b32 v[56:57], v26 offset0:192 offset1:224
	v_add_f32_e32 v64, v64, v65
	s_wait_dscnt 0x1
	s_delay_alu instid0(VALU_DEP_1) | instskip(NEXT) | instid1(VALU_DEP_1)
	v_add_f32_e32 v64, v64, v66
	v_add_f32_e32 v64, v64, v67
	s_wait_dscnt 0x0
	s_delay_alu instid0(VALU_DEP_1) | instskip(NEXT) | instid1(VALU_DEP_1)
	v_add_f32_e32 v56, v64, v56
	v_add_f32_e32 v56, v56, v57
	s_delay_alu instid0(VALU_DEP_1)
	v_mul_f32_e32 v56, v51, v56
	flat_atomic_add_f32 v[17:18], v56 scope:SCOPE_DEV
.LBB146_35:                             ;   in Loop: Header=BB146_3 Depth=1
	s_wait_alu 0xfffe
	s_or_b32 exec_lo, exec_lo, s56
	v_fmac_f32_e32 v54, v58, v59
	v_fmac_f32_e32 v53, v58, v21
	;; [unrolled: 1-line block ×4, first 2 shown]
	s_delay_alu instid0(VALU_DEP_4) | instskip(NEXT) | instid1(VALU_DEP_4)
	v_fmac_f32_e32 v54, v19, v62
	v_fmac_f32_e32 v53, v19, v20
	s_delay_alu instid0(VALU_DEP_4) | instskip(NEXT) | instid1(VALU_DEP_4)
	v_fmac_f32_e32 v52, v19, v63
	v_fmac_f32_e32 v55, v19, v61
.LBB146_36:                             ;   in Loop: Header=BB146_3 Depth=1
	ds_store_2addr_b32 v50, v53, v55 offset1:16
	ds_store_2addr_b32 v50, v54, v52 offset0:32 offset1:48
	s_wait_storecnt 0x0
	s_wait_loadcnt_dscnt 0x0
	s_barrier_signal -1
	s_barrier_wait -1
	global_inv scope:SCOPE_SE
	s_and_b32 exec_lo, exec_lo, s0
	s_cbranch_execz .LBB146_2
; %bb.37:                               ;   in Loop: Header=BB146_3 Depth=1
	ds_load_b32 v17, v28
	ds_load_b32 v18, v29
	;; [unrolled: 1-line block ×8, first 2 shown]
	s_wait_dscnt 0x7
	v_add_f32_e32 v17, 0, v17
	s_wait_dscnt 0x6
	s_delay_alu instid0(VALU_DEP_1)
	v_add_f32_e32 v17, v17, v18
	ds_load_b32 v18, v35
	s_wait_dscnt 0x6
	v_add_f32_e32 v17, v17, v19
	ds_load_b32 v19, v36
	s_wait_dscnt 0x6
	;; [unrolled: 3-line block ×3, first 2 shown]
	v_add_f32_e32 v17, v17, v21
	s_wait_dscnt 0x5
	s_delay_alu instid0(VALU_DEP_1) | instskip(SKIP_1) | instid1(VALU_DEP_1)
	v_add_f32_e32 v17, v17, v22
	s_wait_dscnt 0x4
	v_add_f32_e32 v17, v17, v52
	s_wait_dscnt 0x3
	s_delay_alu instid0(VALU_DEP_1)
	v_add_f32_e32 v17, v17, v53
	ds_load_b32 v21, v38
	ds_load_b32 v22, v39
	;; [unrolled: 1-line block ×5, first 2 shown]
	s_wait_dscnt 0x7
	v_add_f32_e32 v17, v17, v18
	s_wait_dscnt 0x6
	s_delay_alu instid0(VALU_DEP_1) | instskip(SKIP_1) | instid1(VALU_DEP_1)
	v_add_f32_e32 v17, v17, v19
	s_wait_dscnt 0x5
	v_add_f32_e32 v17, v17, v20
	s_wait_dscnt 0x4
	s_delay_alu instid0(VALU_DEP_1) | instskip(SKIP_1) | instid1(VALU_DEP_1)
	v_add_f32_e32 v17, v17, v21
	;; [unrolled: 5-line block ×3, first 2 shown]
	s_wait_dscnt 0x1
	v_add_f32_e32 v17, v17, v53
	s_wait_dscnt 0x0
	s_delay_alu instid0(VALU_DEP_1) | instskip(SKIP_3) | instid1(VALU_DEP_3)
	v_add_f32_e32 v19, v17, v54
	v_add_co_u32 v17, vcc_lo, s54, v15
	s_wait_alu 0xfffd
	v_add_co_ci_u32_e64 v18, null, s55, v16, vcc_lo
	v_mul_f32_e32 v19, v51, v19
	flat_atomic_add_f32 v[17:18], v19 scope:SCOPE_DEV
	s_branch .LBB146_2
.LBB146_38:
	s_endpgm
	.section	.rodata,"a",@progbits
	.p2align	6, 0x0
	.amdhsa_kernel _ZL62rocblas_symv_kernel_lower_double_buffered_non_diagonal_genericILi32ELi4ELi4E24rocblas_internal_val_ptrIfEPKPKfPKPfEvbiT2_lT3_lllSA_lllT4_lllii
		.amdhsa_group_segment_fixed_size 4224
		.amdhsa_private_segment_fixed_size 0
		.amdhsa_kernarg_size 384
		.amdhsa_user_sgpr_count 4
		.amdhsa_user_sgpr_dispatch_ptr 1
		.amdhsa_user_sgpr_queue_ptr 0
		.amdhsa_user_sgpr_kernarg_segment_ptr 1
		.amdhsa_user_sgpr_dispatch_id 0
		.amdhsa_user_sgpr_private_segment_size 0
		.amdhsa_wavefront_size32 1
		.amdhsa_uses_dynamic_stack 0
		.amdhsa_enable_private_segment 0
		.amdhsa_system_sgpr_workgroup_id_x 1
		.amdhsa_system_sgpr_workgroup_id_y 1
		.amdhsa_system_sgpr_workgroup_id_z 1
		.amdhsa_system_sgpr_workgroup_info 0
		.amdhsa_system_vgpr_workitem_id 2
		.amdhsa_next_free_vgpr 79
		.amdhsa_next_free_sgpr 74
		.amdhsa_reserve_vcc 1
		.amdhsa_float_round_mode_32 0
		.amdhsa_float_round_mode_16_64 0
		.amdhsa_float_denorm_mode_32 3
		.amdhsa_float_denorm_mode_16_64 3
		.amdhsa_fp16_overflow 0
		.amdhsa_workgroup_processor_mode 1
		.amdhsa_memory_ordered 1
		.amdhsa_forward_progress 1
		.amdhsa_inst_pref_size 36
		.amdhsa_round_robin_scheduling 0
		.amdhsa_exception_fp_ieee_invalid_op 0
		.amdhsa_exception_fp_denorm_src 0
		.amdhsa_exception_fp_ieee_div_zero 0
		.amdhsa_exception_fp_ieee_overflow 0
		.amdhsa_exception_fp_ieee_underflow 0
		.amdhsa_exception_fp_ieee_inexact 0
		.amdhsa_exception_int_div_zero 0
	.end_amdhsa_kernel
	.section	.text._ZL62rocblas_symv_kernel_lower_double_buffered_non_diagonal_genericILi32ELi4ELi4E24rocblas_internal_val_ptrIfEPKPKfPKPfEvbiT2_lT3_lllSA_lllT4_lllii,"axG",@progbits,_ZL62rocblas_symv_kernel_lower_double_buffered_non_diagonal_genericILi32ELi4ELi4E24rocblas_internal_val_ptrIfEPKPKfPKPfEvbiT2_lT3_lllSA_lllT4_lllii,comdat
.Lfunc_end146:
	.size	_ZL62rocblas_symv_kernel_lower_double_buffered_non_diagonal_genericILi32ELi4ELi4E24rocblas_internal_val_ptrIfEPKPKfPKPfEvbiT2_lT3_lllSA_lllT4_lllii, .Lfunc_end146-_ZL62rocblas_symv_kernel_lower_double_buffered_non_diagonal_genericILi32ELi4ELi4E24rocblas_internal_val_ptrIfEPKPKfPKPfEvbiT2_lT3_lllSA_lllT4_lllii
                                        ; -- End function
	.set _ZL62rocblas_symv_kernel_lower_double_buffered_non_diagonal_genericILi32ELi4ELi4E24rocblas_internal_val_ptrIfEPKPKfPKPfEvbiT2_lT3_lllSA_lllT4_lllii.num_vgpr, 79
	.set _ZL62rocblas_symv_kernel_lower_double_buffered_non_diagonal_genericILi32ELi4ELi4E24rocblas_internal_val_ptrIfEPKPKfPKPfEvbiT2_lT3_lllSA_lllT4_lllii.num_agpr, 0
	.set _ZL62rocblas_symv_kernel_lower_double_buffered_non_diagonal_genericILi32ELi4ELi4E24rocblas_internal_val_ptrIfEPKPKfPKPfEvbiT2_lT3_lllSA_lllT4_lllii.numbered_sgpr, 74
	.set _ZL62rocblas_symv_kernel_lower_double_buffered_non_diagonal_genericILi32ELi4ELi4E24rocblas_internal_val_ptrIfEPKPKfPKPfEvbiT2_lT3_lllSA_lllT4_lllii.num_named_barrier, 0
	.set _ZL62rocblas_symv_kernel_lower_double_buffered_non_diagonal_genericILi32ELi4ELi4E24rocblas_internal_val_ptrIfEPKPKfPKPfEvbiT2_lT3_lllSA_lllT4_lllii.private_seg_size, 0
	.set _ZL62rocblas_symv_kernel_lower_double_buffered_non_diagonal_genericILi32ELi4ELi4E24rocblas_internal_val_ptrIfEPKPKfPKPfEvbiT2_lT3_lllSA_lllT4_lllii.uses_vcc, 1
	.set _ZL62rocblas_symv_kernel_lower_double_buffered_non_diagonal_genericILi32ELi4ELi4E24rocblas_internal_val_ptrIfEPKPKfPKPfEvbiT2_lT3_lllSA_lllT4_lllii.uses_flat_scratch, 1
	.set _ZL62rocblas_symv_kernel_lower_double_buffered_non_diagonal_genericILi32ELi4ELi4E24rocblas_internal_val_ptrIfEPKPKfPKPfEvbiT2_lT3_lllSA_lllT4_lllii.has_dyn_sized_stack, 0
	.set _ZL62rocblas_symv_kernel_lower_double_buffered_non_diagonal_genericILi32ELi4ELi4E24rocblas_internal_val_ptrIfEPKPKfPKPfEvbiT2_lT3_lllSA_lllT4_lllii.has_recursion, 0
	.set _ZL62rocblas_symv_kernel_lower_double_buffered_non_diagonal_genericILi32ELi4ELi4E24rocblas_internal_val_ptrIfEPKPKfPKPfEvbiT2_lT3_lllSA_lllT4_lllii.has_indirect_call, 0
	.section	.AMDGPU.csdata,"",@progbits
; Kernel info:
; codeLenInByte = 4508
; TotalNumSgprs: 76
; NumVgprs: 79
; ScratchSize: 0
; MemoryBound: 0
; FloatMode: 240
; IeeeMode: 1
; LDSByteSize: 4224 bytes/workgroup (compile time only)
; SGPRBlocks: 0
; VGPRBlocks: 9
; NumSGPRsForWavesPerEU: 76
; NumVGPRsForWavesPerEU: 79
; Occupancy: 16
; WaveLimiterHint : 1
; COMPUTE_PGM_RSRC2:SCRATCH_EN: 0
; COMPUTE_PGM_RSRC2:USER_SGPR: 4
; COMPUTE_PGM_RSRC2:TRAP_HANDLER: 0
; COMPUTE_PGM_RSRC2:TGID_X_EN: 1
; COMPUTE_PGM_RSRC2:TGID_Y_EN: 1
; COMPUTE_PGM_RSRC2:TGID_Z_EN: 1
; COMPUTE_PGM_RSRC2:TIDIG_COMP_CNT: 2
	.section	.text._ZL26rocblas_hemvn_kernel_lowerILb0ELi64ELi4ELi33ELi32ELi16ElPKfPKS1_PfEviT6_lT7_lT5_lS6_lS7_lS5_lT8_i,"axG",@progbits,_ZL26rocblas_hemvn_kernel_lowerILb0ELi64ELi4ELi33ELi32ELi16ElPKfPKS1_PfEviT6_lT7_lT5_lS6_lS7_lS5_lT8_i,comdat
	.globl	_ZL26rocblas_hemvn_kernel_lowerILb0ELi64ELi4ELi33ELi32ELi16ElPKfPKS1_PfEviT6_lT7_lT5_lS6_lS7_lS5_lT8_i ; -- Begin function _ZL26rocblas_hemvn_kernel_lowerILb0ELi64ELi4ELi33ELi32ELi16ElPKfPKS1_PfEviT6_lT7_lT5_lS6_lS7_lS5_lT8_i
	.p2align	8
	.type	_ZL26rocblas_hemvn_kernel_lowerILb0ELi64ELi4ELi33ELi32ELi16ElPKfPKS1_PfEviT6_lT7_lT5_lS6_lS7_lS5_lT8_i,@function
_ZL26rocblas_hemvn_kernel_lowerILb0ELi64ELi4ELi33ELi32ELi16ElPKfPKS1_PfEviT6_lT7_lT5_lS6_lS7_lS5_lT8_i: ; @_ZL26rocblas_hemvn_kernel_lowerILb0ELi64ELi4ELi33ELi32ELi16ElPKfPKS1_PfEviT6_lT7_lT5_lS6_lS7_lS5_lT8_i
; %bb.0:
	s_clause 0x1
	s_load_b64 s[2:3], s[0:1], 0x84
	s_load_b32 s33, s[0:1], 0x70
	s_lshr_b32 s34, ttmp7, 16
	s_wait_kmcnt 0x0
	s_lshr_b32 s4, s2, 16
	s_and_b32 s2, s2, 0xffff
	s_and_b32 s3, s3, 0xffff
	s_mul_i32 s2, s4, s2
	s_delay_alu instid0(SALU_CYCLE_1) | instskip(NEXT) | instid1(SALU_CYCLE_1)
	s_mul_i32 s2, s2, s3
	s_cmp_lg_u32 s2, 0x100
	s_cselect_b32 s2, -1, 0
	s_cmp_ge_u32 s34, s33
	s_cselect_b32 s3, -1, 0
	s_delay_alu instid0(SALU_CYCLE_1) | instskip(NEXT) | instid1(SALU_CYCLE_1)
	s_or_b32 s2, s2, s3
	s_and_b32 vcc_lo, exec_lo, s2
	s_cbranch_vccnz .LBB147_81
; %bb.1:
	s_clause 0x1
	s_load_b32 s2, s[0:1], 0x0
	s_load_b64 s[40:41], s[0:1], 0x48
	s_add_nc_u64 s[4:5], s[0:1], 0x78
	v_dual_mov_b32 v17, 0 :: v_dual_and_b32 v32, 0x3ff, v0
	s_load_b32 s42, s[4:5], 0x0
	v_bfe_u32 v14, v0, 10, 10
	s_clause 0x4
	s_load_b64 s[88:89], s[0:1], 0x28
	s_load_b128 s[36:39], s[0:1], 0x58
	s_load_b128 s[28:31], s[0:1], 0x38
	s_load_b64 s[4:5], s[0:1], 0x68
	s_load_b256 s[20:27], s[0:1], 0x8
	v_lshl_add_u32 v15, v14, 6, v32
	v_and_b32_e32 v16, 31, v0
	s_lshl_b32 s90, ttmp9, 6
	s_mov_b32 s43, 0
	v_add_nc_u32_e32 v1, s90, v32
	v_lshrrev_b32_e32 v12, 5, v15
	v_lshlrev_b32_e32 v24, 2, v16
	v_lshlrev_b32_e32 v33, 2, v32
	v_and_b32_e32 v29, 0x7ff0, v15
	s_wait_kmcnt 0x0
	s_ashr_i32 s3, s2, 31
	v_lshlrev_b32_e32 v18, 2, v12
	s_lshr_b32 s0, s3, 26
	v_ashrrev_i32_e32 v2, 31, v1
	s_add_co_i32 s0, s2, s0
	s_add_co_i32 s1, s42, -1
	s_and_not1_b32 s0, s0, 63
	v_lshl_or_b32 v36, v16, 7, v24
	s_sub_co_i32 s0, s2, s0
	s_cmp_eq_u32 ttmp9, s1
	v_lshlrev_b32_e32 v19, 4, v12
	s_cselect_b32 s44, s0, 0
	s_mul_i32 s6, s2, ttmp9
	v_cmp_gt_i32_e32 vcc_lo, s44, v32
	s_cmp_eq_u32 s44, 0
	v_or_b32_e32 v20, 1, v18
	s_cselect_b32 s1, -1, 0
	s_ashr_i32 s7, s6, 31
	v_mul_lo_u32 v7, s40, v2
	v_mul_lo_u32 v8, s41, v1
	v_mad_co_u64_u32 v[3:4], null, s40, v1, 0
	v_mad_co_u64_u32 v[5:6], null, s88, v12, v[16:17]
	s_or_b32 s100, s1, vcc_lo
	s_lshl_b64 s[6:7], s[6:7], 2
	s_ashr_i32 s91, s90, 31
	v_add_nc_u32_e32 v10, 8, v12
	v_add_nc_u32_e32 v11, 16, v12
	;; [unrolled: 1-line block ×4, first 2 shown]
	v_lshlrev_b32_e32 v19, 2, v14
	s_cmp_lg_u32 s44, 0
	s_add_nc_u64 s[48:49], s[4:5], s[6:7]
	s_cselect_b32 s17, -1, 0
	v_cmp_lt_u32_e64 s7, v20, v16
	v_mul_u32_u24_e32 v26, 0x84, v20
	v_mul_u32_u24_e32 v20, 33, v16
	s_sub_co_i32 s15, s44, 32
	s_mul_u64 s[46:47], s[42:43], s[2:3]
	v_cmp_gt_i32_e64 s3, s44, v10
	v_cmp_gt_i32_e64 s4, s44, v11
	;; [unrolled: 1-line block ×4, first 2 shown]
	v_mad_co_u64_u32 v[10:11], null, s88, v19, 0
	v_add3_u32 v4, v4, v7, v8
	v_mad_co_u64_u32 v[7:8], null, s89, v12, v[6:7]
	v_lshl_add_u32 v39, v20, 2, v18
	v_cmp_le_i32_e32 vcc_lo, s44, v32
	v_sub_co_u32 v8, s2, 0, v16
	v_add_nc_u32_e32 v13, 24, v12
	v_mul_u32_u24_e32 v22, 0x84, v12
	v_sub_co_ci_u32_e64 v9, null, 0, 0, s2
	v_cmp_gt_i32_e64 s2, s44, v12
	v_mul_u32_u24_e32 v25, 0x210, v12
	v_cmp_gt_i32_e64 s12, s15, v12
	v_cmp_eq_u32_e64 s16, 1, v12
	v_mul_i32_i24_e32 v27, -12, v12
	v_mad_u32_u24 v40, v12, 12, v39
	v_mad_co_u64_u32 v[11:12], null, s89, v19, v[11:12]
	s_and_b32 s17, s17, vcc_lo
	v_sub_co_u32 v12, vcc_lo, 0, v5
	v_mov_b32_e32 v6, v7
	v_cmp_gt_i32_e64 s5, s44, v13
	v_or_b32_e32 v21, 2, v18
	v_cmp_gt_i32_e64 s15, s15, v13
	v_and_b32_e32 v19, 15, v0
	v_sub_co_ci_u32_e64 v13, null, 0, v7, vcc_lo
	v_lshrrev_b32_e32 v7, 2, v15
	v_and_b32_e32 v0, 48, v0
	v_or_b32_e32 v23, 3, v18
	v_cmp_lt_u32_e64 s8, v21, v16
	v_or_b32_e32 v21, 32, v16
	v_and_b32_e32 v7, 0x1ffc, v7
	v_mul_u32_u24_e32 v28, 0x10c, v19
	v_lshlrev_b32_e32 v0, 2, v0
	v_or_b32_e32 v20, 60, v33
	v_mad_u32_u24 v43, 0x430, v14, v33
	v_cmp_eq_u32_e64 s0, 0, v14
	s_wait_alu 0xfffe
	s_mul_u64 s[18:19], s[40:41], s[90:91]
	s_mul_u64 s[50:51], s[88:89], s[90:91]
	s_lshl_b64 s[52:53], s[88:89], 5
	v_cmp_lt_u32_e64 s6, v18, v16
	v_cmp_lt_u32_e64 s9, v23, v16
	v_cmp_gt_i32_e64 s11, s44, v21
	v_mad_u32_u24 v44, 0x10c, v19, v7
	v_mad_u32_u24 v45, 0x10c, v19, v0
	;; [unrolled: 1-line block ×3, first 2 shown]
	v_add_nc_u32_e32 v48, 0x11c0, v18
	v_lshlrev_b64_e32 v[18:19], 2, v[3:4]
	v_lshlrev_b64_e32 v[20:21], 2, v[5:6]
	v_add_nc_u32_e32 v49, v24, v22
	v_lshlrev_b64_e32 v[22:23], 2, v[8:9]
	v_add_nc_u32_e32 v50, v24, v25
	v_add_nc_u32_e32 v51, v24, v26
	;; [unrolled: 1-line block ×3, first 2 shown]
	v_lshlrev_b64_e32 v[24:25], 2, v[12:13]
	v_lshlrev_b64_e32 v[26:27], 2, v[10:11]
	v_add_nc_u32_e32 v53, v28, v29
	v_lshlrev_b64_e32 v[28:29], 2, v[1:2]
	v_cndmask_b32_e64 v34, 0, 1, s1
	v_add_nc_u32_e32 v35, 0x11c0, v33
	s_lshl_b64 s[54:55], s[88:89], 6
	v_cmp_gt_i32_e64 s1, s44, v16
	s_ashr_i32 s45, s44, 31
	v_cmp_gt_u32_e64 s10, 32, v15
	s_xor_b32 s35, s17, -1
	s_sub_nc_u64 s[94:95], 0, s[18:19]
	v_add_nc_u32_e32 v41, 0x10c0, v33
	v_lshl_add_u32 v42, v14, 4, 0x10c0
	v_cmp_gt_u32_e64 s18, 64, v15
	v_mad_i32_i24 v47, 0xfffffcdc, v14, v43
	v_lshlrev_b32_e32 v54, 2, v16
	v_lshlrev_b32_e32 v55, 2, v32
	s_sub_nc_u64 s[92:93], 0, s[52:53]
	s_cmp_gt_i32 ttmp9, 0
	s_sub_nc_u64 s[96:97], 0, s[50:51]
	s_mul_u64 s[56:57], s[88:89], 0x60
	s_cselect_b32 s101, -1, 0
	s_and_b32 s102, s0, s35
	s_wait_alu 0xfffe
	s_sub_nc_u64 s[58:59], 0, s[44:45]
	s_lshl_b64 s[60:61], s[88:89], 2
	s_lshl_b64 s[62:63], s[88:89], 3
	;; [unrolled: 1-line block ×3, first 2 shown]
	s_mul_u64 s[66:67], s[88:89], 12
	s_mul_u64 s[68:69], s[88:89], 0x48
	;; [unrolled: 1-line block ×3, first 2 shown]
	s_lshl_b64 s[72:73], s[88:89], 7
	s_mul_u64 s[74:75], s[88:89], 0x88
	s_mul_u64 s[76:77], s[88:89], 0x8c
	;; [unrolled: 1-line block ×8, first 2 shown]
	s_lshl_b64 s[30:31], s[30:31], 2
	s_lshl_b64 s[26:27], s[26:27], 2
	;; [unrolled: 1-line block ×6, first 2 shown]
	s_branch .LBB147_4
.LBB147_2:                              ;   in Loop: Header=BB147_4 Depth=1
	s_wait_alu 0xfffe
	s_or_b32 exec_lo, exec_lo, s19
.LBB147_3:                              ;   in Loop: Header=BB147_4 Depth=1
	s_add_co_i32 s34, s34, 0x10000
	s_delay_alu instid0(SALU_CYCLE_1)
	s_cmp_lt_u32 s34, s33
	s_cbranch_scc0 .LBB147_81
.LBB147_4:                              ; =>This Loop Header: Depth=1
                                        ;     Child Loop BB147_69 Depth 2
	s_mov_b32 s35, s43
	s_delay_alu instid0(SALU_CYCLE_1)
	s_mul_u64 s[98:99], s[22:23], s[34:35]
	s_mul_u64 vcc, s[38:39], s[34:35]
	s_wait_alu 0xfffe
	s_lshl_b64 s[98:99], s[98:99], 2
	s_lshl_b64 vcc, vcc, 2
	s_wait_alu 0xfffe
	s_add_nc_u64 s[98:99], s[20:21], s[98:99]
	s_add_nc_u64 vcc, s[36:37], vcc
	s_clause 0x1
	global_load_b32 v0, v17, s[98:99]
	global_load_b32 v1, v17, vcc
	s_wait_loadcnt 0x1
	v_cmp_eq_f32_e64 s19, 0, v0
	s_wait_loadcnt 0x0
	v_cmp_eq_f32_e32 vcc_lo, 1.0, v1
	s_and_b32 s42, s19, vcc_lo
	s_wait_alu 0xfffe
	s_and_b32 vcc_lo, exec_lo, s42
	s_wait_alu 0xfffe
	s_cbranch_vccnz .LBB147_3
; %bb.5:                                ;   in Loop: Header=BB147_4 Depth=1
	s_and_b32 vcc_lo, exec_lo, s19
	s_wait_alu 0xfffe
	s_cbranch_vccz .LBB147_7
; %bb.6:                                ;   in Loop: Header=BB147_4 Depth=1
	s_cbranch_execnz .LBB147_3
	s_branch .LBB147_8
.LBB147_7:                              ;   in Loop: Header=BB147_4 Depth=1
.LBB147_8:                              ;   in Loop: Header=BB147_4 Depth=1
	s_lshl_b64 s[98:99], s[34:35], 3
	s_wait_alu 0xfffe
	s_add_nc_u64 vcc, s[28:29], s[98:99]
	s_add_nc_u64 s[98:99], s[24:25], s[98:99]
	s_clause 0x1
	global_load_b64 v[2:3], v17, vcc
	global_load_b64 v[0:1], v17, s[98:99]
	s_wait_loadcnt 0x1
	v_add_co_u32 v2, vcc_lo, v2, s30
	s_wait_alu 0xfffd
	v_add_co_ci_u32_e64 v3, null, s31, v3, vcc_lo
	s_delay_alu instid0(VALU_DEP_2) | instskip(SKIP_1) | instid1(VALU_DEP_2)
	v_add_co_u32 v4, vcc_lo, v2, v18
	s_wait_alu 0xfffd
	v_add_co_ci_u32_e64 v5, null, v3, v19, vcc_lo
	s_and_saveexec_b32 s19, s0
	s_cbranch_execz .LBB147_12
; %bb.9:                                ;   in Loop: Header=BB147_4 Depth=1
	v_mov_b32_e32 v2, 0
	s_and_saveexec_b32 s42, s100
	s_cbranch_execz .LBB147_11
; %bb.10:                               ;   in Loop: Header=BB147_4 Depth=1
	flat_load_b32 v2, v[4:5]
.LBB147_11:                             ;   in Loop: Header=BB147_4 Depth=1
	s_wait_alu 0xfffe
	s_or_b32 exec_lo, exec_lo, s42
	s_wait_loadcnt_dscnt 0x0
	ds_store_b32 v35, v2
.LBB147_12:                             ;   in Loop: Header=BB147_4 Depth=1
	s_wait_alu 0xfffe
	s_or_b32 exec_lo, exec_lo, s19
	s_wait_loadcnt 0x0
	v_add_co_u32 v0, vcc_lo, v0, s26
	s_wait_alu 0xfffd
	v_add_co_ci_u32_e64 v1, null, s27, v1, vcc_lo
	s_lshl_b64 s[98:99], s[50:51], 2
	v_add_co_u32 v0, vcc_lo, v0, s90
	s_wait_alu 0xfffd
	v_add_co_ci_u32_e64 v1, null, s91, v1, vcc_lo
	s_delay_alu instid0(VALU_DEP_2) | instskip(SKIP_1) | instid1(VALU_DEP_2)
	v_add_co_u32 v0, vcc_lo, v0, v20
	s_wait_alu 0xfffd
	v_add_co_ci_u32_e64 v1, null, v1, v21, vcc_lo
	v_cmp_ne_u32_e32 vcc_lo, 1, v34
	s_wait_alu 0xfffe
	v_add_co_u32 v0, s19, v0, s98
	s_wait_alu 0xf1ff
	v_add_co_ci_u32_e64 v1, null, s99, v1, s19
	s_mov_b32 s19, -1
	s_cbranch_vccnz .LBB147_14
; %bb.13:                               ;   in Loop: Header=BB147_4 Depth=1
	v_add_co_u32 v2, vcc_lo, v0, s52
	s_wait_alu 0xfffd
	v_add_co_ci_u32_e64 v3, null, s53, v1, vcc_lo
	s_mov_b32 s19, 0
	v_add_co_u32 v6, vcc_lo, v2, s52
	s_wait_alu 0xfffd
	v_add_co_ci_u32_e64 v7, null, s53, v3, vcc_lo
	s_delay_alu instid0(VALU_DEP_2) | instskip(SKIP_1) | instid1(VALU_DEP_2)
	v_add_co_u32 v8, vcc_lo, v6, s52
	s_wait_alu 0xfffd
	v_add_co_ci_u32_e64 v9, null, s53, v7, vcc_lo
	s_clause 0x3
	flat_load_b32 v10, v[0:1]
	flat_load_b32 v2, v[2:3]
	;; [unrolled: 1-line block ×4, first 2 shown]
	s_wait_loadcnt_dscnt 0x303
	ds_store_b32 v49, v10
	s_wait_loadcnt_dscnt 0x203
	ds_store_b32 v49, v2 offset:1056
	s_wait_loadcnt_dscnt 0x103
	ds_store_b32 v49, v3 offset:2112
	;; [unrolled: 2-line block ×3, first 2 shown]
.LBB147_14:                             ;   in Loop: Header=BB147_4 Depth=1
	s_wait_alu 0xfffe
	s_and_not1_b32 vcc_lo, exec_lo, s19
	s_wait_alu 0xfffe
	s_cbranch_vccnz .LBB147_24
; %bb.15:                               ;   in Loop: Header=BB147_4 Depth=1
	v_add_co_u32 v2, vcc_lo, v0, v22
	s_wait_alu 0xfffd
	v_add_co_ci_u32_e64 v3, null, v1, v23, vcc_lo
	s_lshl_b64 s[98:99], s[44:45], 2
	v_dual_mov_b32 v7, 0 :: v_dual_mov_b32 v6, 0
	s_wait_alu 0xfffe
	v_add_co_u32 v2, vcc_lo, v2, s98
	s_wait_alu 0xfffd
	v_add_co_ci_u32_e64 v3, null, s99, v3, vcc_lo
	s_delay_alu instid0(VALU_DEP_2) | instskip(SKIP_1) | instid1(VALU_DEP_2)
	v_add_co_u32 v2, vcc_lo, v2, -4
	s_wait_alu 0xfffd
	v_add_co_ci_u32_e64 v3, null, -1, v3, vcc_lo
	s_delay_alu instid0(VALU_DEP_2) | instskip(NEXT) | instid1(VALU_DEP_2)
	v_cndmask_b32_e64 v2, v2, v0, s1
	v_cndmask_b32_e64 v3, v3, v1, s1
	s_and_saveexec_b32 s19, s2
	s_cbranch_execz .LBB147_17
; %bb.16:                               ;   in Loop: Header=BB147_4 Depth=1
	flat_load_b32 v6, v[2:3]
.LBB147_17:                             ;   in Loop: Header=BB147_4 Depth=1
	s_wait_alu 0xfffe
	s_or_b32 exec_lo, exec_lo, s19
	s_wait_loadcnt_dscnt 0x0
	ds_store_b32 v49, v6
	s_and_saveexec_b32 s19, s3
	s_cbranch_execz .LBB147_19
; %bb.18:                               ;   in Loop: Header=BB147_4 Depth=1
	v_add_co_u32 v6, vcc_lo, v2, s52
	s_wait_alu 0xfffd
	v_add_co_ci_u32_e64 v7, null, s53, v3, vcc_lo
	flat_load_b32 v7, v[6:7]
.LBB147_19:                             ;   in Loop: Header=BB147_4 Depth=1
	s_wait_alu 0xfffe
	s_or_b32 exec_lo, exec_lo, s19
	v_mov_b32_e32 v6, 0
	v_mov_b32_e32 v8, 0
	s_wait_loadcnt_dscnt 0x0
	ds_store_b32 v49, v7 offset:1056
	s_and_saveexec_b32 s19, s4
	s_cbranch_execz .LBB147_21
; %bb.20:                               ;   in Loop: Header=BB147_4 Depth=1
	v_add_co_u32 v7, vcc_lo, v2, s54
	s_wait_alu 0xfffd
	v_add_co_ci_u32_e64 v8, null, s55, v3, vcc_lo
	flat_load_b32 v8, v[7:8]
.LBB147_21:                             ;   in Loop: Header=BB147_4 Depth=1
	s_wait_alu 0xfffe
	s_or_b32 exec_lo, exec_lo, s19
	s_wait_loadcnt_dscnt 0x0
	ds_store_b32 v49, v8 offset:2112
	s_and_saveexec_b32 s19, s5
	s_cbranch_execz .LBB147_23
; %bb.22:                               ;   in Loop: Header=BB147_4 Depth=1
	v_add_co_u32 v6, vcc_lo, v2, s56
	s_wait_alu 0xfffd
	v_add_co_ci_u32_e64 v7, null, s57, v3, vcc_lo
	flat_load_b32 v6, v[6:7]
.LBB147_23:                             ;   in Loop: Header=BB147_4 Depth=1
	s_wait_alu 0xfffe
	s_or_b32 exec_lo, exec_lo, s19
	v_add_co_u32 v2, vcc_lo, v2, v54
	s_wait_alu 0xfffd
	v_add_co_ci_u32_e64 v3, null, 0, v3, vcc_lo
	s_lshl_b64 s[98:99], s[58:59], 2
	s_wait_loadcnt_dscnt 0x0
	ds_store_b32 v49, v6 offset:3168
	s_wait_alu 0xfffe
	v_add_co_u32 v2, vcc_lo, v2, s98
	s_wait_alu 0xfffd
	v_add_co_ci_u32_e64 v3, null, s99, v3, vcc_lo
	s_delay_alu instid0(VALU_DEP_2) | instskip(SKIP_1) | instid1(VALU_DEP_2)
	v_add_co_u32 v2, vcc_lo, v2, 4
	s_wait_alu 0xfffd
	v_add_co_ci_u32_e64 v3, null, 0, v3, vcc_lo
	s_delay_alu instid0(VALU_DEP_2) | instskip(NEXT) | instid1(VALU_DEP_2)
	v_cndmask_b32_e64 v0, v2, v0, s1
	v_cndmask_b32_e64 v1, v3, v1, s1
.LBB147_24:                             ;   in Loop: Header=BB147_4 Depth=1
	s_wait_dscnt 0x0
	s_barrier_signal -1
	s_barrier_wait -1
	global_inv scope:SCOPE_SE
	s_and_saveexec_b32 s19, s6
	s_cbranch_execnz .LBB147_75
; %bb.25:                               ;   in Loop: Header=BB147_4 Depth=1
	s_wait_alu 0xfffe
	s_or_b32 exec_lo, exec_lo, s19
	s_and_saveexec_b32 s19, s7
	s_cbranch_execnz .LBB147_76
.LBB147_26:                             ;   in Loop: Header=BB147_4 Depth=1
	s_wait_alu 0xfffe
	s_or_b32 exec_lo, exec_lo, s19
	s_and_saveexec_b32 s19, s8
	s_cbranch_execnz .LBB147_77
.LBB147_27:                             ;   in Loop: Header=BB147_4 Depth=1
	s_wait_alu 0xfffe
	s_or_b32 exec_lo, exec_lo, s19
	s_and_saveexec_b32 s19, s9
	s_cbranch_execz .LBB147_29
.LBB147_28:                             ;   in Loop: Header=BB147_4 Depth=1
	ds_load_b32 v2, v51 offset:264
	s_wait_dscnt 0x0
	ds_store_b32 v37, v2 offset:12
.LBB147_29:                             ;   in Loop: Header=BB147_4 Depth=1
	s_wait_alu 0xfffe
	s_or_b32 exec_lo, exec_lo, s19
	s_wait_loadcnt_dscnt 0x0
	s_barrier_signal -1
	s_barrier_wait -1
	global_inv scope:SCOPE_SE
	ds_load_b32 v10, v50
	ds_load_b32 v11, v51 offset:264
	ds_load_b128 v[6:9], v38
	ds_load_2addr_b32 v[2:3], v51 offset1:33
	v_mov_b32_e32 v56, 0
	s_wait_loadcnt_dscnt 0x0
	s_barrier_signal -1
	s_barrier_wait -1
	global_inv scope:SCOPE_SE
	v_fma_f32 v6, v10, v6, 0
	s_delay_alu instid0(VALU_DEP_1) | instskip(NEXT) | instid1(VALU_DEP_1)
	v_fmac_f32_e32 v6, v2, v7
	v_fmac_f32_e32 v6, v3, v8
	s_delay_alu instid0(VALU_DEP_1)
	v_fmac_f32_e32 v6, v11, v9
	ds_store_b32 v39, v6
	s_wait_loadcnt_dscnt 0x0
	s_barrier_signal -1
	s_barrier_wait -1
	global_inv scope:SCOPE_SE
	s_and_saveexec_b32 s19, s10
	s_cbranch_execz .LBB147_31
; %bb.30:                               ;   in Loop: Header=BB147_4 Depth=1
	ds_load_2addr_b32 v[2:3], v36 offset1:1
	ds_load_2addr_b32 v[6:7], v36 offset0:2 offset1:3
	ds_load_2addr_b32 v[8:9], v36 offset0:4 offset1:5
	;; [unrolled: 1-line block ×3, first 2 shown]
	s_wait_dscnt 0x3
	v_add_f32_e32 v2, v2, v3
	s_wait_dscnt 0x2
	s_delay_alu instid0(VALU_DEP_1) | instskip(NEXT) | instid1(VALU_DEP_1)
	v_add_f32_e32 v2, v2, v6
	v_add_f32_e32 v2, v2, v7
	s_wait_dscnt 0x1
	s_delay_alu instid0(VALU_DEP_1) | instskip(NEXT) | instid1(VALU_DEP_1)
	v_add_f32_e32 v2, v2, v8
	;; [unrolled: 4-line block ×3, first 2 shown]
	v_add_f32_e32 v56, v2, v11
.LBB147_31:                             ;   in Loop: Header=BB147_4 Depth=1
	s_wait_alu 0xfffe
	s_or_b32 exec_lo, exec_lo, s19
	s_lshl_b64 s[98:99], s[52:53], 2
	v_cmp_ne_u32_e32 vcc_lo, 1, v34
	s_wait_alu 0xfffe
	v_add_co_u32 v0, s19, v0, s98
	s_wait_alu 0xf1ff
	v_add_co_ci_u32_e64 v1, null, s99, v1, s19
	s_and_b32 vcc_lo, exec_lo, vcc_lo
	s_mov_b32 s19, -1
	s_wait_loadcnt 0x0
	s_barrier_signal -1
	s_barrier_wait -1
	global_inv scope:SCOPE_SE
	s_wait_alu 0xfffe
	s_cbranch_vccnz .LBB147_33
; %bb.32:                               ;   in Loop: Header=BB147_4 Depth=1
	v_add_co_u32 v2, vcc_lo, v0, s52
	s_wait_alu 0xfffd
	v_add_co_ci_u32_e64 v3, null, s53, v1, vcc_lo
	s_mov_b32 s19, 0
	v_add_co_u32 v6, vcc_lo, v2, s52
	s_wait_alu 0xfffd
	v_add_co_ci_u32_e64 v7, null, s53, v3, vcc_lo
	s_delay_alu instid0(VALU_DEP_2) | instskip(SKIP_1) | instid1(VALU_DEP_2)
	v_add_co_u32 v8, vcc_lo, v6, s52
	s_wait_alu 0xfffd
	v_add_co_ci_u32_e64 v9, null, s53, v7, vcc_lo
	s_clause 0x3
	flat_load_b32 v10, v[0:1] offset:128
	flat_load_b32 v2, v[2:3] offset:128
	;; [unrolled: 1-line block ×4, first 2 shown]
	s_wait_loadcnt_dscnt 0x303
	ds_store_b32 v49, v10
	s_wait_loadcnt_dscnt 0x203
	ds_store_b32 v49, v2 offset:1056
	s_wait_loadcnt_dscnt 0x103
	ds_store_b32 v49, v3 offset:2112
	;; [unrolled: 2-line block ×3, first 2 shown]
.LBB147_33:                             ;   in Loop: Header=BB147_4 Depth=1
	v_add_co_u32 v2, vcc_lo, 0x80, v0
	s_wait_alu 0xfffd
	v_add_co_ci_u32_e64 v3, null, 0, v1, vcc_lo
	s_wait_alu 0xfffe
	s_and_not1_b32 vcc_lo, exec_lo, s19
	s_wait_alu 0xfffe
	s_cbranch_vccnz .LBB147_43
; %bb.34:                               ;   in Loop: Header=BB147_4 Depth=1
	v_add_co_u32 v0, vcc_lo, v0, v22
	s_wait_alu 0xfffd
	v_add_co_ci_u32_e64 v1, null, v1, v23, vcc_lo
	s_lshl_b64 s[98:99], s[44:45], 2
	v_dual_mov_b32 v7, 0 :: v_dual_mov_b32 v6, 0
	s_wait_alu 0xfffe
	v_add_co_u32 v0, vcc_lo, v0, s98
	s_wait_alu 0xfffd
	v_add_co_ci_u32_e64 v1, null, s99, v1, vcc_lo
	s_delay_alu instid0(VALU_DEP_2) | instskip(SKIP_1) | instid1(VALU_DEP_2)
	v_add_co_u32 v0, vcc_lo, v0, -4
	s_wait_alu 0xfffd
	v_add_co_ci_u32_e64 v1, null, -1, v1, vcc_lo
	s_delay_alu instid0(VALU_DEP_2) | instskip(NEXT) | instid1(VALU_DEP_2)
	v_cndmask_b32_e64 v0, v0, v2, s11
	v_cndmask_b32_e64 v1, v1, v3, s11
	s_and_saveexec_b32 s19, s12
	s_cbranch_execz .LBB147_36
; %bb.35:                               ;   in Loop: Header=BB147_4 Depth=1
	flat_load_b32 v6, v[0:1]
.LBB147_36:                             ;   in Loop: Header=BB147_4 Depth=1
	s_wait_alu 0xfffe
	s_or_b32 exec_lo, exec_lo, s19
	s_wait_loadcnt_dscnt 0x0
	ds_store_b32 v49, v6
	s_and_saveexec_b32 s19, s13
	s_cbranch_execz .LBB147_38
; %bb.37:                               ;   in Loop: Header=BB147_4 Depth=1
	v_add_co_u32 v6, vcc_lo, v0, s52
	s_wait_alu 0xfffd
	v_add_co_ci_u32_e64 v7, null, s53, v1, vcc_lo
	flat_load_b32 v7, v[6:7]
.LBB147_38:                             ;   in Loop: Header=BB147_4 Depth=1
	s_wait_alu 0xfffe
	s_or_b32 exec_lo, exec_lo, s19
	v_mov_b32_e32 v6, 0
	v_mov_b32_e32 v8, 0
	s_wait_loadcnt_dscnt 0x0
	ds_store_b32 v49, v7 offset:1056
	s_and_saveexec_b32 s19, s14
	s_cbranch_execz .LBB147_40
; %bb.39:                               ;   in Loop: Header=BB147_4 Depth=1
	v_add_co_u32 v7, vcc_lo, v0, s54
	s_wait_alu 0xfffd
	v_add_co_ci_u32_e64 v8, null, s55, v1, vcc_lo
	flat_load_b32 v8, v[7:8]
.LBB147_40:                             ;   in Loop: Header=BB147_4 Depth=1
	s_wait_alu 0xfffe
	s_or_b32 exec_lo, exec_lo, s19
	s_wait_loadcnt_dscnt 0x0
	ds_store_b32 v49, v8 offset:2112
	s_and_saveexec_b32 s19, s15
	s_cbranch_execz .LBB147_42
; %bb.41:                               ;   in Loop: Header=BB147_4 Depth=1
	v_add_co_u32 v6, vcc_lo, v0, s56
	s_wait_alu 0xfffd
	v_add_co_ci_u32_e64 v7, null, s57, v1, vcc_lo
	flat_load_b32 v6, v[6:7]
.LBB147_42:                             ;   in Loop: Header=BB147_4 Depth=1
	s_wait_alu 0xfffe
	s_or_b32 exec_lo, exec_lo, s19
	v_add_co_u32 v0, vcc_lo, v0, v54
	s_wait_alu 0xfffd
	v_add_co_ci_u32_e64 v1, null, 0, v1, vcc_lo
	s_lshl_b64 s[98:99], s[58:59], 2
	s_wait_loadcnt_dscnt 0x0
	ds_store_b32 v49, v6 offset:3168
	s_wait_alu 0xfffe
	v_add_co_u32 v0, vcc_lo, v0, s98
	s_wait_alu 0xfffd
	v_add_co_ci_u32_e64 v1, null, s99, v1, vcc_lo
	s_delay_alu instid0(VALU_DEP_2) | instskip(SKIP_1) | instid1(VALU_DEP_2)
	v_add_co_u32 v0, vcc_lo, 0x84, v0
	s_wait_alu 0xfffd
	v_add_co_ci_u32_e64 v1, null, 0, v1, vcc_lo
	s_delay_alu instid0(VALU_DEP_2) | instskip(NEXT) | instid1(VALU_DEP_2)
	v_cndmask_b32_e64 v2, v0, v2, s11
	v_cndmask_b32_e64 v3, v1, v3, s11
.LBB147_43:                             ;   in Loop: Header=BB147_4 Depth=1
	s_wait_loadcnt_dscnt 0x0
	s_barrier_signal -1
	s_barrier_wait -1
	global_inv scope:SCOPE_SE
	s_and_saveexec_b32 s19, s6
	s_cbranch_execnz .LBB147_78
; %bb.44:                               ;   in Loop: Header=BB147_4 Depth=1
	s_wait_alu 0xfffe
	s_or_b32 exec_lo, exec_lo, s19
	s_and_saveexec_b32 s19, s7
	s_cbranch_execnz .LBB147_79
.LBB147_45:                             ;   in Loop: Header=BB147_4 Depth=1
	s_wait_alu 0xfffe
	s_or_b32 exec_lo, exec_lo, s19
	s_and_saveexec_b32 s19, s8
	s_cbranch_execnz .LBB147_80
.LBB147_46:                             ;   in Loop: Header=BB147_4 Depth=1
	s_wait_alu 0xfffe
	s_or_b32 exec_lo, exec_lo, s19
	s_and_saveexec_b32 s19, s9
	s_cbranch_execz .LBB147_48
.LBB147_47:                             ;   in Loop: Header=BB147_4 Depth=1
	ds_load_b32 v0, v51 offset:264
	s_wait_dscnt 0x0
	ds_store_b32 v37, v0 offset:12
.LBB147_48:                             ;   in Loop: Header=BB147_4 Depth=1
	s_wait_alu 0xfffe
	s_or_b32 exec_lo, exec_lo, s19
	s_wait_loadcnt_dscnt 0x0
	s_barrier_signal -1
	s_barrier_wait -1
	global_inv scope:SCOPE_SE
	ds_load_b32 v10, v50
	ds_load_b32 v11, v51 offset:264
	ds_load_b128 v[6:9], v38 offset:128
	ds_load_2addr_b32 v[0:1], v51 offset1:33
	s_wait_loadcnt_dscnt 0x0
	s_barrier_signal -1
	s_barrier_wait -1
	global_inv scope:SCOPE_SE
	v_fma_f32 v6, v10, v6, 0
	s_delay_alu instid0(VALU_DEP_1) | instskip(NEXT) | instid1(VALU_DEP_1)
	v_fmac_f32_e32 v6, v0, v7
	v_fmac_f32_e32 v6, v1, v8
	s_delay_alu instid0(VALU_DEP_1)
	v_fmac_f32_e32 v6, v11, v9
	ds_store_b32 v39, v6
	s_wait_loadcnt_dscnt 0x0
	s_barrier_signal -1
	s_barrier_wait -1
	global_inv scope:SCOPE_SE
	s_and_saveexec_b32 s19, s16
	s_cbranch_execz .LBB147_50
; %bb.49:                               ;   in Loop: Header=BB147_4 Depth=1
	ds_load_2addr_b32 v[0:1], v36 offset1:1
	ds_load_2addr_b32 v[6:7], v36 offset0:2 offset1:3
	ds_load_2addr_b32 v[8:9], v36 offset0:4 offset1:5
	;; [unrolled: 1-line block ×3, first 2 shown]
	s_wait_dscnt 0x3
	v_add_f32_e32 v0, v0, v1
	s_wait_dscnt 0x2
	s_delay_alu instid0(VALU_DEP_1) | instskip(NEXT) | instid1(VALU_DEP_1)
	v_add_f32_e32 v0, v0, v6
	v_add_f32_e32 v0, v0, v7
	s_wait_dscnt 0x1
	s_delay_alu instid0(VALU_DEP_1) | instskip(NEXT) | instid1(VALU_DEP_1)
	v_add_f32_e32 v0, v0, v8
	;; [unrolled: 4-line block ×3, first 2 shown]
	v_add_f32_e32 v56, v0, v11
.LBB147_50:                             ;   in Loop: Header=BB147_4 Depth=1
	s_wait_alu 0xfffe
	s_or_b32 exec_lo, exec_lo, s19
	v_cmp_ne_u32_e32 vcc_lo, 1, v34
	v_add_co_u32 v6, s19, v2, s92
	s_wait_alu 0xf1ff
	v_add_co_ci_u32_e64 v7, null, s93, v3, s19
	s_and_b32 vcc_lo, exec_lo, vcc_lo
	s_mov_b32 s19, -1
	s_wait_loadcnt 0x0
	s_barrier_signal -1
	s_barrier_wait -1
	global_inv scope:SCOPE_SE
	s_wait_alu 0xfffe
	s_cbranch_vccnz .LBB147_52
; %bb.51:                               ;   in Loop: Header=BB147_4 Depth=1
	v_add_co_u32 v0, vcc_lo, v6, s52
	s_wait_alu 0xfffd
	v_add_co_ci_u32_e64 v1, null, s53, v7, vcc_lo
	s_mov_b32 s19, 0
	v_add_co_u32 v2, vcc_lo, v0, s52
	s_wait_alu 0xfffd
	v_add_co_ci_u32_e64 v3, null, s53, v1, vcc_lo
	s_delay_alu instid0(VALU_DEP_2) | instskip(SKIP_1) | instid1(VALU_DEP_2)
	v_add_co_u32 v8, vcc_lo, v2, s52
	s_wait_alu 0xfffd
	v_add_co_ci_u32_e64 v9, null, s53, v3, vcc_lo
	s_clause 0x3
	flat_load_b32 v10, v[6:7]
	flat_load_b32 v0, v[0:1]
	;; [unrolled: 1-line block ×4, first 2 shown]
	s_wait_loadcnt_dscnt 0x303
	ds_store_b32 v49, v10
	s_wait_loadcnt_dscnt 0x203
	ds_store_b32 v49, v0 offset:1056
	s_wait_loadcnt_dscnt 0x103
	ds_store_b32 v49, v1 offset:2112
	;; [unrolled: 2-line block ×3, first 2 shown]
.LBB147_52:                             ;   in Loop: Header=BB147_4 Depth=1
	s_wait_alu 0xfffe
	s_and_not1_b32 vcc_lo, exec_lo, s19
	s_wait_alu 0xfffe
	s_cbranch_vccnz .LBB147_62
; %bb.53:                               ;   in Loop: Header=BB147_4 Depth=1
	v_add_co_u32 v0, vcc_lo, v6, v22
	s_wait_alu 0xfffd
	v_add_co_ci_u32_e64 v1, null, v7, v23, vcc_lo
	s_lshl_b64 s[98:99], s[44:45], 2
	v_dual_mov_b32 v3, 0 :: v_dual_mov_b32 v2, 0
	s_wait_alu 0xfffe
	v_add_co_u32 v0, vcc_lo, v0, s98
	s_wait_alu 0xfffd
	v_add_co_ci_u32_e64 v1, null, s99, v1, vcc_lo
	s_delay_alu instid0(VALU_DEP_2) | instskip(SKIP_1) | instid1(VALU_DEP_2)
	v_add_co_u32 v0, vcc_lo, 0xffffff7c, v0
	s_wait_alu 0xfffd
	v_add_co_ci_u32_e64 v1, null, -1, v1, vcc_lo
	s_delay_alu instid0(VALU_DEP_2) | instskip(NEXT) | instid1(VALU_DEP_2)
	v_cndmask_b32_e64 v0, v0, v6, s11
	v_cndmask_b32_e64 v1, v1, v7, s11
	s_and_saveexec_b32 s19, s2
	s_cbranch_execz .LBB147_55
; %bb.54:                               ;   in Loop: Header=BB147_4 Depth=1
	flat_load_b32 v2, v[0:1]
.LBB147_55:                             ;   in Loop: Header=BB147_4 Depth=1
	s_wait_alu 0xfffe
	s_or_b32 exec_lo, exec_lo, s19
	s_wait_loadcnt_dscnt 0x0
	ds_store_b32 v49, v2
	s_and_saveexec_b32 s19, s3
	s_cbranch_execz .LBB147_57
; %bb.56:                               ;   in Loop: Header=BB147_4 Depth=1
	v_add_co_u32 v2, vcc_lo, v0, s52
	s_wait_alu 0xfffd
	v_add_co_ci_u32_e64 v3, null, s53, v1, vcc_lo
	flat_load_b32 v3, v[2:3]
.LBB147_57:                             ;   in Loop: Header=BB147_4 Depth=1
	s_wait_alu 0xfffe
	s_or_b32 exec_lo, exec_lo, s19
	v_mov_b32_e32 v2, 0
	v_mov_b32_e32 v8, 0
	s_wait_loadcnt_dscnt 0x0
	ds_store_b32 v49, v3 offset:1056
	s_and_saveexec_b32 s19, s4
	s_cbranch_execz .LBB147_59
; %bb.58:                               ;   in Loop: Header=BB147_4 Depth=1
	v_add_co_u32 v8, vcc_lo, v0, s54
	s_wait_alu 0xfffd
	v_add_co_ci_u32_e64 v9, null, s55, v1, vcc_lo
	flat_load_b32 v8, v[8:9]
.LBB147_59:                             ;   in Loop: Header=BB147_4 Depth=1
	s_wait_alu 0xfffe
	s_or_b32 exec_lo, exec_lo, s19
	s_wait_loadcnt_dscnt 0x0
	ds_store_b32 v49, v8 offset:2112
	s_and_saveexec_b32 s19, s5
	s_cbranch_execz .LBB147_61
; %bb.60:                               ;   in Loop: Header=BB147_4 Depth=1
	v_add_co_u32 v2, vcc_lo, v0, s56
	s_wait_alu 0xfffd
	v_add_co_ci_u32_e64 v3, null, s57, v1, vcc_lo
	flat_load_b32 v2, v[2:3]
.LBB147_61:                             ;   in Loop: Header=BB147_4 Depth=1
	s_wait_alu 0xfffe
	s_or_b32 exec_lo, exec_lo, s19
	v_add_co_u32 v0, vcc_lo, v0, v54
	s_wait_alu 0xfffd
	v_add_co_ci_u32_e64 v1, null, 0, v1, vcc_lo
	s_lshl_b64 s[98:99], s[58:59], 2
	s_wait_loadcnt_dscnt 0x0
	ds_store_b32 v49, v2 offset:3168
	s_wait_alu 0xfffe
	v_add_co_u32 v0, vcc_lo, v0, s98
	s_wait_alu 0xfffd
	v_add_co_ci_u32_e64 v1, null, s99, v1, vcc_lo
	s_delay_alu instid0(VALU_DEP_2) | instskip(SKIP_1) | instid1(VALU_DEP_2)
	v_add_co_u32 v0, vcc_lo, 0x84, v0
	s_wait_alu 0xfffd
	v_add_co_ci_u32_e64 v1, null, 0, v1, vcc_lo
	s_delay_alu instid0(VALU_DEP_2) | instskip(NEXT) | instid1(VALU_DEP_2)
	v_cndmask_b32_e64 v6, v0, v6, s11
	v_cndmask_b32_e64 v7, v1, v7, s11
.LBB147_62:                             ;   in Loop: Header=BB147_4 Depth=1
	s_wait_loadcnt_dscnt 0x0
	s_barrier_signal -1
	s_barrier_wait -1
	global_inv scope:SCOPE_SE
	ds_load_b32 v0, v49
	ds_load_b32 v1, v52
	ds_load_2addr_b32 v[12:13], v48 offset0:8 offset1:16
	ds_load_b32 v14, v49 offset:1056
	ds_load_b32 v15, v49 offset:2112
	;; [unrolled: 1-line block ×4, first 2 shown]
	s_wait_dscnt 0x5
	v_fma_f32 v31, v0, v1, 0
	ds_load_2addr_b32 v[10:11], v40 offset1:1
	ds_load_b128 v[0:3], v38 offset:128
	ds_load_2addr_b32 v[8:9], v40 offset0:2 offset1:3
	s_wait_loadcnt_dscnt 0x0
	s_barrier_signal -1
	s_barrier_wait -1
	v_fmac_f32_e32 v31, v14, v12
	global_inv scope:SCOPE_SE
	v_fmac_f32_e32 v31, v15, v13
	s_delay_alu instid0(VALU_DEP_1)
	v_fmac_f32_e32 v31, v16, v30
	ds_store_b32 v39, v31
	s_wait_loadcnt_dscnt 0x0
	s_barrier_signal -1
	s_barrier_wait -1
	global_inv scope:SCOPE_SE
	s_and_saveexec_b32 s19, s16
	s_cbranch_execz .LBB147_64
; %bb.63:                               ;   in Loop: Header=BB147_4 Depth=1
	ds_load_2addr_b32 v[12:13], v36 offset1:1
	ds_load_2addr_b32 v[14:15], v36 offset0:2 offset1:3
	ds_load_2addr_b32 v[30:31], v36 offset0:4 offset1:5
	;; [unrolled: 1-line block ×3, first 2 shown]
	s_wait_dscnt 0x3
	v_add_f32_e32 v12, v56, v12
	s_delay_alu instid0(VALU_DEP_1) | instskip(SKIP_1) | instid1(VALU_DEP_1)
	v_add_f32_e32 v12, v12, v13
	s_wait_dscnt 0x2
	v_add_f32_e32 v12, v12, v14
	s_delay_alu instid0(VALU_DEP_1) | instskip(SKIP_1) | instid1(VALU_DEP_1)
	v_add_f32_e32 v12, v12, v15
	;; [unrolled: 4-line block ×3, first 2 shown]
	s_wait_dscnt 0x0
	v_add_f32_e32 v12, v12, v57
	s_delay_alu instid0(VALU_DEP_1)
	v_add_f32_e32 v56, v12, v58
.LBB147_64:                             ;   in Loop: Header=BB147_4 Depth=1
	s_wait_alu 0xfffe
	s_or_b32 exec_lo, exec_lo, s19
	v_fma_f32 v0, v10, v0, 0
	s_wait_loadcnt 0x0
	s_barrier_signal -1
	s_barrier_wait -1
	global_inv scope:SCOPE_SE
	v_fmac_f32_e32 v0, v11, v1
	s_delay_alu instid0(VALU_DEP_1) | instskip(NEXT) | instid1(VALU_DEP_1)
	v_fmac_f32_e32 v0, v8, v2
	v_fmac_f32_e32 v0, v9, v3
	ds_store_b32 v39, v0
	s_wait_loadcnt_dscnt 0x0
	s_barrier_signal -1
	s_barrier_wait -1
	global_inv scope:SCOPE_SE
	s_and_saveexec_b32 s19, s10
	s_cbranch_execz .LBB147_66
; %bb.65:                               ;   in Loop: Header=BB147_4 Depth=1
	ds_load_2addr_b32 v[0:1], v36 offset1:1
	ds_load_2addr_b32 v[2:3], v36 offset0:2 offset1:3
	ds_load_2addr_b32 v[8:9], v36 offset0:4 offset1:5
	ds_load_2addr_b32 v[10:11], v36 offset0:6 offset1:7
	s_wait_dscnt 0x3
	v_add_f32_e32 v0, v56, v0
	s_delay_alu instid0(VALU_DEP_1) | instskip(SKIP_1) | instid1(VALU_DEP_1)
	v_add_f32_e32 v0, v0, v1
	s_wait_dscnt 0x2
	v_add_f32_e32 v0, v0, v2
	s_delay_alu instid0(VALU_DEP_1) | instskip(SKIP_1) | instid1(VALU_DEP_1)
	v_add_f32_e32 v0, v0, v3
	;; [unrolled: 4-line block ×3, first 2 shown]
	s_wait_dscnt 0x0
	v_add_f32_e32 v0, v0, v10
	s_delay_alu instid0(VALU_DEP_1)
	v_add_f32_e32 v56, v0, v11
.LBB147_66:                             ;   in Loop: Header=BB147_4 Depth=1
	s_wait_alu 0xfffe
	s_or_b32 exec_lo, exec_lo, s19
	s_mul_u64 s[98:99], s[46:47], s[34:35]
	s_and_not1_b32 vcc_lo, exec_lo, s101
	s_wait_alu 0xfffe
	s_lshl_b64 s[98:99], s[98:99], 2
	s_wait_loadcnt 0x0
	s_wait_alu 0xfffe
	s_add_nc_u64 s[98:99], s[48:49], s[98:99]
	s_barrier_signal -1
	s_barrier_wait -1
	global_inv scope:SCOPE_SE
	s_cbranch_vccnz .LBB147_73
; %bb.67:                               ;   in Loop: Header=BB147_4 Depth=1
	v_add_co_u32 v0, vcc_lo, v6, s96
	s_wait_alu 0xfffd
	v_add_co_ci_u32_e64 v1, null, s97, v7, vcc_lo
	s_mov_b32 s19, ttmp9
	v_add_co_u32 v0, vcc_lo, v0, v24
	s_wait_alu 0xfffd
	v_add_co_ci_u32_e64 v1, null, v1, v25, vcc_lo
	s_mov_b32 s42, 0
	v_add_co_u32 v0, vcc_lo, v0, v26
	s_wait_alu 0xfffd
	v_add_co_ci_u32_e64 v1, null, v1, v27, vcc_lo
	s_lshl_b64 vcc, s[44:45], 2
	s_wait_alu 0xfffe
	v_add_co_u32 v2, vcc_lo, v0, vcc_lo
	s_wait_alu 0xfffd
	v_add_co_ci_u32_e64 v3, null, vcc_hi, v1, vcc_lo
	v_add_co_u32 v0, vcc_lo, v0, v55
	s_wait_alu 0xfffd
	v_add_co_ci_u32_e64 v1, null, 0, v1, vcc_lo
	v_add_co_u32 v2, vcc_lo, 0xffffff7c, v2
	s_wait_alu 0xfffd
	v_add_co_ci_u32_e64 v3, null, -1, v3, vcc_lo
	v_add_co_u32 v0, vcc_lo, 0xffffff80, v0
	s_wait_alu 0xfffd
	v_add_co_ci_u32_e64 v1, null, -1, v1, vcc_lo
	v_add_co_u32 v57, vcc_lo, v4, s94
	s_wait_alu 0xfffd
	v_add_co_ci_u32_e64 v58, null, s95, v5, vcc_lo
	s_delay_alu instid0(VALU_DEP_3)
	v_cndmask_b32_e64 v31, v1, v3, s17
	v_cndmask_b32_e64 v30, v0, v2, s17
	s_branch .LBB147_69
.LBB147_68:                             ;   in Loop: Header=BB147_69 Depth=2
	s_or_b32 exec_lo, exec_lo, s35
	v_fmac_f32_e32 v56, v62, v0
	v_add_co_u32 v30, vcc_lo, v30, s64
	s_wait_alu 0xfffd
	v_add_co_ci_u32_e64 v31, null, s65, v31, vcc_lo
	s_delay_alu instid0(VALU_DEP_3)
	v_fmac_f32_e32 v56, v60, v1
	s_add_co_i32 s19, s19, -1
	s_add_co_i32 s42, s42, 64
	s_wait_alu 0xfffe
	s_cmp_eq_u32 s19, 0
	s_wait_loadcnt 0x0
	s_wait_storecnt 0x0
	v_fmac_f32_e32 v56, v59, v2
	s_barrier_signal -1
	s_barrier_wait -1
	global_inv scope:SCOPE_SE
	v_fmac_f32_e32 v56, v61, v3
	s_delay_alu instid0(VALU_DEP_1) | instskip(NEXT) | instid1(VALU_DEP_1)
	v_fmac_f32_e32 v56, v66, v4
	v_fmac_f32_e32 v56, v64, v5
	s_delay_alu instid0(VALU_DEP_1) | instskip(NEXT) | instid1(VALU_DEP_1)
	v_fmac_f32_e32 v56, v63, v6
	v_fmac_f32_e32 v56, v65, v7
	s_delay_alu instid0(VALU_DEP_1) | instskip(NEXT) | instid1(VALU_DEP_1)
	v_fmac_f32_e32 v56, v70, v8
	v_fmac_f32_e32 v56, v68, v9
	s_delay_alu instid0(VALU_DEP_1) | instskip(NEXT) | instid1(VALU_DEP_1)
	v_fmac_f32_e32 v56, v67, v10
	v_fmac_f32_e32 v56, v69, v11
	s_delay_alu instid0(VALU_DEP_1) | instskip(NEXT) | instid1(VALU_DEP_1)
	v_fmac_f32_e32 v56, v74, v12
	v_fmac_f32_e32 v56, v73, v13
	s_delay_alu instid0(VALU_DEP_1) | instskip(NEXT) | instid1(VALU_DEP_1)
	v_fmac_f32_e32 v56, v72, v14
	v_fmac_f32_e32 v56, v71, v15
	s_cbranch_scc1 .LBB147_73
.LBB147_69:                             ;   Parent Loop BB147_4 Depth=1
                                        ; =>  This Inner Loop Header: Depth=2
	s_and_saveexec_b32 s35, s0
	s_cbranch_execz .LBB147_71
; %bb.70:                               ;   in Loop: Header=BB147_69 Depth=2
	s_mul_u64 vcc, s[40:41], s[42:43]
	s_wait_alu 0xfffe
	s_lshl_b64 vcc, vcc, 2
	s_wait_alu 0xfffe
	v_add_co_u32 v0, vcc_lo, v57, vcc_lo
	s_wait_alu 0xfffd
	v_add_co_ci_u32_e64 v1, null, vcc_hi, v58, vcc_lo
	flat_load_b32 v0, v[0:1]
	s_wait_loadcnt_dscnt 0x0
	ds_store_b32 v41, v0
.LBB147_71:                             ;   in Loop: Header=BB147_69 Depth=2
	s_or_b32 exec_lo, exec_lo, s35
	v_add_co_u32 v0, vcc_lo, v30, s60
	s_wait_alu 0xfffd
	v_add_co_ci_u32_e64 v1, null, s61, v31, vcc_lo
	v_add_co_u32 v2, vcc_lo, v30, s62
	s_wait_alu 0xfffd
	v_add_co_ci_u32_e64 v3, null, s63, v31, vcc_lo
	;; [unrolled: 3-line block ×3, first 2 shown]
	s_wait_loadcnt_dscnt 0x0
	s_barrier_signal -1
	s_barrier_wait -1
	global_inv scope:SCOPE_SE
	s_clause 0x3
	flat_load_b32 v62, v[30:31]
	flat_load_b32 v60, v[0:1]
	;; [unrolled: 1-line block ×4, first 2 shown]
	ds_load_b32 v10, v35
	ds_load_b128 v[0:3], v42
	v_add_co_u32 v4, vcc_lo, v30, s54
	s_wait_alu 0xfffd
	v_add_co_ci_u32_e64 v5, null, s55, v31, vcc_lo
	v_add_co_u32 v6, vcc_lo, v30, s88
	s_wait_alu 0xfffd
	v_add_co_ci_u32_e64 v7, null, s89, v31, vcc_lo
	;; [unrolled: 3-line block ×3, first 2 shown]
	s_wait_loadcnt_dscnt 0x301
	v_mul_f32_e32 v12, v62, v10
	s_wait_loadcnt 0x2
	v_mul_f32_e32 v13, v60, v10
	s_wait_loadcnt 0x1
	;; [unrolled: 2-line block ×3, first 2 shown]
	v_mul_f32_e32 v15, v61, v10
	v_add_co_u32 v10, vcc_lo, v30, s70
	s_wait_alu 0xfffd
	v_add_co_ci_u32_e64 v11, null, s71, v31, vcc_lo
	ds_store_2addr_b32 v43, v12, v13 offset1:67
	ds_store_2addr_b32 v43, v14, v15 offset0:134 offset1:201
	s_wait_dscnt 0x0
	s_barrier_signal -1
	s_barrier_wait -1
	global_inv scope:SCOPE_SE
	ds_load_2addr_b32 v[75:76], v53 offset1:1
	ds_load_2addr_b32 v[77:78], v53 offset0:2 offset1:3
	s_wait_loadcnt_dscnt 0x0
	s_barrier_signal -1
	s_barrier_wait -1
	global_inv scope:SCOPE_SE
	s_clause 0x3
	flat_load_b32 v66, v[4:5]
	flat_load_b32 v64, v[6:7]
	;; [unrolled: 1-line block ×4, first 2 shown]
	ds_load_b32 v14, v35
	ds_load_b128 v[4:7], v42 offset:64
	v_add_co_u32 v8, vcc_lo, v30, s72
	s_wait_alu 0xfffd
	v_add_co_ci_u32_e64 v9, null, s73, v31, vcc_lo
	v_add_co_u32 v10, vcc_lo, v30, s86
	s_wait_alu 0xfffd
	v_add_co_ci_u32_e64 v11, null, s87, v31, vcc_lo
	;; [unrolled: 3-line block ×3, first 2 shown]
	s_wait_loadcnt_dscnt 0x301
	v_mul_f32_e32 v16, v66, v14
	s_wait_loadcnt 0x2
	v_mul_f32_e32 v67, v64, v14
	s_wait_loadcnt 0x1
	;; [unrolled: 2-line block ×3, first 2 shown]
	v_mul_f32_e32 v69, v65, v14
	v_add_co_u32 v14, vcc_lo, v30, s76
	s_wait_alu 0xfffd
	v_add_co_ci_u32_e64 v15, null, s77, v31, vcc_lo
	ds_store_2addr_b32 v43, v16, v67 offset1:67
	ds_store_2addr_b32 v43, v68, v69 offset0:134 offset1:201
	s_wait_dscnt 0x0
	s_barrier_signal -1
	s_barrier_wait -1
	global_inv scope:SCOPE_SE
	ds_load_2addr_b32 v[79:80], v53 offset1:1
	ds_load_2addr_b32 v[81:82], v53 offset0:2 offset1:3
	s_wait_loadcnt_dscnt 0x0
	s_barrier_signal -1
	s_barrier_wait -1
	global_inv scope:SCOPE_SE
	s_clause 0x3
	flat_load_b32 v70, v[8:9]
	flat_load_b32 v68, v[10:11]
	;; [unrolled: 1-line block ×4, first 2 shown]
	ds_load_b32 v16, v35
	ds_load_b128 v[8:11], v42 offset:128
	v_add_co_u32 v12, vcc_lo, v30, s78
	s_wait_alu 0xfffd
	v_add_co_ci_u32_e64 v13, null, s79, v31, vcc_lo
	v_add_co_u32 v14, vcc_lo, v30, s84
	s_wait_alu 0xfffd
	v_add_co_ci_u32_e64 v15, null, s85, v31, vcc_lo
	;; [unrolled: 3-line block ×4, first 2 shown]
	s_wait_loadcnt_dscnt 0x301
	v_mul_f32_e32 v73, v70, v16
	s_wait_loadcnt 0x2
	v_mul_f32_e32 v74, v68, v16
	s_wait_loadcnt 0x1
	;; [unrolled: 2-line block ×3, first 2 shown]
	v_mul_f32_e32 v16, v69, v16
	ds_store_2addr_b32 v43, v73, v74 offset1:67
	ds_store_2addr_b32 v43, v85, v16 offset0:134 offset1:201
	s_wait_dscnt 0x0
	s_barrier_signal -1
	s_barrier_wait -1
	global_inv scope:SCOPE_SE
	ds_load_2addr_b32 v[85:86], v53 offset1:1
	ds_load_2addr_b32 v[87:88], v53 offset0:2 offset1:3
	s_wait_loadcnt_dscnt 0x0
	s_barrier_signal -1
	s_barrier_wait -1
	global_inv scope:SCOPE_SE
	s_clause 0x3
	flat_load_b32 v74, v[12:13]
	flat_load_b32 v73, v[14:15]
	;; [unrolled: 1-line block ×4, first 2 shown]
	ds_load_b32 v16, v35
	ds_load_b128 v[12:15], v42 offset:192
	s_wait_loadcnt_dscnt 0x301
	v_mul_f32_e32 v83, v74, v16
	s_wait_loadcnt 0x2
	v_mul_f32_e32 v84, v73, v16
	s_wait_loadcnt 0x1
	;; [unrolled: 2-line block ×3, first 2 shown]
	v_mul_f32_e32 v16, v71, v16
	ds_store_2addr_b32 v43, v83, v84 offset1:67
	ds_store_2addr_b32 v43, v89, v16 offset0:134 offset1:201
	s_wait_dscnt 0x0
	s_barrier_signal -1
	s_barrier_wait -1
	global_inv scope:SCOPE_SE
	ds_load_2addr_b32 v[83:84], v53 offset1:1
	ds_load_2addr_b32 v[89:90], v53 offset0:2 offset1:3
	v_add_f32_e32 v16, 0, v75
	v_add_f32_e32 v75, 0, v79
	;; [unrolled: 1-line block ×3, first 2 shown]
	s_wait_loadcnt_dscnt 0x0
	s_barrier_signal -1
	v_add_f32_e32 v16, v16, v76
	v_add_f32_e32 v75, v75, v80
	v_add_f32_e32 v76, v79, v86
	s_barrier_wait -1
	global_inv scope:SCOPE_SE
	v_add_f32_e32 v16, v16, v77
	v_dual_add_f32 v75, v75, v81 :: v_dual_add_f32 v76, v76, v87
	s_delay_alu instid0(VALU_DEP_2) | instskip(NEXT) | instid1(VALU_DEP_2)
	v_add_f32_e32 v16, v16, v78
	v_dual_add_f32 v75, v75, v82 :: v_dual_add_f32 v76, v76, v88
	v_add_f32_e32 v83, 0, v83
	s_delay_alu instid0(VALU_DEP_1) | instskip(NEXT) | instid1(VALU_DEP_1)
	v_add_f32_e32 v79, v83, v84
	v_add_f32_e32 v77, v79, v89
	s_delay_alu instid0(VALU_DEP_1)
	v_add_f32_e32 v77, v77, v90
	ds_store_2addr_b32 v44, v16, v75 offset1:16
	ds_store_2addr_b32 v44, v76, v77 offset0:32 offset1:48
	s_wait_loadcnt_dscnt 0x0
	s_barrier_signal -1
	s_barrier_wait -1
	global_inv scope:SCOPE_SE
	s_and_saveexec_b32 s35, s18
	s_cbranch_execz .LBB147_68
; %bb.72:                               ;   in Loop: Header=BB147_69 Depth=2
	ds_load_2addr_b32 v[75:76], v45 offset1:1
	ds_load_2addr_b32 v[77:78], v45 offset0:2 offset1:3
	ds_load_2addr_b32 v[79:80], v45 offset0:4 offset1:5
	;; [unrolled: 1-line block ×3, first 2 shown]
	s_wait_dscnt 0x3
	v_add_f32_e32 v16, v75, v76
	ds_load_2addr_b32 v[75:76], v45 offset0:8 offset1:9
	s_wait_dscnt 0x3
	v_add_f32_e32 v16, v16, v77
	s_delay_alu instid0(VALU_DEP_1) | instskip(SKIP_3) | instid1(VALU_DEP_1)
	v_add_f32_e32 v16, v16, v78
	ds_load_2addr_b32 v[77:78], v45 offset0:10 offset1:11
	s_wait_dscnt 0x3
	v_add_f32_e32 v16, v16, v79
	v_add_f32_e32 v16, v16, v80
	s_wait_dscnt 0x2
	s_delay_alu instid0(VALU_DEP_1) | instskip(SKIP_4) | instid1(VALU_DEP_1)
	v_add_f32_e32 v16, v16, v81
	ds_load_2addr_b32 v[79:80], v45 offset0:12 offset1:13
	ds_load_b32 v81, v45 offset:56
	v_add_f32_e32 v16, v16, v82
	s_wait_dscnt 0x3
	v_add_f32_e32 v16, v16, v75
	s_delay_alu instid0(VALU_DEP_1) | instskip(SKIP_1) | instid1(VALU_DEP_1)
	v_add_f32_e32 v16, v16, v76
	s_wait_dscnt 0x2
	v_add_f32_e32 v16, v16, v77
	ds_load_b32 v77, v46
	v_add_f32_e32 v16, v16, v78
	s_wait_dscnt 0x2
	s_delay_alu instid0(VALU_DEP_1) | instskip(NEXT) | instid1(VALU_DEP_1)
	v_add_f32_e32 v16, v16, v79
	v_add_f32_e32 v75, v16, v80
	v_add_nc_u32_e32 v16, s42, v32
	s_wait_dscnt 0x1
	s_delay_alu instid0(VALU_DEP_2) | instskip(NEXT) | instid1(VALU_DEP_2)
	v_add_f32_e32 v78, v75, v81
	v_lshlrev_b64_e32 v[75:76], 2, v[16:17]
	s_wait_dscnt 0x0
	s_delay_alu instid0(VALU_DEP_2) | instskip(NEXT) | instid1(VALU_DEP_2)
	v_add_f32_e32 v16, v78, v77
	v_add_co_u32 v75, vcc_lo, s98, v75
	s_wait_alu 0xfffd
	s_delay_alu instid0(VALU_DEP_3)
	v_add_co_ci_u32_e64 v76, null, s99, v76, vcc_lo
	global_store_b32 v[75:76], v16, off
	s_branch .LBB147_68
.LBB147_73:                             ;   in Loop: Header=BB147_4 Depth=1
	ds_store_b32 v47, v56
	s_wait_loadcnt_dscnt 0x0
	s_barrier_signal -1
	s_barrier_wait -1
	global_inv scope:SCOPE_SE
	s_and_saveexec_b32 s19, s102
	s_cbranch_execz .LBB147_2
; %bb.74:                               ;   in Loop: Header=BB147_4 Depth=1
	ds_load_2addr_b32 v[0:1], v33 offset1:67
	ds_load_2addr_b32 v[2:3], v33 offset0:134 offset1:201
	s_wait_dscnt 0x1
	v_add_f32_e32 v0, v0, v1
	s_wait_dscnt 0x0
	s_delay_alu instid0(VALU_DEP_1) | instskip(NEXT) | instid1(VALU_DEP_1)
	v_add_f32_e32 v0, v0, v2
	v_add_f32_e32 v2, v0, v3
	s_wait_alu 0xfffe
	v_add_co_u32 v0, vcc_lo, s98, v28
	s_wait_alu 0xfffd
	v_add_co_ci_u32_e64 v1, null, s99, v29, vcc_lo
	global_store_b32 v[0:1], v2, off
	s_branch .LBB147_2
.LBB147_75:                             ;   in Loop: Header=BB147_4 Depth=1
	ds_load_b32 v2, v50
	s_wait_dscnt 0x0
	ds_store_b32 v37, v2
	s_wait_alu 0xfffe
	s_or_b32 exec_lo, exec_lo, s19
	s_and_saveexec_b32 s19, s7
	s_cbranch_execz .LBB147_26
.LBB147_76:                             ;   in Loop: Header=BB147_4 Depth=1
	ds_load_b32 v2, v51
	s_wait_dscnt 0x0
	ds_store_b32 v37, v2 offset:4
	s_wait_alu 0xfffe
	s_or_b32 exec_lo, exec_lo, s19
	s_and_saveexec_b32 s19, s8
	s_cbranch_execz .LBB147_27
.LBB147_77:                             ;   in Loop: Header=BB147_4 Depth=1
	ds_load_b32 v2, v51 offset:132
	s_wait_dscnt 0x0
	ds_store_b32 v37, v2 offset:8
	s_wait_alu 0xfffe
	s_or_b32 exec_lo, exec_lo, s19
	s_and_saveexec_b32 s19, s9
	s_cbranch_execnz .LBB147_28
	s_branch .LBB147_29
.LBB147_78:                             ;   in Loop: Header=BB147_4 Depth=1
	ds_load_b32 v0, v50
	s_wait_dscnt 0x0
	ds_store_b32 v37, v0
	s_wait_alu 0xfffe
	s_or_b32 exec_lo, exec_lo, s19
	s_and_saveexec_b32 s19, s7
	s_cbranch_execz .LBB147_45
.LBB147_79:                             ;   in Loop: Header=BB147_4 Depth=1
	ds_load_b32 v0, v51
	s_wait_dscnt 0x0
	ds_store_b32 v37, v0 offset:4
	s_wait_alu 0xfffe
	s_or_b32 exec_lo, exec_lo, s19
	s_and_saveexec_b32 s19, s8
	s_cbranch_execz .LBB147_46
.LBB147_80:                             ;   in Loop: Header=BB147_4 Depth=1
	ds_load_b32 v0, v51 offset:132
	s_wait_dscnt 0x0
	ds_store_b32 v37, v0 offset:8
	s_wait_alu 0xfffe
	s_or_b32 exec_lo, exec_lo, s19
	s_and_saveexec_b32 s19, s9
	s_cbranch_execnz .LBB147_47
	s_branch .LBB147_48
.LBB147_81:
	s_endpgm
	.section	.rodata,"a",@progbits
	.p2align	6, 0x0
	.amdhsa_kernel _ZL26rocblas_hemvn_kernel_lowerILb0ELi64ELi4ELi33ELi32ELi16ElPKfPKS1_PfEviT6_lT7_lT5_lS6_lS7_lS5_lT8_i
		.amdhsa_group_segment_fixed_size 4800
		.amdhsa_private_segment_fixed_size 0
		.amdhsa_kernarg_size 376
		.amdhsa_user_sgpr_count 2
		.amdhsa_user_sgpr_dispatch_ptr 0
		.amdhsa_user_sgpr_queue_ptr 0
		.amdhsa_user_sgpr_kernarg_segment_ptr 1
		.amdhsa_user_sgpr_dispatch_id 0
		.amdhsa_user_sgpr_private_segment_size 0
		.amdhsa_wavefront_size32 1
		.amdhsa_uses_dynamic_stack 0
		.amdhsa_enable_private_segment 0
		.amdhsa_system_sgpr_workgroup_id_x 1
		.amdhsa_system_sgpr_workgroup_id_y 0
		.amdhsa_system_sgpr_workgroup_id_z 1
		.amdhsa_system_sgpr_workgroup_info 0
		.amdhsa_system_vgpr_workitem_id 1
		.amdhsa_next_free_vgpr 91
		.amdhsa_next_free_sgpr 103
		.amdhsa_reserve_vcc 1
		.amdhsa_float_round_mode_32 0
		.amdhsa_float_round_mode_16_64 0
		.amdhsa_float_denorm_mode_32 3
		.amdhsa_float_denorm_mode_16_64 3
		.amdhsa_fp16_overflow 0
		.amdhsa_workgroup_processor_mode 1
		.amdhsa_memory_ordered 1
		.amdhsa_forward_progress 1
		.amdhsa_inst_pref_size 55
		.amdhsa_round_robin_scheduling 0
		.amdhsa_exception_fp_ieee_invalid_op 0
		.amdhsa_exception_fp_denorm_src 0
		.amdhsa_exception_fp_ieee_div_zero 0
		.amdhsa_exception_fp_ieee_overflow 0
		.amdhsa_exception_fp_ieee_underflow 0
		.amdhsa_exception_fp_ieee_inexact 0
		.amdhsa_exception_int_div_zero 0
	.end_amdhsa_kernel
	.section	.text._ZL26rocblas_hemvn_kernel_lowerILb0ELi64ELi4ELi33ELi32ELi16ElPKfPKS1_PfEviT6_lT7_lT5_lS6_lS7_lS5_lT8_i,"axG",@progbits,_ZL26rocblas_hemvn_kernel_lowerILb0ELi64ELi4ELi33ELi32ELi16ElPKfPKS1_PfEviT6_lT7_lT5_lS6_lS7_lS5_lT8_i,comdat
.Lfunc_end147:
	.size	_ZL26rocblas_hemvn_kernel_lowerILb0ELi64ELi4ELi33ELi32ELi16ElPKfPKS1_PfEviT6_lT7_lT5_lS6_lS7_lS5_lT8_i, .Lfunc_end147-_ZL26rocblas_hemvn_kernel_lowerILb0ELi64ELi4ELi33ELi32ELi16ElPKfPKS1_PfEviT6_lT7_lT5_lS6_lS7_lS5_lT8_i
                                        ; -- End function
	.set _ZL26rocblas_hemvn_kernel_lowerILb0ELi64ELi4ELi33ELi32ELi16ElPKfPKS1_PfEviT6_lT7_lT5_lS6_lS7_lS5_lT8_i.num_vgpr, 91
	.set _ZL26rocblas_hemvn_kernel_lowerILb0ELi64ELi4ELi33ELi32ELi16ElPKfPKS1_PfEviT6_lT7_lT5_lS6_lS7_lS5_lT8_i.num_agpr, 0
	.set _ZL26rocblas_hemvn_kernel_lowerILb0ELi64ELi4ELi33ELi32ELi16ElPKfPKS1_PfEviT6_lT7_lT5_lS6_lS7_lS5_lT8_i.numbered_sgpr, 103
	.set _ZL26rocblas_hemvn_kernel_lowerILb0ELi64ELi4ELi33ELi32ELi16ElPKfPKS1_PfEviT6_lT7_lT5_lS6_lS7_lS5_lT8_i.num_named_barrier, 0
	.set _ZL26rocblas_hemvn_kernel_lowerILb0ELi64ELi4ELi33ELi32ELi16ElPKfPKS1_PfEviT6_lT7_lT5_lS6_lS7_lS5_lT8_i.private_seg_size, 0
	.set _ZL26rocblas_hemvn_kernel_lowerILb0ELi64ELi4ELi33ELi32ELi16ElPKfPKS1_PfEviT6_lT7_lT5_lS6_lS7_lS5_lT8_i.uses_vcc, 1
	.set _ZL26rocblas_hemvn_kernel_lowerILb0ELi64ELi4ELi33ELi32ELi16ElPKfPKS1_PfEviT6_lT7_lT5_lS6_lS7_lS5_lT8_i.uses_flat_scratch, 1
	.set _ZL26rocblas_hemvn_kernel_lowerILb0ELi64ELi4ELi33ELi32ELi16ElPKfPKS1_PfEviT6_lT7_lT5_lS6_lS7_lS5_lT8_i.has_dyn_sized_stack, 0
	.set _ZL26rocblas_hemvn_kernel_lowerILb0ELi64ELi4ELi33ELi32ELi16ElPKfPKS1_PfEviT6_lT7_lT5_lS6_lS7_lS5_lT8_i.has_recursion, 0
	.set _ZL26rocblas_hemvn_kernel_lowerILb0ELi64ELi4ELi33ELi32ELi16ElPKfPKS1_PfEviT6_lT7_lT5_lS6_lS7_lS5_lT8_i.has_indirect_call, 0
	.section	.AMDGPU.csdata,"",@progbits
; Kernel info:
; codeLenInByte = 6932
; TotalNumSgprs: 105
; NumVgprs: 91
; ScratchSize: 0
; MemoryBound: 0
; FloatMode: 240
; IeeeMode: 1
; LDSByteSize: 4800 bytes/workgroup (compile time only)
; SGPRBlocks: 0
; VGPRBlocks: 11
; NumSGPRsForWavesPerEU: 105
; NumVGPRsForWavesPerEU: 91
; Occupancy: 16
; WaveLimiterHint : 1
; COMPUTE_PGM_RSRC2:SCRATCH_EN: 0
; COMPUTE_PGM_RSRC2:USER_SGPR: 2
; COMPUTE_PGM_RSRC2:TRAP_HANDLER: 0
; COMPUTE_PGM_RSRC2:TGID_X_EN: 1
; COMPUTE_PGM_RSRC2:TGID_Y_EN: 0
; COMPUTE_PGM_RSRC2:TGID_Z_EN: 1
; COMPUTE_PGM_RSRC2:TIDIG_COMP_CNT: 1
	.section	.text._ZL36rocblas_hemvn_kernel_lower_block_sumILi64ElPKfPKPffEviT1_lS5_lT2_lT0_lPT3_i,"axG",@progbits,_ZL36rocblas_hemvn_kernel_lower_block_sumILi64ElPKfPKPffEviT1_lS5_lT2_lT0_lPT3_i,comdat
	.globl	_ZL36rocblas_hemvn_kernel_lower_block_sumILi64ElPKfPKPffEviT1_lS5_lT2_lT0_lPT3_i ; -- Begin function _ZL36rocblas_hemvn_kernel_lower_block_sumILi64ElPKfPKPffEviT1_lS5_lT2_lT0_lPT3_i
	.p2align	8
	.type	_ZL36rocblas_hemvn_kernel_lower_block_sumILi64ElPKfPKPffEviT1_lS5_lT2_lT0_lPT3_i,@function
_ZL36rocblas_hemvn_kernel_lower_block_sumILi64ElPKfPKPffEviT1_lS5_lT2_lT0_lPT3_i: ; @_ZL36rocblas_hemvn_kernel_lower_block_sumILi64ElPKfPKPffEviT1_lS5_lT2_lT0_lPT3_i
; %bb.0:
	s_load_b32 s24, s[0:1], 0x50
	s_lshr_b32 s2, ttmp7, 16
	s_wait_kmcnt 0x0
	s_cmp_ge_u32 s2, s24
	s_cbranch_scc1 .LBB148_25
; %bb.1:
	s_clause 0x1
	s_load_b32 s18, s[0:1], 0x0
	s_load_b128 s[12:15], s[0:1], 0x30
	s_lshl_b32 s3, ttmp9, 6
	s_load_b64 s[20:21], s[0:1], 0x48
	v_or_b32_e32 v0, s3, v0
	s_clause 0x1
	s_load_b64 s[16:17], s[0:1], 0x28
	s_load_b256 s[4:11], s[0:1], 0x8
	s_ashr_i32 s3, s3, 31
	s_wait_kmcnt 0x0
	v_mad_co_u64_u32 v[1:2], null, s18, ttmp9, v[0:1]
	v_mul_lo_u32 v5, s15, v0
	v_mad_co_u64_u32 v[3:4], null, s14, v0, 0
	s_wait_alu 0xfffe
	s_mul_i32 s3, s14, s3
	s_add_nc_u64 s[14:15], s[0:1], 0x58
	v_cmp_gt_i32_e64 s0, s18, v0
	s_delay_alu instid0(VALU_DEP_4)
	v_ashrrev_i32_e32 v2, 31, v1
	s_ashr_i32 s19, s18, 31
	s_lshl_b64 s[12:13], s[12:13], 2
	s_wait_alu 0xfffe
	v_add3_u32 v4, v4, s3, v5
	s_lshl_b64 s[18:19], s[18:19], 2
	v_lshlrev_b64_e32 v[5:6], 2, v[1:2]
	s_mov_b32 s3, 0
	s_delay_alu instid0(VALU_DEP_2) | instskip(NEXT) | instid1(VALU_DEP_2)
	v_lshlrev_b64_e32 v[0:1], 2, v[3:4]
	v_add_co_u32 v2, vcc_lo, s20, v5
	s_delay_alu instid0(VALU_DEP_1)
	v_add_co_ci_u32_e64 v3, null, s21, v6, vcc_lo
	v_mov_b32_e32 v6, 0
	s_branch .LBB148_4
.LBB148_2:                              ;   in Loop: Header=BB148_4 Depth=1
	s_wait_alu 0xfffe
	s_or_b32 exec_lo, exec_lo, s1
.LBB148_3:                              ;   in Loop: Header=BB148_4 Depth=1
	s_add_co_i32 s2, s2, 0x10000
	s_wait_alu 0xfffe
	s_cmp_lt_u32 s2, s24
	s_cbranch_scc0 .LBB148_25
.LBB148_4:                              ; =>This Loop Header: Depth=1
                                        ;     Child Loop BB148_16 Depth 2
	s_wait_alu 0xfffe
	s_mul_u64 s[20:21], s[6:7], s[2:3]
	s_mul_u64 s[22:23], s[10:11], s[2:3]
	s_wait_alu 0xfffe
	s_lshl_b64 s[20:21], s[20:21], 2
	s_lshl_b64 s[22:23], s[22:23], 2
	s_wait_alu 0xfffe
	s_add_nc_u64 s[20:21], s[4:5], s[20:21]
	s_add_nc_u64 s[22:23], s[8:9], s[22:23]
	s_clause 0x1
	global_load_b32 v7, v6, s[20:21]
	global_load_b32 v4, v6, s[22:23]
	s_wait_loadcnt 0x1
	v_cmp_eq_f32_e32 vcc_lo, 0, v7
	s_wait_loadcnt 0x0
	v_cmp_eq_f32_e64 s1, 1.0, v4
	s_and_b32 s20, vcc_lo, s1
	v_readfirstlane_b32 s1, v4
	s_wait_alu 0xfffe
	s_and_b32 vcc_lo, exec_lo, s20
	s_wait_alu 0xfffe
	s_cbranch_vccnz .LBB148_3
; %bb.5:                                ;   in Loop: Header=BB148_4 Depth=1
	s_lshl_b64 s[20:21], s[2:3], 3
	v_cmp_neq_f32_e32 vcc_lo, 0, v7
	s_wait_alu 0xfffe
	s_add_nc_u64 s[20:21], s[16:17], s[20:21]
	s_load_b64 s[20:21], s[20:21], 0x0
	s_wait_kmcnt 0x0
	s_add_nc_u64 s[20:21], s[20:21], s[12:13]
	s_cbranch_vccnz .LBB148_9
; %bb.6:                                ;   in Loop: Header=BB148_4 Depth=1
	s_mov_b32 s22, 0
	s_mov_b32 s25, 0
                                        ; implicit-def: $vgpr4
	s_and_saveexec_b32 s23, s0
	s_cbranch_execz .LBB148_10
; %bb.7:                                ;   in Loop: Header=BB148_4 Depth=1
	s_cmp_eq_f32 s1, 0
	s_cbranch_scc1 .LBB148_11
; %bb.8:                                ;   in Loop: Header=BB148_4 Depth=1
	s_wait_alu 0xfffe
	v_add_co_u32 v4, vcc_lo, s20, v0
	s_wait_alu 0xfffd
	v_add_co_ci_u32_e64 v5, null, s21, v1, vcc_lo
	flat_load_b32 v4, v[4:5]
	s_wait_loadcnt_dscnt 0x0
	v_mul_f32_e32 v4, s1, v4
	s_branch .LBB148_12
.LBB148_9:                              ;   in Loop: Header=BB148_4 Depth=1
	s_mov_b32 s25, 0
                                        ; implicit-def: $vgpr4
	s_cbranch_execnz .LBB148_13
	s_branch .LBB148_22
.LBB148_10:                             ;   in Loop: Header=BB148_4 Depth=1
	s_or_b32 exec_lo, exec_lo, s23
	s_delay_alu instid0(SALU_CYCLE_1)
	s_and_b32 vcc_lo, exec_lo, s22
	s_wait_alu 0xfffe
	s_cbranch_vccnz .LBB148_13
	s_branch .LBB148_22
.LBB148_11:                             ;   in Loop: Header=BB148_4 Depth=1
	v_mov_b32_e32 v4, 0
.LBB148_12:                             ;   in Loop: Header=BB148_4 Depth=1
	s_mov_b32 s25, exec_lo
	s_or_b32 exec_lo, exec_lo, s23
	s_delay_alu instid0(SALU_CYCLE_1)
	s_and_b32 vcc_lo, exec_lo, s22
	s_wait_alu 0xfffe
	s_cbranch_vccz .LBB148_22
.LBB148_13:                             ;   in Loop: Header=BB148_4 Depth=1
                                        ; implicit-def: $vgpr4
	s_and_saveexec_b32 s26, s0
	s_cbranch_execz .LBB148_21
; %bb.14:                               ;   in Loop: Header=BB148_4 Depth=1
	s_load_b32 s22, s[14:15], 0x0
	v_mov_b32_e32 v8, 0
	s_wait_kmcnt 0x0
	s_cmp_ge_i32 ttmp9, s22
	s_cbranch_scc1 .LBB148_17
; %bb.15:                               ;   in Loop: Header=BB148_4 Depth=1
	s_mov_b32 s23, s3
	s_mov_b32 s27, ttmp9
	s_mul_u64 s[28:29], s[18:19], s[22:23]
	s_wait_alu 0xfffe
	v_mad_co_u64_u32 v[4:5], null, s28, s2, v[2:3]
	s_delay_alu instid0(VALU_DEP_1) | instskip(NEXT) | instid1(VALU_DEP_1)
	v_mad_co_u64_u32 v[8:9], null, s29, s2, v[5:6]
	v_dual_mov_b32 v5, v8 :: v_dual_mov_b32 v8, 0
.LBB148_16:                             ;   Parent Loop BB148_4 Depth=1
                                        ; =>  This Inner Loop Header: Depth=2
	global_load_b32 v9, v[4:5], off
	v_add_co_u32 v4, vcc_lo, v4, s18
	s_wait_alu 0xfffd
	v_add_co_ci_u32_e64 v5, null, s19, v5, vcc_lo
	s_add_co_i32 s27, s27, 1
	s_delay_alu instid0(SALU_CYCLE_1)
	s_cmp_ge_i32 s27, s22
	s_wait_loadcnt 0x0
	v_add_f32_e32 v8, v8, v9
	s_cbranch_scc0 .LBB148_16
.LBB148_17:                             ;   in Loop: Header=BB148_4 Depth=1
	s_cmp_eq_f32 s1, 0
	s_cbranch_scc0 .LBB148_24
; %bb.18:                               ;   in Loop: Header=BB148_4 Depth=1
	s_delay_alu instid0(VALU_DEP_1)
	v_mul_f32_e32 v4, v7, v8
	s_cbranch_execnz .LBB148_20
.LBB148_19:                             ;   in Loop: Header=BB148_4 Depth=1
	v_add_co_u32 v4, vcc_lo, s20, v0
	s_wait_alu 0xfffd
	v_add_co_ci_u32_e64 v5, null, s21, v1, vcc_lo
	flat_load_b32 v4, v[4:5]
	s_wait_loadcnt_dscnt 0x0
	v_mul_f32_e32 v4, s1, v4
	s_delay_alu instid0(VALU_DEP_1)
	v_fmac_f32_e32 v4, v7, v8
.LBB148_20:                             ;   in Loop: Header=BB148_4 Depth=1
	s_or_b32 s25, s25, exec_lo
.LBB148_21:                             ;   in Loop: Header=BB148_4 Depth=1
	s_or_b32 exec_lo, exec_lo, s26
.LBB148_22:                             ;   in Loop: Header=BB148_4 Depth=1
	s_and_saveexec_b32 s1, s25
	s_cbranch_execz .LBB148_2
; %bb.23:                               ;   in Loop: Header=BB148_4 Depth=1
	s_wait_alu 0xfffe
	v_add_co_u32 v7, vcc_lo, s20, v0
	s_wait_alu 0xfffd
	v_add_co_ci_u32_e64 v8, null, s21, v1, vcc_lo
	flat_store_b32 v[7:8], v4
	s_branch .LBB148_2
.LBB148_24:                             ;   in Loop: Header=BB148_4 Depth=1
                                        ; implicit-def: $vgpr4
	s_branch .LBB148_19
.LBB148_25:
	s_endpgm
	.section	.rodata,"a",@progbits
	.p2align	6, 0x0
	.amdhsa_kernel _ZL36rocblas_hemvn_kernel_lower_block_sumILi64ElPKfPKPffEviT1_lS5_lT2_lT0_lPT3_i
		.amdhsa_group_segment_fixed_size 0
		.amdhsa_private_segment_fixed_size 0
		.amdhsa_kernarg_size 344
		.amdhsa_user_sgpr_count 2
		.amdhsa_user_sgpr_dispatch_ptr 0
		.amdhsa_user_sgpr_queue_ptr 0
		.amdhsa_user_sgpr_kernarg_segment_ptr 1
		.amdhsa_user_sgpr_dispatch_id 0
		.amdhsa_user_sgpr_private_segment_size 0
		.amdhsa_wavefront_size32 1
		.amdhsa_uses_dynamic_stack 0
		.amdhsa_enable_private_segment 0
		.amdhsa_system_sgpr_workgroup_id_x 1
		.amdhsa_system_sgpr_workgroup_id_y 0
		.amdhsa_system_sgpr_workgroup_id_z 1
		.amdhsa_system_sgpr_workgroup_info 0
		.amdhsa_system_vgpr_workitem_id 0
		.amdhsa_next_free_vgpr 10
		.amdhsa_next_free_sgpr 30
		.amdhsa_reserve_vcc 1
		.amdhsa_float_round_mode_32 0
		.amdhsa_float_round_mode_16_64 0
		.amdhsa_float_denorm_mode_32 3
		.amdhsa_float_denorm_mode_16_64 3
		.amdhsa_fp16_overflow 0
		.amdhsa_workgroup_processor_mode 1
		.amdhsa_memory_ordered 1
		.amdhsa_forward_progress 1
		.amdhsa_inst_pref_size 7
		.amdhsa_round_robin_scheduling 0
		.amdhsa_exception_fp_ieee_invalid_op 0
		.amdhsa_exception_fp_denorm_src 0
		.amdhsa_exception_fp_ieee_div_zero 0
		.amdhsa_exception_fp_ieee_overflow 0
		.amdhsa_exception_fp_ieee_underflow 0
		.amdhsa_exception_fp_ieee_inexact 0
		.amdhsa_exception_int_div_zero 0
	.end_amdhsa_kernel
	.section	.text._ZL36rocblas_hemvn_kernel_lower_block_sumILi64ElPKfPKPffEviT1_lS5_lT2_lT0_lPT3_i,"axG",@progbits,_ZL36rocblas_hemvn_kernel_lower_block_sumILi64ElPKfPKPffEviT1_lS5_lT2_lT0_lPT3_i,comdat
.Lfunc_end148:
	.size	_ZL36rocblas_hemvn_kernel_lower_block_sumILi64ElPKfPKPffEviT1_lS5_lT2_lT0_lPT3_i, .Lfunc_end148-_ZL36rocblas_hemvn_kernel_lower_block_sumILi64ElPKfPKPffEviT1_lS5_lT2_lT0_lPT3_i
                                        ; -- End function
	.set _ZL36rocblas_hemvn_kernel_lower_block_sumILi64ElPKfPKPffEviT1_lS5_lT2_lT0_lPT3_i.num_vgpr, 10
	.set _ZL36rocblas_hemvn_kernel_lower_block_sumILi64ElPKfPKPffEviT1_lS5_lT2_lT0_lPT3_i.num_agpr, 0
	.set _ZL36rocblas_hemvn_kernel_lower_block_sumILi64ElPKfPKPffEviT1_lS5_lT2_lT0_lPT3_i.numbered_sgpr, 30
	.set _ZL36rocblas_hemvn_kernel_lower_block_sumILi64ElPKfPKPffEviT1_lS5_lT2_lT0_lPT3_i.num_named_barrier, 0
	.set _ZL36rocblas_hemvn_kernel_lower_block_sumILi64ElPKfPKPffEviT1_lS5_lT2_lT0_lPT3_i.private_seg_size, 0
	.set _ZL36rocblas_hemvn_kernel_lower_block_sumILi64ElPKfPKPffEviT1_lS5_lT2_lT0_lPT3_i.uses_vcc, 1
	.set _ZL36rocblas_hemvn_kernel_lower_block_sumILi64ElPKfPKPffEviT1_lS5_lT2_lT0_lPT3_i.uses_flat_scratch, 0
	.set _ZL36rocblas_hemvn_kernel_lower_block_sumILi64ElPKfPKPffEviT1_lS5_lT2_lT0_lPT3_i.has_dyn_sized_stack, 0
	.set _ZL36rocblas_hemvn_kernel_lower_block_sumILi64ElPKfPKPffEviT1_lS5_lT2_lT0_lPT3_i.has_recursion, 0
	.set _ZL36rocblas_hemvn_kernel_lower_block_sumILi64ElPKfPKPffEviT1_lS5_lT2_lT0_lPT3_i.has_indirect_call, 0
	.section	.AMDGPU.csdata,"",@progbits
; Kernel info:
; codeLenInByte = 784
; TotalNumSgprs: 32
; NumVgprs: 10
; ScratchSize: 0
; MemoryBound: 0
; FloatMode: 240
; IeeeMode: 1
; LDSByteSize: 0 bytes/workgroup (compile time only)
; SGPRBlocks: 0
; VGPRBlocks: 1
; NumSGPRsForWavesPerEU: 32
; NumVGPRsForWavesPerEU: 10
; Occupancy: 16
; WaveLimiterHint : 1
; COMPUTE_PGM_RSRC2:SCRATCH_EN: 0
; COMPUTE_PGM_RSRC2:USER_SGPR: 2
; COMPUTE_PGM_RSRC2:TRAP_HANDLER: 0
; COMPUTE_PGM_RSRC2:TGID_X_EN: 1
; COMPUTE_PGM_RSRC2:TGID_Y_EN: 0
; COMPUTE_PGM_RSRC2:TGID_Z_EN: 1
; COMPUTE_PGM_RSRC2:TIDIG_COMP_CNT: 0
	.section	.text._ZL26rocblas_hemvn_kernel_lowerILb0ELi64ELi4ELi33ELi32ELi16EiPKfPKS1_PfEviT6_lT7_lT5_lS6_lS7_lS5_lT8_i,"axG",@progbits,_ZL26rocblas_hemvn_kernel_lowerILb0ELi64ELi4ELi33ELi32ELi16EiPKfPKS1_PfEviT6_lT7_lT5_lS6_lS7_lS5_lT8_i,comdat
	.globl	_ZL26rocblas_hemvn_kernel_lowerILb0ELi64ELi4ELi33ELi32ELi16EiPKfPKS1_PfEviT6_lT7_lT5_lS6_lS7_lS5_lT8_i ; -- Begin function _ZL26rocblas_hemvn_kernel_lowerILb0ELi64ELi4ELi33ELi32ELi16EiPKfPKS1_PfEviT6_lT7_lT5_lS6_lS7_lS5_lT8_i
	.p2align	8
	.type	_ZL26rocblas_hemvn_kernel_lowerILb0ELi64ELi4ELi33ELi32ELi16EiPKfPKS1_PfEviT6_lT7_lT5_lS6_lS7_lS5_lT8_i,@function
_ZL26rocblas_hemvn_kernel_lowerILb0ELi64ELi4ELi33ELi32ELi16EiPKfPKS1_PfEviT6_lT7_lT5_lS6_lS7_lS5_lT8_i: ; @_ZL26rocblas_hemvn_kernel_lowerILb0ELi64ELi4ELi33ELi32ELi16EiPKfPKS1_PfEviT6_lT7_lT5_lS6_lS7_lS5_lT8_i
; %bb.0:
	s_clause 0x1
	s_load_b64 s[2:3], s[0:1], 0x84
	s_load_b32 s33, s[0:1], 0x70
	s_lshr_b32 s34, ttmp7, 16
	s_wait_kmcnt 0x0
	s_lshr_b32 s4, s2, 16
	s_and_b32 s2, s2, 0xffff
	s_and_b32 s3, s3, 0xffff
	s_mul_i32 s2, s4, s2
	s_delay_alu instid0(SALU_CYCLE_1) | instskip(NEXT) | instid1(SALU_CYCLE_1)
	s_mul_i32 s2, s2, s3
	s_cmp_lg_u32 s2, 0x100
	s_cselect_b32 s2, -1, 0
	s_cmp_ge_u32 s34, s33
	s_cselect_b32 s3, -1, 0
	s_delay_alu instid0(SALU_CYCLE_1) | instskip(NEXT) | instid1(SALU_CYCLE_1)
	s_or_b32 s2, s2, s3
	s_and_b32 vcc_lo, exec_lo, s2
	s_cbranch_vccnz .LBB149_81
; %bb.1:
	s_load_b32 s2, s[0:1], 0x0
	s_add_nc_u64 s[4:5], s[0:1], 0x78
	s_clause 0x3
	s_load_b32 s86, s[0:1], 0x28
	s_load_b128 s[28:31], s[0:1], 0x38
	s_load_b32 s12, s[0:1], 0x48
	s_load_b256 s[20:27], s[0:1], 0x8
	s_load_b32 s6, s[4:5], 0x0
	s_clause 0x1
	s_load_b64 s[4:5], s[0:1], 0x68
	s_load_b128 s[36:39], s[0:1], 0x58
	v_dual_mov_b32 v17, 0 :: v_dual_and_b32 v34, 0x3ff, v0
	v_bfe_u32 v3, v0, 10, 10
	s_lshl_b32 s88, ttmp9, 6
	v_and_b32_e32 v1, 31, v0
                                        ; implicit-def: $vgpr92 : SGPR spill to VGPR lane
	s_mov_b32 s35, 0
	v_add_nc_u32_e32 v2, s88, v34
	v_lshl_add_u32 v16, v3, 6, v34
	s_mov_b32 s7, s35
	v_mul_u32_u24_e32 v21, 33, v1
	v_lshlrev_b32_e32 v24, 2, v1
	v_lshlrev_b32_e32 v35, 2, v34
	v_lshrrev_b32_e32 v10, 5, v16
	s_wait_kmcnt 0x0
	s_ashr_i32 s87, s86, 31
	s_mul_i32 s90, s86, s88
	v_lshl_or_b32 v38, v1, 7, v24
	v_mul_lo_u32 v4, s12, v2
	s_ashr_i32 s3, s2, 31
	s_add_co_i32 s8, s6, -1
	s_lshr_b32 s1, s3, 26
	v_lshlrev_b32_e32 v18, 2, v10
	s_add_co_i32 s1, s2, s1
	v_add_nc_u32_e32 v11, 8, v10
	s_and_not1_b32 s1, s1, 63
	v_add_nc_u32_e32 v12, 16, v10
	s_sub_co_i32 s1, s2, s1
	s_cmp_eq_u32 ttmp9, s8
	s_mul_i32 s8, s2, ttmp9
	s_cselect_b32 s40, s1, 0
	v_lshl_add_u32 v41, v21, 2, v18
	v_cmp_gt_i32_e32 vcc_lo, s40, v34
	s_cmp_eq_u32 s40, 0
	s_mul_u64 s[42:43], s[6:7], s[2:3]
	s_cselect_b32 s1, -1, 0
	s_ashr_i32 s9, s8, 31
	v_cndmask_b32_e64 v37, 0, 1, s1
	s_or_b32 s1, s1, vcc_lo
	s_lshl_b64 s[8:9], s[8:9], 2
	s_ashr_i32 s89, s88, 31
	s_ashr_i32 s91, s90, 31
	s_cmp_lg_u32 s40, 0
	s_wait_alu 0xfffe
	v_writelane_b32 v92, s1, 0
	s_cselect_b32 s13, -1, 0
	s_sub_co_i32 s14, s40, 32
	v_sub_co_u32 v8, s2, 0, v1
	v_cmp_gt_i32_e64 s15, s14, v10
	v_mad_co_u64_u32 v[6:7], null, s86, v10, v[1:2]
	v_mul_u32_u24_e32 v22, 0x84, v10
	v_sub_co_ci_u32_e64 v9, null, 0, 0, s2
	s_wait_alu 0xf1ff
	v_writelane_b32 v92, s15, 1
	v_cmp_gt_i32_e64 s15, s14, v11
	v_cmp_gt_i32_e64 s2, s40, v10
	v_add_nc_u32_e32 v13, 24, v10
	v_lshlrev_b32_e32 v14, 4, v10
	v_mul_u32_u24_e32 v25, 0x210, v10
	v_cmp_eq_u32_e64 s16, 1, v10
	v_mul_i32_i24_e32 v27, -12, v10
	v_mad_u32_u24 v42, v10, 12, v41
	v_mul_lo_u32 v10, v3, s86
	s_wait_alu 0xf1ff
	v_writelane_b32 v92, s15, 2
	v_cmp_gt_i32_e64 s15, s14, v12
	v_or_b32_e32 v19, 2, v18
	v_or_b32_e32 v20, 3, v18
	v_add_nc_u32_e32 v39, v38, v14
	v_add_nc_u32_e32 v40, 0x11c0, v14
	v_or_b32_e32 v14, 32, v1
	s_wait_alu 0xf1ff
	v_writelane_b32 v92, s15, 3
	v_cmp_gt_i32_e64 s14, s14, v13
	v_cmp_le_i32_e32 vcc_lo, s40, v34
	s_add_nc_u64 s[44:45], s[4:5], s[8:9]
	v_ashrrev_i32_e32 v7, 31, v6
	v_or_b32_e32 v15, 1, v18
	v_cmp_lt_u32_e64 s8, v19, v1
	v_cmp_lt_u32_e64 s9, v20, v1
	v_and_b32_e32 v19, 15, v0
	v_lshl_add_u32 v10, v10, 2, v34
	v_lshrrev_b32_e32 v20, 2, v16
	v_and_b32_e32 v0, 48, v0
	v_mad_u32_u24 v45, 0x430, v3, v35
	v_cmp_gt_i32_e64 s4, s40, v12
	v_cmp_gt_i32_e64 s11, s40, v14
	s_wait_alu 0xf1ff
	v_writelane_b32 v92, s14, 4
	s_wait_alu 0xfffe
	s_and_b32 s17, s13, vcc_lo
	v_sub_co_u32 v12, vcc_lo, 0, v6
	v_sub_co_u32 v14, s14, 0, v34
	v_cmp_eq_u32_e64 s0, 0, v3
	v_ashrrev_i32_e32 v5, 31, v4
	v_cmp_gt_i32_e64 s3, s40, v11
	v_cmp_gt_i32_e64 s5, s40, v13
	v_cmp_lt_u32_e64 s7, v15, v1
	v_mul_u32_u24_e32 v26, 0x84, v15
	v_sub_co_ci_u32_e64 v13, null, 0, v7, vcc_lo
	v_ashrrev_i32_e32 v11, 31, v10
	s_wait_alu 0xf1ff
	v_sub_co_ci_u32_e64 v15, null, 0, 0, s14
	v_lshl_add_u32 v44, v3, 4, 0x10c0
	v_and_b32_e32 v20, 0x1ffc, v20
	v_mul_u32_u24_e32 v30, 0x10c, v19
	v_lshlrev_b32_e32 v0, 2, v0
	v_or_b32_e32 v21, 60, v35
	v_and_b32_e32 v31, 0x7ff0, v16
	v_mad_i32_i24 v49, 0xfffffcdc, v3, v45
	v_ashrrev_i32_e32 v3, 31, v2
	s_mul_i32 s18, s12, s88
	s_lshl_b32 s92, s86, 5
	s_lshl_b32 s46, s86, 3
	;; [unrolled: 1-line block ×3, first 2 shown]
	s_mul_i32 s50, s86, 24
	s_ashr_i32 s19, s18, 31
	v_cmp_lt_u32_e64 s6, v18, v1
	s_ashr_i32 s93, s92, 31
	v_mad_u32_u24 v46, 0x10c, v19, v20
	v_mad_u32_u24 v47, 0x10c, v19, v0
	;; [unrolled: 1-line block ×3, first 2 shown]
	v_add_nc_u32_e32 v50, 0x11c0, v18
	v_lshlrev_b64_e32 v[18:19], 2, v[4:5]
	v_lshlrev_b64_e32 v[20:21], 2, v[6:7]
	v_add_nc_u32_e32 v51, v24, v22
	v_lshlrev_b64_e32 v[22:23], 2, v[8:9]
	v_add_nc_u32_e32 v52, v24, v25
	v_add_nc_u32_e32 v53, v24, v26
	;; [unrolled: 1-line block ×3, first 2 shown]
	v_lshlrev_b64_e32 v[24:25], 2, v[12:13]
	v_lshlrev_b64_e32 v[26:27], 2, v[10:11]
	;; [unrolled: 1-line block ×3, first 2 shown]
	v_add_nc_u32_e32 v55, v30, v31
	v_lshlrev_b64_e32 v[30:31], 2, v[2:3]
	v_add_nc_u32_e32 v36, 0x11c0, v35
	s_ashr_i32 s47, s46, 31
	s_ashr_i32 s49, s48, 31
	s_ashr_i32 s51, s50, 31
	v_cmp_gt_i32_e64 s1, s40, v1
	s_ashr_i32 s41, s40, 31
	v_cmp_gt_u32_e64 s10, 32, v16
	s_xor_b32 s13, s17, -1
	s_sub_nc_u64 s[96:97], 0, s[18:19]
	v_add_nc_u32_e32 v43, 0x10c0, v35
	v_cmp_gt_u32_e64 s18, 64, v16
	v_lshlrev_b32_e32 v56, 2, v1
	s_sub_nc_u64 s[94:95], 0, s[92:93]
	s_cmp_gt_i32 ttmp9, 0
	s_sub_nc_u64 s[98:99], 0, s[90:91]
	s_cselect_b32 vcc_hi, -1, 0
	s_lshl_b32 s104, s12, 6
	s_wait_alu 0xfffe
	s_and_b32 s12, s0, s13
	s_lshl_b64 s[52:53], s[86:87], 5
	s_sub_nc_u64 s[54:55], 0, s[40:41]
	s_lshl_b64 s[56:57], s[86:87], 2
	s_lshl_b64 s[58:59], s[86:87], 3
	;; [unrolled: 1-line block ×3, first 2 shown]
	s_mul_u64 s[62:63], s[86:87], 12
	s_lshl_b64 s[64:65], s[86:87], 6
	s_mul_u64 s[66:67], s[86:87], 0x48
	s_mul_u64 s[68:69], s[86:87], 0x4c
	s_lshl_b64 s[70:71], s[86:87], 7
	s_mul_u64 s[72:73], s[86:87], 0x88
	s_mul_u64 s[74:75], s[86:87], 0x8c
	;; [unrolled: 1-line block ×8, first 2 shown]
	s_lshl_b64 s[88:89], s[88:89], 2
	s_lshl_b64 s[90:91], s[90:91], 2
	;; [unrolled: 1-line block ×8, first 2 shown]
	s_branch .LBB149_4
.LBB149_2:                              ;   in Loop: Header=BB149_4 Depth=1
	s_wait_alu 0xfffe
	s_or_b32 exec_lo, exec_lo, s13
.LBB149_3:                              ;   in Loop: Header=BB149_4 Depth=1
	s_add_co_i32 s34, s34, 0x10000
	s_delay_alu instid0(SALU_CYCLE_1)
	s_cmp_lt_u32 s34, s33
	s_cbranch_scc0 .LBB149_81
.LBB149_4:                              ; =>This Loop Header: Depth=1
                                        ;     Child Loop BB149_69 Depth 2
	s_mul_u64 s[100:101], s[22:23], s[34:35]
	s_mul_u64 s[102:103], s[38:39], s[34:35]
	s_wait_alu 0xfffe
	s_lshl_b64 s[100:101], s[100:101], 2
	s_lshl_b64 s[102:103], s[102:103], 2
	s_wait_alu 0xfffe
	s_add_nc_u64 s[100:101], s[20:21], s[100:101]
	s_add_nc_u64 s[102:103], s[36:37], s[102:103]
	s_clause 0x1
	global_load_b32 v0, v17, s[100:101]
	global_load_b32 v1, v17, s[102:103]
	s_wait_loadcnt 0x1
	v_cmp_eq_f32_e64 s19, 0, v0
	s_wait_loadcnt 0x0
	v_cmp_eq_f32_e32 vcc_lo, 1.0, v1
	s_and_b32 s13, s19, vcc_lo
	s_wait_alu 0xfffe
	s_and_b32 vcc_lo, exec_lo, s13
	s_wait_alu 0xfffe
	s_cbranch_vccnz .LBB149_3
; %bb.5:                                ;   in Loop: Header=BB149_4 Depth=1
	s_and_b32 vcc_lo, exec_lo, s19
	s_wait_alu 0xfffe
	s_cbranch_vccz .LBB149_7
; %bb.6:                                ;   in Loop: Header=BB149_4 Depth=1
	s_cbranch_execnz .LBB149_3
	s_branch .LBB149_8
.LBB149_7:                              ;   in Loop: Header=BB149_4 Depth=1
.LBB149_8:                              ;   in Loop: Header=BB149_4 Depth=1
	s_lshl_b64 s[100:101], s[34:35], 3
	s_wait_alu 0xfffe
	s_add_nc_u64 s[102:103], s[28:29], s[100:101]
	s_add_nc_u64 s[100:101], s[24:25], s[100:101]
	s_clause 0x1
	global_load_b64 v[2:3], v17, s[102:103]
	global_load_b64 v[0:1], v17, s[100:101]
	s_wait_loadcnt 0x1
	v_add_co_u32 v2, vcc_lo, v2, s30
	s_wait_alu 0xfffd
	v_add_co_ci_u32_e64 v3, null, s31, v3, vcc_lo
	s_delay_alu instid0(VALU_DEP_2) | instskip(SKIP_1) | instid1(VALU_DEP_2)
	v_add_co_u32 v4, vcc_lo, v2, v18
	s_wait_alu 0xfffd
	v_add_co_ci_u32_e64 v5, null, v3, v19, vcc_lo
	s_and_saveexec_b32 s13, s0
	s_cbranch_execz .LBB149_12
; %bb.9:                                ;   in Loop: Header=BB149_4 Depth=1
	v_mov_b32_e32 v2, 0
	s_mov_b32 s19, exec_lo
	v_readlane_b32 s14, v92, 0
	s_wait_alu 0xfffe
	s_and_b32 s14, s19, s14
	s_wait_alu 0xfffe
	s_mov_b32 exec_lo, s14
	s_cbranch_execz .LBB149_11
; %bb.10:                               ;   in Loop: Header=BB149_4 Depth=1
	flat_load_b32 v2, v[4:5]
.LBB149_11:                             ;   in Loop: Header=BB149_4 Depth=1
	s_or_b32 exec_lo, exec_lo, s19
	s_wait_loadcnt_dscnt 0x0
	ds_store_b32 v36, v2
.LBB149_12:                             ;   in Loop: Header=BB149_4 Depth=1
	s_wait_alu 0xfffe
	s_or_b32 exec_lo, exec_lo, s13
	s_wait_loadcnt 0x0
	v_add_co_u32 v0, vcc_lo, v0, s26
	s_wait_alu 0xfffd
	v_add_co_ci_u32_e64 v1, null, s27, v1, vcc_lo
	s_mov_b32 s13, -1
	v_add_co_u32 v0, vcc_lo, v0, s88
	s_wait_alu 0xfffd
	v_add_co_ci_u32_e64 v1, null, s89, v1, vcc_lo
	s_delay_alu instid0(VALU_DEP_2) | instskip(SKIP_1) | instid1(VALU_DEP_2)
	v_add_co_u32 v0, vcc_lo, v0, v20
	s_wait_alu 0xfffd
	v_add_co_ci_u32_e64 v1, null, v1, v21, vcc_lo
	v_cmp_ne_u32_e32 vcc_lo, 1, v37
	s_delay_alu instid0(VALU_DEP_3) | instskip(SKIP_1) | instid1(VALU_DEP_3)
	v_add_co_u32 v0, s19, v0, s90
	s_wait_alu 0xf1ff
	v_add_co_ci_u32_e64 v1, null, s91, v1, s19
	s_cbranch_vccnz .LBB149_14
; %bb.13:                               ;   in Loop: Header=BB149_4 Depth=1
	s_lshl_b64 s[100:101], s[46:47], 2
	s_mov_b32 s13, 0
	s_wait_alu 0xfffe
	v_add_co_u32 v2, vcc_lo, v0, s100
	s_wait_alu 0xfffd
	v_add_co_ci_u32_e64 v3, null, s101, v1, vcc_lo
	s_delay_alu instid0(VALU_DEP_2) | instskip(SKIP_1) | instid1(VALU_DEP_2)
	v_add_co_u32 v6, vcc_lo, v2, s52
	s_wait_alu 0xfffd
	v_add_co_ci_u32_e64 v7, null, s53, v3, vcc_lo
	s_delay_alu instid0(VALU_DEP_2) | instskip(SKIP_1) | instid1(VALU_DEP_2)
	v_add_co_u32 v8, vcc_lo, v6, s52
	s_wait_alu 0xfffd
	v_add_co_ci_u32_e64 v9, null, s53, v7, vcc_lo
	s_clause 0x3
	flat_load_b32 v10, v[0:1]
	flat_load_b32 v2, v[2:3]
	;; [unrolled: 1-line block ×4, first 2 shown]
	s_wait_loadcnt_dscnt 0x303
	ds_store_b32 v51, v10
	s_wait_loadcnt_dscnt 0x203
	ds_store_b32 v51, v2 offset:1056
	s_wait_loadcnt_dscnt 0x103
	ds_store_b32 v51, v3 offset:2112
	;; [unrolled: 2-line block ×3, first 2 shown]
.LBB149_14:                             ;   in Loop: Header=BB149_4 Depth=1
	s_wait_alu 0xfffe
	s_and_not1_b32 vcc_lo, exec_lo, s13
	s_wait_alu 0xfffe
	s_cbranch_vccnz .LBB149_24
; %bb.15:                               ;   in Loop: Header=BB149_4 Depth=1
	v_add_co_u32 v2, vcc_lo, v0, v22
	s_wait_alu 0xfffd
	v_add_co_ci_u32_e64 v3, null, v1, v23, vcc_lo
	s_lshl_b64 s[100:101], s[40:41], 2
	v_dual_mov_b32 v7, 0 :: v_dual_mov_b32 v6, 0
	s_wait_alu 0xfffe
	v_add_co_u32 v2, vcc_lo, v2, s100
	s_wait_alu 0xfffd
	v_add_co_ci_u32_e64 v3, null, s101, v3, vcc_lo
	s_delay_alu instid0(VALU_DEP_2) | instskip(SKIP_1) | instid1(VALU_DEP_2)
	v_add_co_u32 v2, vcc_lo, v2, -4
	s_wait_alu 0xfffd
	v_add_co_ci_u32_e64 v3, null, -1, v3, vcc_lo
	s_delay_alu instid0(VALU_DEP_2) | instskip(NEXT) | instid1(VALU_DEP_2)
	v_cndmask_b32_e64 v2, v2, v0, s1
	v_cndmask_b32_e64 v3, v3, v1, s1
	s_and_saveexec_b32 s13, s2
	s_cbranch_execz .LBB149_17
; %bb.16:                               ;   in Loop: Header=BB149_4 Depth=1
	flat_load_b32 v6, v[2:3]
.LBB149_17:                             ;   in Loop: Header=BB149_4 Depth=1
	s_wait_alu 0xfffe
	s_or_b32 exec_lo, exec_lo, s13
	s_wait_loadcnt_dscnt 0x0
	ds_store_b32 v51, v6
	s_and_saveexec_b32 s13, s3
	s_cbranch_execz .LBB149_19
; %bb.18:                               ;   in Loop: Header=BB149_4 Depth=1
	s_lshl_b64 s[100:101], s[46:47], 2
	s_wait_alu 0xfffe
	v_add_co_u32 v6, vcc_lo, v2, s100
	s_wait_alu 0xfffd
	v_add_co_ci_u32_e64 v7, null, s101, v3, vcc_lo
	flat_load_b32 v7, v[6:7]
.LBB149_19:                             ;   in Loop: Header=BB149_4 Depth=1
	s_wait_alu 0xfffe
	s_or_b32 exec_lo, exec_lo, s13
	v_mov_b32_e32 v6, 0
	v_mov_b32_e32 v8, 0
	s_wait_loadcnt_dscnt 0x0
	ds_store_b32 v51, v7 offset:1056
	s_and_saveexec_b32 s13, s4
	s_cbranch_execz .LBB149_21
; %bb.20:                               ;   in Loop: Header=BB149_4 Depth=1
	s_lshl_b64 s[100:101], s[48:49], 2
	s_wait_alu 0xfffe
	v_add_co_u32 v7, vcc_lo, v2, s100
	s_wait_alu 0xfffd
	v_add_co_ci_u32_e64 v8, null, s101, v3, vcc_lo
	flat_load_b32 v8, v[7:8]
.LBB149_21:                             ;   in Loop: Header=BB149_4 Depth=1
	s_wait_alu 0xfffe
	s_or_b32 exec_lo, exec_lo, s13
	s_wait_loadcnt_dscnt 0x0
	ds_store_b32 v51, v8 offset:2112
	s_and_saveexec_b32 s13, s5
	s_cbranch_execz .LBB149_23
; %bb.22:                               ;   in Loop: Header=BB149_4 Depth=1
	s_lshl_b64 s[100:101], s[50:51], 2
	s_wait_alu 0xfffe
	v_add_co_u32 v6, vcc_lo, v2, s100
	s_wait_alu 0xfffd
	v_add_co_ci_u32_e64 v7, null, s101, v3, vcc_lo
	flat_load_b32 v6, v[6:7]
.LBB149_23:                             ;   in Loop: Header=BB149_4 Depth=1
	s_wait_alu 0xfffe
	s_or_b32 exec_lo, exec_lo, s13
	v_add_co_u32 v2, vcc_lo, v2, v56
	s_wait_alu 0xfffd
	v_add_co_ci_u32_e64 v3, null, 0, v3, vcc_lo
	s_lshl_b64 s[100:101], s[54:55], 2
	s_wait_loadcnt_dscnt 0x0
	ds_store_b32 v51, v6 offset:3168
	s_wait_alu 0xfffe
	v_add_co_u32 v2, vcc_lo, v2, s100
	s_wait_alu 0xfffd
	v_add_co_ci_u32_e64 v3, null, s101, v3, vcc_lo
	s_delay_alu instid0(VALU_DEP_2) | instskip(SKIP_1) | instid1(VALU_DEP_2)
	v_add_co_u32 v2, vcc_lo, v2, 4
	s_wait_alu 0xfffd
	v_add_co_ci_u32_e64 v3, null, 0, v3, vcc_lo
	s_delay_alu instid0(VALU_DEP_2) | instskip(NEXT) | instid1(VALU_DEP_2)
	v_cndmask_b32_e64 v0, v2, v0, s1
	v_cndmask_b32_e64 v1, v3, v1, s1
.LBB149_24:                             ;   in Loop: Header=BB149_4 Depth=1
	s_wait_dscnt 0x0
	s_barrier_signal -1
	s_barrier_wait -1
	global_inv scope:SCOPE_SE
	s_and_saveexec_b32 s13, s6
	s_cbranch_execnz .LBB149_75
; %bb.25:                               ;   in Loop: Header=BB149_4 Depth=1
	s_wait_alu 0xfffe
	s_or_b32 exec_lo, exec_lo, s13
	s_and_saveexec_b32 s13, s7
	s_cbranch_execnz .LBB149_76
.LBB149_26:                             ;   in Loop: Header=BB149_4 Depth=1
	s_wait_alu 0xfffe
	s_or_b32 exec_lo, exec_lo, s13
	s_and_saveexec_b32 s13, s8
	s_cbranch_execnz .LBB149_77
.LBB149_27:                             ;   in Loop: Header=BB149_4 Depth=1
	s_wait_alu 0xfffe
	s_or_b32 exec_lo, exec_lo, s13
	s_and_saveexec_b32 s13, s9
	s_cbranch_execz .LBB149_29
.LBB149_28:                             ;   in Loop: Header=BB149_4 Depth=1
	ds_load_b32 v2, v53 offset:264
	s_wait_dscnt 0x0
	ds_store_b32 v39, v2 offset:12
.LBB149_29:                             ;   in Loop: Header=BB149_4 Depth=1
	s_wait_alu 0xfffe
	s_or_b32 exec_lo, exec_lo, s13
	s_wait_loadcnt_dscnt 0x0
	s_barrier_signal -1
	s_barrier_wait -1
	global_inv scope:SCOPE_SE
	ds_load_b32 v10, v52
	ds_load_b32 v11, v53 offset:264
	ds_load_b128 v[6:9], v40
	ds_load_2addr_b32 v[2:3], v53 offset1:33
	s_wait_loadcnt_dscnt 0x0
	s_barrier_signal -1
	s_barrier_wait -1
	global_inv scope:SCOPE_SE
	v_mov_b32_e32 v57, 0
	v_fma_f32 v6, v10, v6, 0
	s_delay_alu instid0(VALU_DEP_1) | instskip(NEXT) | instid1(VALU_DEP_1)
	v_fmac_f32_e32 v6, v2, v7
	v_fmac_f32_e32 v6, v3, v8
	s_delay_alu instid0(VALU_DEP_1)
	v_fmac_f32_e32 v6, v11, v9
	ds_store_b32 v41, v6
	s_wait_loadcnt_dscnt 0x0
	s_barrier_signal -1
	s_barrier_wait -1
	global_inv scope:SCOPE_SE
	s_and_saveexec_b32 s13, s10
	s_cbranch_execz .LBB149_31
; %bb.30:                               ;   in Loop: Header=BB149_4 Depth=1
	ds_load_2addr_b32 v[2:3], v38 offset1:1
	ds_load_2addr_b32 v[6:7], v38 offset0:2 offset1:3
	ds_load_2addr_b32 v[8:9], v38 offset0:4 offset1:5
	;; [unrolled: 1-line block ×3, first 2 shown]
	s_wait_dscnt 0x3
	v_add_f32_e32 v2, v2, v3
	s_wait_dscnt 0x2
	s_delay_alu instid0(VALU_DEP_1) | instskip(NEXT) | instid1(VALU_DEP_1)
	v_add_f32_e32 v2, v2, v6
	v_add_f32_e32 v2, v2, v7
	s_wait_dscnt 0x1
	s_delay_alu instid0(VALU_DEP_1) | instskip(NEXT) | instid1(VALU_DEP_1)
	v_add_f32_e32 v2, v2, v8
	;; [unrolled: 4-line block ×3, first 2 shown]
	v_add_f32_e32 v57, v2, v11
.LBB149_31:                             ;   in Loop: Header=BB149_4 Depth=1
	s_wait_alu 0xfffe
	s_or_b32 exec_lo, exec_lo, s13
	v_cmp_ne_u32_e32 vcc_lo, 1, v37
	v_add_co_u32 v0, s19, v0, s92
	s_wait_alu 0xf1ff
	v_add_co_ci_u32_e64 v1, null, s93, v1, s19
	s_and_b32 vcc_lo, exec_lo, vcc_lo
	s_mov_b32 s13, -1
	s_wait_loadcnt 0x0
	s_barrier_signal -1
	s_barrier_wait -1
	global_inv scope:SCOPE_SE
	s_wait_alu 0xfffe
	s_cbranch_vccnz .LBB149_33
; %bb.32:                               ;   in Loop: Header=BB149_4 Depth=1
	s_lshl_b64 s[100:101], s[46:47], 2
	s_mov_b32 s13, 0
	s_wait_alu 0xfffe
	v_add_co_u32 v2, vcc_lo, v0, s100
	s_wait_alu 0xfffd
	v_add_co_ci_u32_e64 v3, null, s101, v1, vcc_lo
	s_delay_alu instid0(VALU_DEP_2) | instskip(SKIP_1) | instid1(VALU_DEP_2)
	v_add_co_u32 v6, vcc_lo, v2, s52
	s_wait_alu 0xfffd
	v_add_co_ci_u32_e64 v7, null, s53, v3, vcc_lo
	s_delay_alu instid0(VALU_DEP_2) | instskip(SKIP_1) | instid1(VALU_DEP_2)
	v_add_co_u32 v8, vcc_lo, v6, s52
	s_wait_alu 0xfffd
	v_add_co_ci_u32_e64 v9, null, s53, v7, vcc_lo
	s_clause 0x3
	flat_load_b32 v10, v[0:1] offset:128
	flat_load_b32 v2, v[2:3] offset:128
	;; [unrolled: 1-line block ×4, first 2 shown]
	s_wait_loadcnt_dscnt 0x303
	ds_store_b32 v51, v10
	s_wait_loadcnt_dscnt 0x203
	ds_store_b32 v51, v2 offset:1056
	s_wait_loadcnt_dscnt 0x103
	ds_store_b32 v51, v3 offset:2112
	;; [unrolled: 2-line block ×3, first 2 shown]
.LBB149_33:                             ;   in Loop: Header=BB149_4 Depth=1
	v_add_co_u32 v2, vcc_lo, 0x80, v0
	s_wait_alu 0xfffd
	v_add_co_ci_u32_e64 v3, null, 0, v1, vcc_lo
	s_and_not1_b32 vcc_lo, exec_lo, s13
	s_wait_alu 0xfffe
	s_cbranch_vccnz .LBB149_43
; %bb.34:                               ;   in Loop: Header=BB149_4 Depth=1
	v_add_co_u32 v0, vcc_lo, v0, v22
	s_wait_alu 0xfffd
	v_add_co_ci_u32_e64 v1, null, v1, v23, vcc_lo
	s_lshl_b64 s[100:101], s[40:41], 2
	v_dual_mov_b32 v7, 0 :: v_dual_mov_b32 v6, 0
	s_wait_alu 0xfffe
	v_add_co_u32 v0, vcc_lo, v0, s100
	s_wait_alu 0xfffd
	v_add_co_ci_u32_e64 v1, null, s101, v1, vcc_lo
	s_delay_alu instid0(VALU_DEP_2) | instskip(SKIP_1) | instid1(VALU_DEP_2)
	v_add_co_u32 v0, vcc_lo, v0, -4
	s_wait_alu 0xfffd
	v_add_co_ci_u32_e64 v1, null, -1, v1, vcc_lo
	s_delay_alu instid0(VALU_DEP_2) | instskip(NEXT) | instid1(VALU_DEP_2)
	v_cndmask_b32_e64 v0, v0, v2, s11
	v_cndmask_b32_e64 v1, v1, v3, s11
	s_mov_b32 s13, exec_lo
	v_readlane_b32 s14, v92, 1
	s_wait_alu 0xfffe
	s_and_b32 s14, s13, s14
	s_wait_alu 0xfffe
	s_mov_b32 exec_lo, s14
	s_cbranch_execz .LBB149_36
; %bb.35:                               ;   in Loop: Header=BB149_4 Depth=1
	flat_load_b32 v6, v[0:1]
.LBB149_36:                             ;   in Loop: Header=BB149_4 Depth=1
	s_or_b32 exec_lo, exec_lo, s13
	s_wait_loadcnt_dscnt 0x0
	ds_store_b32 v51, v6
	s_mov_b32 s13, exec_lo
	v_readlane_b32 s14, v92, 2
	s_wait_alu 0xfffe
	s_and_b32 s14, s13, s14
	s_wait_alu 0xfffe
	s_mov_b32 exec_lo, s14
	s_cbranch_execz .LBB149_38
; %bb.37:                               ;   in Loop: Header=BB149_4 Depth=1
	s_lshl_b64 s[100:101], s[46:47], 2
	s_wait_alu 0xfffe
	v_add_co_u32 v6, vcc_lo, v0, s100
	s_wait_alu 0xfffd
	v_add_co_ci_u32_e64 v7, null, s101, v1, vcc_lo
	flat_load_b32 v7, v[6:7]
.LBB149_38:                             ;   in Loop: Header=BB149_4 Depth=1
	s_or_b32 exec_lo, exec_lo, s13
	v_mov_b32_e32 v6, 0
	v_mov_b32_e32 v8, 0
	s_wait_loadcnt_dscnt 0x0
	ds_store_b32 v51, v7 offset:1056
	s_mov_b32 s13, exec_lo
	v_readlane_b32 s14, v92, 3
	s_wait_alu 0xfffe
	s_and_b32 s14, s13, s14
	s_wait_alu 0xfffe
	s_mov_b32 exec_lo, s14
	s_cbranch_execz .LBB149_40
; %bb.39:                               ;   in Loop: Header=BB149_4 Depth=1
	s_lshl_b64 s[100:101], s[48:49], 2
	s_wait_alu 0xfffe
	v_add_co_u32 v7, vcc_lo, v0, s100
	s_wait_alu 0xfffd
	v_add_co_ci_u32_e64 v8, null, s101, v1, vcc_lo
	flat_load_b32 v8, v[7:8]
.LBB149_40:                             ;   in Loop: Header=BB149_4 Depth=1
	s_or_b32 exec_lo, exec_lo, s13
	s_wait_loadcnt_dscnt 0x0
	ds_store_b32 v51, v8 offset:2112
	s_mov_b32 s13, exec_lo
	v_readlane_b32 s14, v92, 4
	s_wait_alu 0xfffe
	s_and_b32 s14, s13, s14
	s_wait_alu 0xfffe
	s_mov_b32 exec_lo, s14
	s_cbranch_execz .LBB149_42
; %bb.41:                               ;   in Loop: Header=BB149_4 Depth=1
	s_lshl_b64 s[100:101], s[50:51], 2
	s_wait_alu 0xfffe
	v_add_co_u32 v6, vcc_lo, v0, s100
	s_wait_alu 0xfffd
	v_add_co_ci_u32_e64 v7, null, s101, v1, vcc_lo
	flat_load_b32 v6, v[6:7]
.LBB149_42:                             ;   in Loop: Header=BB149_4 Depth=1
	s_or_b32 exec_lo, exec_lo, s13
	v_add_co_u32 v0, vcc_lo, v0, v56
	s_wait_alu 0xfffd
	v_add_co_ci_u32_e64 v1, null, 0, v1, vcc_lo
	s_lshl_b64 s[100:101], s[54:55], 2
	s_wait_loadcnt_dscnt 0x0
	ds_store_b32 v51, v6 offset:3168
	s_wait_alu 0xfffe
	v_add_co_u32 v0, vcc_lo, v0, s100
	s_wait_alu 0xfffd
	v_add_co_ci_u32_e64 v1, null, s101, v1, vcc_lo
	s_delay_alu instid0(VALU_DEP_2) | instskip(SKIP_1) | instid1(VALU_DEP_2)
	v_add_co_u32 v0, vcc_lo, 0x84, v0
	s_wait_alu 0xfffd
	v_add_co_ci_u32_e64 v1, null, 0, v1, vcc_lo
	s_delay_alu instid0(VALU_DEP_2) | instskip(NEXT) | instid1(VALU_DEP_2)
	v_cndmask_b32_e64 v2, v0, v2, s11
	v_cndmask_b32_e64 v3, v1, v3, s11
.LBB149_43:                             ;   in Loop: Header=BB149_4 Depth=1
	s_wait_loadcnt_dscnt 0x0
	s_barrier_signal -1
	s_barrier_wait -1
	global_inv scope:SCOPE_SE
	s_and_saveexec_b32 s13, s6
	s_cbranch_execnz .LBB149_78
; %bb.44:                               ;   in Loop: Header=BB149_4 Depth=1
	s_wait_alu 0xfffe
	s_or_b32 exec_lo, exec_lo, s13
	s_and_saveexec_b32 s13, s7
	s_cbranch_execnz .LBB149_79
.LBB149_45:                             ;   in Loop: Header=BB149_4 Depth=1
	s_wait_alu 0xfffe
	s_or_b32 exec_lo, exec_lo, s13
	s_and_saveexec_b32 s13, s8
	s_cbranch_execnz .LBB149_80
.LBB149_46:                             ;   in Loop: Header=BB149_4 Depth=1
	s_wait_alu 0xfffe
	s_or_b32 exec_lo, exec_lo, s13
	s_and_saveexec_b32 s13, s9
	s_cbranch_execz .LBB149_48
.LBB149_47:                             ;   in Loop: Header=BB149_4 Depth=1
	ds_load_b32 v0, v53 offset:264
	s_wait_dscnt 0x0
	ds_store_b32 v39, v0 offset:12
.LBB149_48:                             ;   in Loop: Header=BB149_4 Depth=1
	s_wait_alu 0xfffe
	s_or_b32 exec_lo, exec_lo, s13
	s_wait_loadcnt_dscnt 0x0
	s_barrier_signal -1
	s_barrier_wait -1
	global_inv scope:SCOPE_SE
	ds_load_b32 v10, v52
	ds_load_b32 v11, v53 offset:264
	ds_load_b128 v[6:9], v40 offset:128
	ds_load_2addr_b32 v[0:1], v53 offset1:33
	s_wait_loadcnt_dscnt 0x0
	s_barrier_signal -1
	s_barrier_wait -1
	global_inv scope:SCOPE_SE
	v_fma_f32 v6, v10, v6, 0
	s_delay_alu instid0(VALU_DEP_1) | instskip(NEXT) | instid1(VALU_DEP_1)
	v_fmac_f32_e32 v6, v0, v7
	v_fmac_f32_e32 v6, v1, v8
	s_delay_alu instid0(VALU_DEP_1)
	v_fmac_f32_e32 v6, v11, v9
	ds_store_b32 v41, v6
	s_wait_loadcnt_dscnt 0x0
	s_barrier_signal -1
	s_barrier_wait -1
	global_inv scope:SCOPE_SE
	s_and_saveexec_b32 s13, s16
	s_cbranch_execz .LBB149_50
; %bb.49:                               ;   in Loop: Header=BB149_4 Depth=1
	ds_load_2addr_b32 v[0:1], v38 offset1:1
	ds_load_2addr_b32 v[6:7], v38 offset0:2 offset1:3
	ds_load_2addr_b32 v[8:9], v38 offset0:4 offset1:5
	;; [unrolled: 1-line block ×3, first 2 shown]
	s_wait_dscnt 0x3
	v_add_f32_e32 v0, v0, v1
	s_wait_dscnt 0x2
	s_delay_alu instid0(VALU_DEP_1) | instskip(NEXT) | instid1(VALU_DEP_1)
	v_add_f32_e32 v0, v0, v6
	v_add_f32_e32 v0, v0, v7
	s_wait_dscnt 0x1
	s_delay_alu instid0(VALU_DEP_1) | instskip(NEXT) | instid1(VALU_DEP_1)
	v_add_f32_e32 v0, v0, v8
	;; [unrolled: 4-line block ×3, first 2 shown]
	v_add_f32_e32 v57, v0, v11
.LBB149_50:                             ;   in Loop: Header=BB149_4 Depth=1
	s_wait_alu 0xfffe
	s_or_b32 exec_lo, exec_lo, s13
	v_cmp_ne_u32_e32 vcc_lo, 1, v37
	v_add_co_u32 v6, s19, v2, s94
	s_wait_alu 0xf1ff
	v_add_co_ci_u32_e64 v7, null, s95, v3, s19
	s_and_b32 vcc_lo, exec_lo, vcc_lo
	s_mov_b32 s13, -1
	s_wait_loadcnt 0x0
	s_barrier_signal -1
	s_barrier_wait -1
	global_inv scope:SCOPE_SE
	s_wait_alu 0xfffe
	s_cbranch_vccnz .LBB149_52
; %bb.51:                               ;   in Loop: Header=BB149_4 Depth=1
	s_lshl_b64 s[100:101], s[46:47], 2
	s_mov_b32 s13, 0
	s_wait_alu 0xfffe
	v_add_co_u32 v0, vcc_lo, v6, s100
	s_wait_alu 0xfffd
	v_add_co_ci_u32_e64 v1, null, s101, v7, vcc_lo
	s_delay_alu instid0(VALU_DEP_2) | instskip(SKIP_1) | instid1(VALU_DEP_2)
	v_add_co_u32 v2, vcc_lo, v0, s52
	s_wait_alu 0xfffd
	v_add_co_ci_u32_e64 v3, null, s53, v1, vcc_lo
	s_delay_alu instid0(VALU_DEP_2) | instskip(SKIP_1) | instid1(VALU_DEP_2)
	v_add_co_u32 v8, vcc_lo, v2, s52
	s_wait_alu 0xfffd
	v_add_co_ci_u32_e64 v9, null, s53, v3, vcc_lo
	s_clause 0x3
	flat_load_b32 v10, v[6:7]
	flat_load_b32 v0, v[0:1]
	;; [unrolled: 1-line block ×4, first 2 shown]
	s_wait_loadcnt_dscnt 0x303
	ds_store_b32 v51, v10
	s_wait_loadcnt_dscnt 0x203
	ds_store_b32 v51, v0 offset:1056
	s_wait_loadcnt_dscnt 0x103
	ds_store_b32 v51, v1 offset:2112
	;; [unrolled: 2-line block ×3, first 2 shown]
.LBB149_52:                             ;   in Loop: Header=BB149_4 Depth=1
	s_and_not1_b32 vcc_lo, exec_lo, s13
	s_wait_alu 0xfffe
	s_cbranch_vccnz .LBB149_62
; %bb.53:                               ;   in Loop: Header=BB149_4 Depth=1
	v_add_co_u32 v0, vcc_lo, v6, v22
	s_wait_alu 0xfffd
	v_add_co_ci_u32_e64 v1, null, v7, v23, vcc_lo
	s_lshl_b64 s[100:101], s[40:41], 2
	v_dual_mov_b32 v3, 0 :: v_dual_mov_b32 v2, 0
	s_wait_alu 0xfffe
	v_add_co_u32 v0, vcc_lo, v0, s100
	s_wait_alu 0xfffd
	v_add_co_ci_u32_e64 v1, null, s101, v1, vcc_lo
	s_delay_alu instid0(VALU_DEP_2) | instskip(SKIP_1) | instid1(VALU_DEP_2)
	v_add_co_u32 v0, vcc_lo, 0xffffff7c, v0
	s_wait_alu 0xfffd
	v_add_co_ci_u32_e64 v1, null, -1, v1, vcc_lo
	s_delay_alu instid0(VALU_DEP_2) | instskip(NEXT) | instid1(VALU_DEP_2)
	v_cndmask_b32_e64 v0, v0, v6, s11
	v_cndmask_b32_e64 v1, v1, v7, s11
	s_and_saveexec_b32 s13, s2
	s_cbranch_execz .LBB149_55
; %bb.54:                               ;   in Loop: Header=BB149_4 Depth=1
	flat_load_b32 v2, v[0:1]
.LBB149_55:                             ;   in Loop: Header=BB149_4 Depth=1
	s_wait_alu 0xfffe
	s_or_b32 exec_lo, exec_lo, s13
	s_wait_loadcnt_dscnt 0x0
	ds_store_b32 v51, v2
	s_and_saveexec_b32 s13, s3
	s_cbranch_execz .LBB149_57
; %bb.56:                               ;   in Loop: Header=BB149_4 Depth=1
	s_lshl_b64 s[100:101], s[46:47], 2
	s_wait_alu 0xfffe
	v_add_co_u32 v2, vcc_lo, v0, s100
	s_wait_alu 0xfffd
	v_add_co_ci_u32_e64 v3, null, s101, v1, vcc_lo
	flat_load_b32 v3, v[2:3]
.LBB149_57:                             ;   in Loop: Header=BB149_4 Depth=1
	s_wait_alu 0xfffe
	s_or_b32 exec_lo, exec_lo, s13
	v_mov_b32_e32 v2, 0
	v_mov_b32_e32 v8, 0
	s_wait_loadcnt_dscnt 0x0
	ds_store_b32 v51, v3 offset:1056
	s_and_saveexec_b32 s13, s4
	s_cbranch_execz .LBB149_59
; %bb.58:                               ;   in Loop: Header=BB149_4 Depth=1
	s_lshl_b64 s[100:101], s[48:49], 2
	s_wait_alu 0xfffe
	v_add_co_u32 v8, vcc_lo, v0, s100
	s_wait_alu 0xfffd
	v_add_co_ci_u32_e64 v9, null, s101, v1, vcc_lo
	flat_load_b32 v8, v[8:9]
.LBB149_59:                             ;   in Loop: Header=BB149_4 Depth=1
	s_wait_alu 0xfffe
	s_or_b32 exec_lo, exec_lo, s13
	s_wait_loadcnt_dscnt 0x0
	ds_store_b32 v51, v8 offset:2112
	s_and_saveexec_b32 s13, s5
	s_cbranch_execz .LBB149_61
; %bb.60:                               ;   in Loop: Header=BB149_4 Depth=1
	s_lshl_b64 s[100:101], s[50:51], 2
	s_wait_alu 0xfffe
	v_add_co_u32 v2, vcc_lo, v0, s100
	s_wait_alu 0xfffd
	v_add_co_ci_u32_e64 v3, null, s101, v1, vcc_lo
	flat_load_b32 v2, v[2:3]
.LBB149_61:                             ;   in Loop: Header=BB149_4 Depth=1
	s_wait_alu 0xfffe
	s_or_b32 exec_lo, exec_lo, s13
	v_add_co_u32 v0, vcc_lo, v0, v56
	s_wait_alu 0xfffd
	v_add_co_ci_u32_e64 v1, null, 0, v1, vcc_lo
	s_lshl_b64 s[100:101], s[54:55], 2
	s_wait_loadcnt_dscnt 0x0
	ds_store_b32 v51, v2 offset:3168
	s_wait_alu 0xfffe
	v_add_co_u32 v0, vcc_lo, v0, s100
	s_wait_alu 0xfffd
	v_add_co_ci_u32_e64 v1, null, s101, v1, vcc_lo
	s_delay_alu instid0(VALU_DEP_2) | instskip(SKIP_1) | instid1(VALU_DEP_2)
	v_add_co_u32 v0, vcc_lo, 0x84, v0
	s_wait_alu 0xfffd
	v_add_co_ci_u32_e64 v1, null, 0, v1, vcc_lo
	s_delay_alu instid0(VALU_DEP_2) | instskip(NEXT) | instid1(VALU_DEP_2)
	v_cndmask_b32_e64 v6, v0, v6, s11
	v_cndmask_b32_e64 v7, v1, v7, s11
.LBB149_62:                             ;   in Loop: Header=BB149_4 Depth=1
	s_wait_loadcnt_dscnt 0x0
	s_barrier_signal -1
	s_barrier_wait -1
	global_inv scope:SCOPE_SE
	ds_load_b32 v0, v51
	ds_load_b32 v1, v54
	ds_load_2addr_b32 v[12:13], v50 offset0:8 offset1:16
	ds_load_b32 v14, v51 offset:1056
	ds_load_b32 v15, v51 offset:2112
	;; [unrolled: 1-line block ×4, first 2 shown]
	s_wait_dscnt 0x5
	v_fma_f32 v33, v0, v1, 0
	ds_load_2addr_b32 v[10:11], v42 offset1:1
	ds_load_b128 v[0:3], v40 offset:128
	ds_load_2addr_b32 v[8:9], v42 offset0:2 offset1:3
	s_wait_loadcnt_dscnt 0x0
	s_barrier_signal -1
	s_barrier_wait -1
	v_fmac_f32_e32 v33, v14, v12
	global_inv scope:SCOPE_SE
	v_fmac_f32_e32 v33, v15, v13
	s_delay_alu instid0(VALU_DEP_1)
	v_fmac_f32_e32 v33, v16, v32
	ds_store_b32 v41, v33
	s_wait_loadcnt_dscnt 0x0
	s_barrier_signal -1
	s_barrier_wait -1
	global_inv scope:SCOPE_SE
	s_and_saveexec_b32 s13, s16
	s_cbranch_execz .LBB149_64
; %bb.63:                               ;   in Loop: Header=BB149_4 Depth=1
	ds_load_2addr_b32 v[12:13], v38 offset1:1
	ds_load_2addr_b32 v[14:15], v38 offset0:2 offset1:3
	ds_load_2addr_b32 v[32:33], v38 offset0:4 offset1:5
	;; [unrolled: 1-line block ×3, first 2 shown]
	s_wait_dscnt 0x3
	v_add_f32_e32 v12, v57, v12
	s_delay_alu instid0(VALU_DEP_1) | instskip(SKIP_1) | instid1(VALU_DEP_1)
	v_add_f32_e32 v12, v12, v13
	s_wait_dscnt 0x2
	v_add_f32_e32 v12, v12, v14
	s_delay_alu instid0(VALU_DEP_1) | instskip(SKIP_1) | instid1(VALU_DEP_1)
	v_add_f32_e32 v12, v12, v15
	s_wait_dscnt 0x1
	v_add_f32_e32 v12, v12, v32
	s_delay_alu instid0(VALU_DEP_1) | instskip(SKIP_1) | instid1(VALU_DEP_1)
	v_add_f32_e32 v12, v12, v33
	s_wait_dscnt 0x0
	v_add_f32_e32 v12, v12, v58
	s_delay_alu instid0(VALU_DEP_1)
	v_add_f32_e32 v57, v12, v59
.LBB149_64:                             ;   in Loop: Header=BB149_4 Depth=1
	s_wait_alu 0xfffe
	s_or_b32 exec_lo, exec_lo, s13
	v_fma_f32 v0, v10, v0, 0
	s_wait_loadcnt 0x0
	s_barrier_signal -1
	s_barrier_wait -1
	global_inv scope:SCOPE_SE
	v_fmac_f32_e32 v0, v11, v1
	s_delay_alu instid0(VALU_DEP_1) | instskip(NEXT) | instid1(VALU_DEP_1)
	v_fmac_f32_e32 v0, v8, v2
	v_fmac_f32_e32 v0, v9, v3
	ds_store_b32 v41, v0
	s_wait_loadcnt_dscnt 0x0
	s_barrier_signal -1
	s_barrier_wait -1
	global_inv scope:SCOPE_SE
	s_and_saveexec_b32 s13, s10
	s_cbranch_execz .LBB149_66
; %bb.65:                               ;   in Loop: Header=BB149_4 Depth=1
	ds_load_2addr_b32 v[0:1], v38 offset1:1
	ds_load_2addr_b32 v[2:3], v38 offset0:2 offset1:3
	ds_load_2addr_b32 v[8:9], v38 offset0:4 offset1:5
	;; [unrolled: 1-line block ×3, first 2 shown]
	s_wait_dscnt 0x3
	v_add_f32_e32 v0, v57, v0
	s_delay_alu instid0(VALU_DEP_1) | instskip(SKIP_1) | instid1(VALU_DEP_1)
	v_add_f32_e32 v0, v0, v1
	s_wait_dscnt 0x2
	v_add_f32_e32 v0, v0, v2
	s_delay_alu instid0(VALU_DEP_1) | instskip(SKIP_1) | instid1(VALU_DEP_1)
	v_add_f32_e32 v0, v0, v3
	;; [unrolled: 4-line block ×3, first 2 shown]
	s_wait_dscnt 0x0
	v_add_f32_e32 v0, v0, v10
	s_delay_alu instid0(VALU_DEP_1)
	v_add_f32_e32 v57, v0, v11
.LBB149_66:                             ;   in Loop: Header=BB149_4 Depth=1
	s_wait_alu 0xfffe
	s_or_b32 exec_lo, exec_lo, s13
	s_mul_u64 s[100:101], s[42:43], s[34:35]
	s_and_not1_b32 vcc_lo, exec_lo, vcc_hi
	s_wait_alu 0xfffe
	s_lshl_b64 s[100:101], s[100:101], 2
	s_wait_loadcnt 0x0
	s_wait_alu 0xfffe
	s_add_nc_u64 s[100:101], s[44:45], s[100:101]
	s_barrier_signal -1
	s_barrier_wait -1
	global_inv scope:SCOPE_SE
	s_cbranch_vccnz .LBB149_73
; %bb.67:                               ;   in Loop: Header=BB149_4 Depth=1
	v_add_co_u32 v0, vcc_lo, v6, s98
	s_wait_alu 0xfffd
	v_add_co_ci_u32_e64 v1, null, s99, v7, vcc_lo
	s_lshl_b64 s[102:103], s[40:41], 2
	v_add_co_u32 v0, vcc_lo, v0, v24
	s_wait_alu 0xfffd
	v_add_co_ci_u32_e64 v1, null, v1, v25, vcc_lo
	v_add_co_u32 v58, s19, v4, s96
	s_delay_alu instid0(VALU_DEP_3) | instskip(SKIP_1) | instid1(VALU_DEP_3)
	v_add_co_u32 v0, vcc_lo, v0, v26
	s_wait_alu 0xfffd
	v_add_co_ci_u32_e64 v1, null, v1, v27, vcc_lo
	s_wait_alu 0xf1ff
	v_add_co_ci_u32_e64 v59, null, s97, v5, s19
	v_add_co_u32 v2, vcc_lo, v0, v28
	s_wait_alu 0xfffd
	v_add_co_ci_u32_e64 v3, null, v1, v29, vcc_lo
	v_mov_b32_e32 v16, v34
	s_wait_alu 0xfffe
	v_add_co_u32 v2, vcc_lo, v2, s102
	s_wait_alu 0xfffd
	v_add_co_ci_u32_e64 v3, null, s103, v3, vcc_lo
	v_add_co_u32 v0, vcc_lo, 0xffffff80, v0
	s_wait_alu 0xfffd
	v_add_co_ci_u32_e64 v1, null, -1, v1, vcc_lo
	v_add_co_u32 v2, vcc_lo, 0xffffff7c, v2
	s_wait_alu 0xfffd
	v_add_co_ci_u32_e64 v3, null, -1, v3, vcc_lo
	s_mov_b32 s13, ttmp9
	v_cndmask_b32_e64 v32, v0, v2, s17
	s_mov_b32 s102, 0
	v_cndmask_b32_e64 v33, v1, v3, s17
	s_branch .LBB149_69
.LBB149_68:                             ;   in Loop: Header=BB149_69 Depth=2
	s_wait_alu 0xfffe
	s_or_b32 exec_lo, exec_lo, s19
	v_fmac_f32_e32 v57, v63, v0
	v_add_co_u32 v32, vcc_lo, v32, s60
	s_wait_alu 0xfffd
	v_add_co_ci_u32_e64 v33, null, s61, v33, vcc_lo
	s_delay_alu instid0(VALU_DEP_3)
	v_dual_fmac_f32 v57, v61, v1 :: v_dual_add_nc_u32 v16, 64, v16
	s_add_co_i32 s13, s13, -1
	s_add_co_i32 s102, s102, s104
	s_wait_alu 0xfffe
	s_cmp_eq_u32 s13, 0
	v_fmac_f32_e32 v57, v60, v2
	s_wait_loadcnt 0x0
	s_wait_storecnt 0x0
	s_barrier_signal -1
	s_barrier_wait -1
	global_inv scope:SCOPE_SE
	v_fmac_f32_e32 v57, v62, v3
	s_delay_alu instid0(VALU_DEP_1) | instskip(NEXT) | instid1(VALU_DEP_1)
	v_fmac_f32_e32 v57, v67, v4
	v_fmac_f32_e32 v57, v65, v5
	s_delay_alu instid0(VALU_DEP_1) | instskip(NEXT) | instid1(VALU_DEP_1)
	v_fmac_f32_e32 v57, v64, v6
	v_fmac_f32_e32 v57, v66, v7
	s_delay_alu instid0(VALU_DEP_1) | instskip(NEXT) | instid1(VALU_DEP_1)
	v_fmac_f32_e32 v57, v71, v8
	v_fmac_f32_e32 v57, v69, v9
	s_delay_alu instid0(VALU_DEP_1) | instskip(NEXT) | instid1(VALU_DEP_1)
	v_fmac_f32_e32 v57, v68, v10
	v_fmac_f32_e32 v57, v70, v11
	s_delay_alu instid0(VALU_DEP_1) | instskip(NEXT) | instid1(VALU_DEP_1)
	v_fmac_f32_e32 v57, v75, v12
	v_fmac_f32_e32 v57, v74, v13
	s_delay_alu instid0(VALU_DEP_1) | instskip(NEXT) | instid1(VALU_DEP_1)
	v_fmac_f32_e32 v57, v73, v14
	v_fmac_f32_e32 v57, v72, v15
	s_cbranch_scc1 .LBB149_73
.LBB149_69:                             ;   Parent Loop BB149_4 Depth=1
                                        ; =>  This Inner Loop Header: Depth=2
	s_and_saveexec_b32 s19, s0
	s_cbranch_execz .LBB149_71
; %bb.70:                               ;   in Loop: Header=BB149_69 Depth=2
	s_wait_alu 0xfffe
	s_ashr_i32 s103, s102, 31
	s_wait_alu 0xfffe
	s_lshl_b64 s[14:15], s[102:103], 2
	s_wait_alu 0xfffe
	v_add_co_u32 v0, vcc_lo, v58, s14
	s_wait_alu 0xfffd
	v_add_co_ci_u32_e64 v1, null, s15, v59, vcc_lo
	flat_load_b32 v0, v[0:1]
	s_wait_loadcnt_dscnt 0x0
	ds_store_b32 v43, v0
.LBB149_71:                             ;   in Loop: Header=BB149_69 Depth=2
	s_wait_alu 0xfffe
	s_or_b32 exec_lo, exec_lo, s19
	v_add_co_u32 v0, vcc_lo, v32, s56
	s_wait_alu 0xfffd
	v_add_co_ci_u32_e64 v1, null, s57, v33, vcc_lo
	v_add_co_u32 v2, vcc_lo, v32, s58
	s_wait_alu 0xfffd
	v_add_co_ci_u32_e64 v3, null, s59, v33, vcc_lo
	;; [unrolled: 3-line block ×3, first 2 shown]
	s_wait_loadcnt_dscnt 0x0
	s_barrier_signal -1
	s_barrier_wait -1
	global_inv scope:SCOPE_SE
	s_clause 0x3
	flat_load_b32 v63, v[32:33]
	flat_load_b32 v61, v[0:1]
	;; [unrolled: 1-line block ×4, first 2 shown]
	ds_load_b32 v10, v36
	ds_load_b128 v[0:3], v44
	v_add_co_u32 v4, vcc_lo, v32, s64
	s_wait_alu 0xfffd
	v_add_co_ci_u32_e64 v5, null, s65, v33, vcc_lo
	v_add_co_u32 v6, vcc_lo, v32, s86
	s_wait_alu 0xfffd
	v_add_co_ci_u32_e64 v7, null, s87, v33, vcc_lo
	;; [unrolled: 3-line block ×3, first 2 shown]
	s_wait_loadcnt_dscnt 0x301
	v_mul_f32_e32 v12, v63, v10
	s_wait_loadcnt 0x2
	v_mul_f32_e32 v13, v61, v10
	s_wait_loadcnt 0x1
	;; [unrolled: 2-line block ×3, first 2 shown]
	v_mul_f32_e32 v15, v62, v10
	v_add_co_u32 v10, vcc_lo, v32, s68
	s_wait_alu 0xfffd
	v_add_co_ci_u32_e64 v11, null, s69, v33, vcc_lo
	ds_store_2addr_b32 v45, v12, v13 offset1:67
	ds_store_2addr_b32 v45, v14, v15 offset0:134 offset1:201
	s_wait_dscnt 0x0
	s_barrier_signal -1
	s_barrier_wait -1
	global_inv scope:SCOPE_SE
	ds_load_2addr_b32 v[76:77], v55 offset1:1
	ds_load_2addr_b32 v[78:79], v55 offset0:2 offset1:3
	s_wait_loadcnt_dscnt 0x0
	s_barrier_signal -1
	s_barrier_wait -1
	global_inv scope:SCOPE_SE
	s_clause 0x3
	flat_load_b32 v67, v[4:5]
	flat_load_b32 v65, v[6:7]
	;; [unrolled: 1-line block ×4, first 2 shown]
	ds_load_b32 v14, v36
	ds_load_b128 v[4:7], v44 offset:64
	v_add_co_u32 v8, vcc_lo, v32, s70
	s_wait_alu 0xfffd
	v_add_co_ci_u32_e64 v9, null, s71, v33, vcc_lo
	v_add_co_u32 v10, vcc_lo, v32, s84
	s_wait_alu 0xfffd
	v_add_co_ci_u32_e64 v11, null, s85, v33, vcc_lo
	;; [unrolled: 3-line block ×3, first 2 shown]
	v_add_f32_e32 v76, 0, v76
	s_wait_loadcnt_dscnt 0x301
	v_mul_f32_e32 v68, v67, v14
	s_wait_loadcnt 0x2
	v_mul_f32_e32 v69, v65, v14
	s_wait_loadcnt 0x1
	;; [unrolled: 2-line block ×3, first 2 shown]
	v_mul_f32_e32 v71, v66, v14
	v_add_co_u32 v14, vcc_lo, v32, s74
	s_wait_alu 0xfffd
	v_add_co_ci_u32_e64 v15, null, s75, v33, vcc_lo
	ds_store_2addr_b32 v45, v68, v69 offset1:67
	ds_store_2addr_b32 v45, v70, v71 offset0:134 offset1:201
	s_wait_dscnt 0x0
	s_barrier_signal -1
	s_barrier_wait -1
	global_inv scope:SCOPE_SE
	ds_load_2addr_b32 v[80:81], v55 offset1:1
	ds_load_2addr_b32 v[82:83], v55 offset0:2 offset1:3
	s_wait_loadcnt_dscnt 0x0
	s_barrier_signal -1
	s_barrier_wait -1
	global_inv scope:SCOPE_SE
	s_clause 0x3
	flat_load_b32 v71, v[8:9]
	flat_load_b32 v69, v[10:11]
	;; [unrolled: 1-line block ×4, first 2 shown]
	ds_load_b32 v74, v36
	ds_load_b128 v[8:11], v44 offset:128
	v_add_co_u32 v12, vcc_lo, v32, s76
	s_wait_alu 0xfffd
	v_add_co_ci_u32_e64 v13, null, s77, v33, vcc_lo
	v_add_co_u32 v14, vcc_lo, v32, s82
	s_wait_alu 0xfffd
	v_add_co_ci_u32_e64 v15, null, s83, v33, vcc_lo
	;; [unrolled: 3-line block ×4, first 2 shown]
	v_add_f32_e32 v80, 0, v80
	v_add_f32_e32 v76, v76, v77
	s_delay_alu instid0(VALU_DEP_2) | instskip(NEXT) | instid1(VALU_DEP_1)
	v_add_f32_e32 v77, v80, v81
	v_add_f32_e32 v77, v77, v82
	s_delay_alu instid0(VALU_DEP_1) | instskip(SKIP_1) | instid1(VALU_DEP_1)
	v_dual_add_f32 v76, v76, v78 :: v_dual_add_f32 v77, v77, v83
	s_wait_loadcnt_dscnt 0x301
	v_dual_add_f32 v76, v76, v79 :: v_dual_mul_f32 v75, v71, v74
	s_wait_loadcnt 0x2
	v_mul_f32_e32 v86, v69, v74
	s_wait_loadcnt 0x1
	v_mul_f32_e32 v87, v68, v74
	;; [unrolled: 2-line block ×3, first 2 shown]
	ds_store_2addr_b32 v45, v75, v86 offset1:67
	ds_store_2addr_b32 v45, v87, v74 offset0:134 offset1:201
	s_wait_dscnt 0x0
	s_barrier_signal -1
	s_barrier_wait -1
	global_inv scope:SCOPE_SE
	ds_load_2addr_b32 v[86:87], v55 offset1:1
	ds_load_2addr_b32 v[88:89], v55 offset0:2 offset1:3
	s_wait_loadcnt_dscnt 0x0
	s_barrier_signal -1
	s_barrier_wait -1
	global_inv scope:SCOPE_SE
	s_clause 0x3
	flat_load_b32 v75, v[12:13]
	flat_load_b32 v74, v[14:15]
	;; [unrolled: 1-line block ×4, first 2 shown]
	ds_load_b32 v84, v36
	ds_load_b128 v[12:15], v44 offset:192
	v_add_f32_e32 v86, 0, v86
	s_delay_alu instid0(VALU_DEP_1) | instskip(NEXT) | instid1(VALU_DEP_1)
	v_add_f32_e32 v80, v86, v87
	v_add_f32_e32 v78, v80, v88
	s_wait_loadcnt_dscnt 0x301
	s_delay_alu instid0(VALU_DEP_1)
	v_dual_add_f32 v78, v78, v89 :: v_dual_mul_f32 v85, v75, v84
	s_wait_loadcnt 0x2
	v_mul_f32_e32 v90, v74, v84
	s_wait_loadcnt 0x1
	v_mul_f32_e32 v91, v73, v84
	;; [unrolled: 2-line block ×3, first 2 shown]
	ds_store_2addr_b32 v45, v85, v90 offset1:67
	ds_store_2addr_b32 v45, v91, v84 offset0:134 offset1:201
	s_wait_dscnt 0x0
	s_barrier_signal -1
	s_barrier_wait -1
	global_inv scope:SCOPE_SE
	ds_load_2addr_b32 v[84:85], v55 offset1:1
	ds_load_2addr_b32 v[90:91], v55 offset0:2 offset1:3
	s_wait_loadcnt_dscnt 0x0
	s_barrier_signal -1
	s_barrier_wait -1
	global_inv scope:SCOPE_SE
	v_add_f32_e32 v84, 0, v84
	s_delay_alu instid0(VALU_DEP_1) | instskip(NEXT) | instid1(VALU_DEP_1)
	v_add_f32_e32 v81, v84, v85
	v_add_f32_e32 v80, v81, v90
	s_delay_alu instid0(VALU_DEP_1)
	v_add_f32_e32 v79, v80, v91
	ds_store_2addr_b32 v46, v76, v77 offset1:16
	ds_store_2addr_b32 v46, v78, v79 offset0:32 offset1:48
	s_wait_loadcnt_dscnt 0x0
	s_barrier_signal -1
	s_barrier_wait -1
	global_inv scope:SCOPE_SE
	s_and_saveexec_b32 s19, s18
	s_cbranch_execz .LBB149_68
; %bb.72:                               ;   in Loop: Header=BB149_69 Depth=2
	ds_load_2addr_b32 v[76:77], v47 offset1:1
	ds_load_2addr_b32 v[78:79], v47 offset0:2 offset1:3
	ds_load_2addr_b32 v[80:81], v47 offset0:4 offset1:5
	s_wait_dscnt 0x2
	v_add_f32_e32 v82, v76, v77
	ds_load_2addr_b32 v[76:77], v47 offset0:6 offset1:7
	s_wait_dscnt 0x2
	v_add_f32_e32 v78, v82, v78
	s_delay_alu instid0(VALU_DEP_1) | instskip(SKIP_3) | instid1(VALU_DEP_1)
	v_add_f32_e32 v82, v78, v79
	ds_load_2addr_b32 v[78:79], v47 offset0:8 offset1:9
	s_wait_dscnt 0x2
	v_add_f32_e32 v80, v82, v80
	v_add_f32_e32 v82, v80, v81
	ds_load_2addr_b32 v[80:81], v47 offset0:10 offset1:11
	s_wait_dscnt 0x2
	v_add_f32_e32 v76, v82, v76
	s_delay_alu instid0(VALU_DEP_1) | instskip(SKIP_3) | instid1(VALU_DEP_1)
	v_add_f32_e32 v82, v76, v77
	ds_load_2addr_b32 v[76:77], v47 offset0:12 offset1:13
	s_wait_dscnt 0x2
	v_add_f32_e32 v78, v82, v78
	v_add_f32_e32 v78, v78, v79
	ds_load_b32 v79, v47 offset:56
	s_wait_dscnt 0x2
	v_add_f32_e32 v78, v78, v80
	ds_load_b32 v80, v48
	v_add_f32_e32 v78, v78, v81
	s_wait_dscnt 0x2
	s_delay_alu instid0(VALU_DEP_1) | instskip(NEXT) | instid1(VALU_DEP_1)
	v_add_f32_e32 v76, v78, v76
	v_add_f32_e32 v78, v76, v77
	v_lshlrev_b64_e32 v[76:77], 2, v[16:17]
	s_wait_dscnt 0x1
	s_delay_alu instid0(VALU_DEP_2) | instskip(NEXT) | instid1(VALU_DEP_2)
	v_add_f32_e32 v78, v78, v79
	v_add_co_u32 v76, vcc_lo, s100, v76
	s_wait_alu 0xfffd
	s_delay_alu instid0(VALU_DEP_3)
	v_add_co_ci_u32_e64 v77, null, s101, v77, vcc_lo
	s_wait_dscnt 0x0
	v_add_f32_e32 v78, v78, v80
	global_store_b32 v[76:77], v78, off
	s_branch .LBB149_68
.LBB149_73:                             ;   in Loop: Header=BB149_4 Depth=1
	ds_store_b32 v49, v57
	s_wait_loadcnt_dscnt 0x0
	s_barrier_signal -1
	s_barrier_wait -1
	global_inv scope:SCOPE_SE
	s_and_saveexec_b32 s13, s12
	s_cbranch_execz .LBB149_2
; %bb.74:                               ;   in Loop: Header=BB149_4 Depth=1
	ds_load_2addr_b32 v[0:1], v35 offset1:67
	ds_load_2addr_b32 v[2:3], v35 offset0:134 offset1:201
	s_wait_dscnt 0x1
	v_add_f32_e32 v0, v0, v1
	s_wait_dscnt 0x0
	s_delay_alu instid0(VALU_DEP_1) | instskip(NEXT) | instid1(VALU_DEP_1)
	v_add_f32_e32 v0, v0, v2
	v_add_f32_e32 v2, v0, v3
	s_wait_alu 0xfffe
	v_add_co_u32 v0, vcc_lo, s100, v30
	s_wait_alu 0xfffd
	v_add_co_ci_u32_e64 v1, null, s101, v31, vcc_lo
	global_store_b32 v[0:1], v2, off
	s_branch .LBB149_2
.LBB149_75:                             ;   in Loop: Header=BB149_4 Depth=1
	ds_load_b32 v2, v52
	s_wait_dscnt 0x0
	ds_store_b32 v39, v2
	s_wait_alu 0xfffe
	s_or_b32 exec_lo, exec_lo, s13
	s_and_saveexec_b32 s13, s7
	s_cbranch_execz .LBB149_26
.LBB149_76:                             ;   in Loop: Header=BB149_4 Depth=1
	ds_load_b32 v2, v53
	s_wait_dscnt 0x0
	ds_store_b32 v39, v2 offset:4
	s_wait_alu 0xfffe
	s_or_b32 exec_lo, exec_lo, s13
	s_and_saveexec_b32 s13, s8
	s_cbranch_execz .LBB149_27
.LBB149_77:                             ;   in Loop: Header=BB149_4 Depth=1
	ds_load_b32 v2, v53 offset:132
	s_wait_dscnt 0x0
	ds_store_b32 v39, v2 offset:8
	s_wait_alu 0xfffe
	s_or_b32 exec_lo, exec_lo, s13
	s_and_saveexec_b32 s13, s9
	s_cbranch_execnz .LBB149_28
	s_branch .LBB149_29
.LBB149_78:                             ;   in Loop: Header=BB149_4 Depth=1
	ds_load_b32 v0, v52
	s_wait_dscnt 0x0
	ds_store_b32 v39, v0
	s_wait_alu 0xfffe
	s_or_b32 exec_lo, exec_lo, s13
	s_and_saveexec_b32 s13, s7
	s_cbranch_execz .LBB149_45
.LBB149_79:                             ;   in Loop: Header=BB149_4 Depth=1
	ds_load_b32 v0, v53
	s_wait_dscnt 0x0
	ds_store_b32 v39, v0 offset:4
	s_wait_alu 0xfffe
	s_or_b32 exec_lo, exec_lo, s13
	s_and_saveexec_b32 s13, s8
	s_cbranch_execz .LBB149_46
.LBB149_80:                             ;   in Loop: Header=BB149_4 Depth=1
	ds_load_b32 v0, v53 offset:132
	s_wait_dscnt 0x0
	ds_store_b32 v39, v0 offset:8
	s_wait_alu 0xfffe
	s_or_b32 exec_lo, exec_lo, s13
	s_and_saveexec_b32 s13, s9
	s_cbranch_execnz .LBB149_47
	s_branch .LBB149_48
.LBB149_81:
	s_endpgm
	.section	.rodata,"a",@progbits
	.p2align	6, 0x0
	.amdhsa_kernel _ZL26rocblas_hemvn_kernel_lowerILb0ELi64ELi4ELi33ELi32ELi16EiPKfPKS1_PfEviT6_lT7_lT5_lS6_lS7_lS5_lT8_i
		.amdhsa_group_segment_fixed_size 4800
		.amdhsa_private_segment_fixed_size 0
		.amdhsa_kernarg_size 376
		.amdhsa_user_sgpr_count 2
		.amdhsa_user_sgpr_dispatch_ptr 0
		.amdhsa_user_sgpr_queue_ptr 0
		.amdhsa_user_sgpr_kernarg_segment_ptr 1
		.amdhsa_user_sgpr_dispatch_id 0
		.amdhsa_user_sgpr_private_segment_size 0
		.amdhsa_wavefront_size32 1
		.amdhsa_uses_dynamic_stack 0
		.amdhsa_enable_private_segment 0
		.amdhsa_system_sgpr_workgroup_id_x 1
		.amdhsa_system_sgpr_workgroup_id_y 0
		.amdhsa_system_sgpr_workgroup_id_z 1
		.amdhsa_system_sgpr_workgroup_info 0
		.amdhsa_system_vgpr_workitem_id 1
		.amdhsa_next_free_vgpr 93
		.amdhsa_next_free_sgpr 105
		.amdhsa_reserve_vcc 1
		.amdhsa_float_round_mode_32 0
		.amdhsa_float_round_mode_16_64 0
		.amdhsa_float_denorm_mode_32 3
		.amdhsa_float_denorm_mode_16_64 3
		.amdhsa_fp16_overflow 0
		.amdhsa_workgroup_processor_mode 1
		.amdhsa_memory_ordered 1
		.amdhsa_forward_progress 1
		.amdhsa_inst_pref_size 57
		.amdhsa_round_robin_scheduling 0
		.amdhsa_exception_fp_ieee_invalid_op 0
		.amdhsa_exception_fp_denorm_src 0
		.amdhsa_exception_fp_ieee_div_zero 0
		.amdhsa_exception_fp_ieee_overflow 0
		.amdhsa_exception_fp_ieee_underflow 0
		.amdhsa_exception_fp_ieee_inexact 0
		.amdhsa_exception_int_div_zero 0
	.end_amdhsa_kernel
	.section	.text._ZL26rocblas_hemvn_kernel_lowerILb0ELi64ELi4ELi33ELi32ELi16EiPKfPKS1_PfEviT6_lT7_lT5_lS6_lS7_lS5_lT8_i,"axG",@progbits,_ZL26rocblas_hemvn_kernel_lowerILb0ELi64ELi4ELi33ELi32ELi16EiPKfPKS1_PfEviT6_lT7_lT5_lS6_lS7_lS5_lT8_i,comdat
.Lfunc_end149:
	.size	_ZL26rocblas_hemvn_kernel_lowerILb0ELi64ELi4ELi33ELi32ELi16EiPKfPKS1_PfEviT6_lT7_lT5_lS6_lS7_lS5_lT8_i, .Lfunc_end149-_ZL26rocblas_hemvn_kernel_lowerILb0ELi64ELi4ELi33ELi32ELi16EiPKfPKS1_PfEviT6_lT7_lT5_lS6_lS7_lS5_lT8_i
                                        ; -- End function
	.set _ZL26rocblas_hemvn_kernel_lowerILb0ELi64ELi4ELi33ELi32ELi16EiPKfPKS1_PfEviT6_lT7_lT5_lS6_lS7_lS5_lT8_i.num_vgpr, 93
	.set _ZL26rocblas_hemvn_kernel_lowerILb0ELi64ELi4ELi33ELi32ELi16EiPKfPKS1_PfEviT6_lT7_lT5_lS6_lS7_lS5_lT8_i.num_agpr, 0
	.set _ZL26rocblas_hemvn_kernel_lowerILb0ELi64ELi4ELi33ELi32ELi16EiPKfPKS1_PfEviT6_lT7_lT5_lS6_lS7_lS5_lT8_i.numbered_sgpr, 105
	.set _ZL26rocblas_hemvn_kernel_lowerILb0ELi64ELi4ELi33ELi32ELi16EiPKfPKS1_PfEviT6_lT7_lT5_lS6_lS7_lS5_lT8_i.num_named_barrier, 0
	.set _ZL26rocblas_hemvn_kernel_lowerILb0ELi64ELi4ELi33ELi32ELi16EiPKfPKS1_PfEviT6_lT7_lT5_lS6_lS7_lS5_lT8_i.private_seg_size, 0
	.set _ZL26rocblas_hemvn_kernel_lowerILb0ELi64ELi4ELi33ELi32ELi16EiPKfPKS1_PfEviT6_lT7_lT5_lS6_lS7_lS5_lT8_i.uses_vcc, 1
	.set _ZL26rocblas_hemvn_kernel_lowerILb0ELi64ELi4ELi33ELi32ELi16EiPKfPKS1_PfEviT6_lT7_lT5_lS6_lS7_lS5_lT8_i.uses_flat_scratch, 1
	.set _ZL26rocblas_hemvn_kernel_lowerILb0ELi64ELi4ELi33ELi32ELi16EiPKfPKS1_PfEviT6_lT7_lT5_lS6_lS7_lS5_lT8_i.has_dyn_sized_stack, 0
	.set _ZL26rocblas_hemvn_kernel_lowerILb0ELi64ELi4ELi33ELi32ELi16EiPKfPKS1_PfEviT6_lT7_lT5_lS6_lS7_lS5_lT8_i.has_recursion, 0
	.set _ZL26rocblas_hemvn_kernel_lowerILb0ELi64ELi4ELi33ELi32ELi16EiPKfPKS1_PfEviT6_lT7_lT5_lS6_lS7_lS5_lT8_i.has_indirect_call, 0
	.section	.AMDGPU.csdata,"",@progbits
; Kernel info:
; codeLenInByte = 7236
; TotalNumSgprs: 107
; NumVgprs: 93
; ScratchSize: 0
; MemoryBound: 0
; FloatMode: 240
; IeeeMode: 1
; LDSByteSize: 4800 bytes/workgroup (compile time only)
; SGPRBlocks: 0
; VGPRBlocks: 11
; NumSGPRsForWavesPerEU: 107
; NumVGPRsForWavesPerEU: 93
; Occupancy: 16
; WaveLimiterHint : 1
; COMPUTE_PGM_RSRC2:SCRATCH_EN: 0
; COMPUTE_PGM_RSRC2:USER_SGPR: 2
; COMPUTE_PGM_RSRC2:TRAP_HANDLER: 0
; COMPUTE_PGM_RSRC2:TGID_X_EN: 1
; COMPUTE_PGM_RSRC2:TGID_Y_EN: 0
; COMPUTE_PGM_RSRC2:TGID_Z_EN: 1
; COMPUTE_PGM_RSRC2:TIDIG_COMP_CNT: 1
	.section	.text._ZL36rocblas_hemvn_kernel_lower_block_sumILi64EiPKfPKPffEviT1_lS5_lT2_lT0_lPT3_i,"axG",@progbits,_ZL36rocblas_hemvn_kernel_lower_block_sumILi64EiPKfPKPffEviT1_lS5_lT2_lT0_lPT3_i,comdat
	.globl	_ZL36rocblas_hemvn_kernel_lower_block_sumILi64EiPKfPKPffEviT1_lS5_lT2_lT0_lPT3_i ; -- Begin function _ZL36rocblas_hemvn_kernel_lower_block_sumILi64EiPKfPKPffEviT1_lS5_lT2_lT0_lPT3_i
	.p2align	8
	.type	_ZL36rocblas_hemvn_kernel_lower_block_sumILi64EiPKfPKPffEviT1_lS5_lT2_lT0_lPT3_i,@function
_ZL36rocblas_hemvn_kernel_lower_block_sumILi64EiPKfPKPffEviT1_lS5_lT2_lT0_lPT3_i: ; @_ZL36rocblas_hemvn_kernel_lower_block_sumILi64EiPKfPKPffEviT1_lS5_lT2_lT0_lPT3_i
; %bb.0:
	s_load_b32 s24, s[0:1], 0x50
	s_lshr_b32 s2, ttmp7, 16
	s_wait_kmcnt 0x0
	s_cmp_ge_u32 s2, s24
	s_cbranch_scc1 .LBB150_25
; %bb.1:
	s_clause 0x1
	s_load_b32 s18, s[0:1], 0x0
	s_load_b32 s3, s[0:1], 0x38
	v_lshl_or_b32 v0, ttmp9, 6, v0
	s_clause 0x2
	s_load_b64 s[20:21], s[0:1], 0x48
	s_load_b128 s[12:15], s[0:1], 0x28
	s_load_b256 s[4:11], s[0:1], 0x8
	s_add_nc_u64 s[16:17], s[0:1], 0x58
	s_wait_kmcnt 0x0
	v_mad_co_u64_u32 v[1:2], null, s18, ttmp9, v[0:1]
	v_mul_lo_u32 v3, s3, v0
	v_cmp_gt_i32_e64 s0, s18, v0
	s_ashr_i32 s19, s18, 31
	s_mov_b32 s3, 0
	s_wait_alu 0xfffe
	s_lshl_b64 s[18:19], s[18:19], 2
	s_lshl_b64 s[14:15], s[14:15], 2
	v_ashrrev_i32_e32 v2, 31, v1
	v_ashrrev_i32_e32 v4, 31, v3
	s_delay_alu instid0(VALU_DEP_2) | instskip(NEXT) | instid1(VALU_DEP_2)
	v_lshlrev_b64_e32 v[5:6], 2, v[1:2]
	v_lshlrev_b64_e32 v[0:1], 2, v[3:4]
	s_delay_alu instid0(VALU_DEP_2) | instskip(NEXT) | instid1(VALU_DEP_1)
	v_add_co_u32 v2, vcc_lo, s20, v5
	v_add_co_ci_u32_e64 v3, null, s21, v6, vcc_lo
	v_mov_b32_e32 v6, 0
	s_branch .LBB150_4
.LBB150_2:                              ;   in Loop: Header=BB150_4 Depth=1
	s_wait_alu 0xfffe
	s_or_b32 exec_lo, exec_lo, s1
.LBB150_3:                              ;   in Loop: Header=BB150_4 Depth=1
	s_add_co_i32 s2, s2, 0x10000
	s_wait_alu 0xfffe
	s_cmp_lt_u32 s2, s24
	s_cbranch_scc0 .LBB150_25
.LBB150_4:                              ; =>This Loop Header: Depth=1
                                        ;     Child Loop BB150_16 Depth 2
	s_mul_u64 s[20:21], s[6:7], s[2:3]
	s_mul_u64 s[22:23], s[10:11], s[2:3]
	s_wait_alu 0xfffe
	s_lshl_b64 s[20:21], s[20:21], 2
	s_lshl_b64 s[22:23], s[22:23], 2
	s_wait_alu 0xfffe
	s_add_nc_u64 s[20:21], s[4:5], s[20:21]
	s_add_nc_u64 s[22:23], s[8:9], s[22:23]
	s_clause 0x1
	global_load_b32 v7, v6, s[20:21]
	global_load_b32 v4, v6, s[22:23]
	s_wait_loadcnt 0x1
	v_cmp_eq_f32_e32 vcc_lo, 0, v7
	s_wait_loadcnt 0x0
	v_cmp_eq_f32_e64 s1, 1.0, v4
	s_and_b32 s20, vcc_lo, s1
	v_readfirstlane_b32 s1, v4
	s_wait_alu 0xfffe
	s_and_b32 vcc_lo, exec_lo, s20
	s_wait_alu 0xfffe
	s_cbranch_vccnz .LBB150_3
; %bb.5:                                ;   in Loop: Header=BB150_4 Depth=1
	s_lshl_b64 s[20:21], s[2:3], 3
	v_cmp_neq_f32_e32 vcc_lo, 0, v7
	s_wait_alu 0xfffe
	s_add_nc_u64 s[20:21], s[12:13], s[20:21]
	s_load_b64 s[20:21], s[20:21], 0x0
	s_wait_kmcnt 0x0
	s_add_nc_u64 s[20:21], s[20:21], s[14:15]
	s_cbranch_vccnz .LBB150_9
; %bb.6:                                ;   in Loop: Header=BB150_4 Depth=1
	s_mov_b32 s22, 0
	s_mov_b32 s25, 0
                                        ; implicit-def: $vgpr4
	s_and_saveexec_b32 s23, s0
	s_cbranch_execz .LBB150_10
; %bb.7:                                ;   in Loop: Header=BB150_4 Depth=1
	s_cmp_eq_f32 s1, 0
	s_cbranch_scc1 .LBB150_11
; %bb.8:                                ;   in Loop: Header=BB150_4 Depth=1
	s_wait_alu 0xfffe
	v_add_co_u32 v4, vcc_lo, s20, v0
	s_wait_alu 0xfffd
	v_add_co_ci_u32_e64 v5, null, s21, v1, vcc_lo
	flat_load_b32 v4, v[4:5]
	s_wait_loadcnt_dscnt 0x0
	v_mul_f32_e32 v4, s1, v4
	s_branch .LBB150_12
.LBB150_9:                              ;   in Loop: Header=BB150_4 Depth=1
	s_mov_b32 s25, 0
                                        ; implicit-def: $vgpr4
	s_cbranch_execnz .LBB150_13
	s_branch .LBB150_22
.LBB150_10:                             ;   in Loop: Header=BB150_4 Depth=1
	s_or_b32 exec_lo, exec_lo, s23
	s_delay_alu instid0(SALU_CYCLE_1)
	s_and_b32 vcc_lo, exec_lo, s22
	s_wait_alu 0xfffe
	s_cbranch_vccnz .LBB150_13
	s_branch .LBB150_22
.LBB150_11:                             ;   in Loop: Header=BB150_4 Depth=1
	v_mov_b32_e32 v4, 0
.LBB150_12:                             ;   in Loop: Header=BB150_4 Depth=1
	s_mov_b32 s25, exec_lo
	s_or_b32 exec_lo, exec_lo, s23
	s_delay_alu instid0(SALU_CYCLE_1)
	s_and_b32 vcc_lo, exec_lo, s22
	s_wait_alu 0xfffe
	s_cbranch_vccz .LBB150_22
.LBB150_13:                             ;   in Loop: Header=BB150_4 Depth=1
                                        ; implicit-def: $vgpr4
	s_and_saveexec_b32 s26, s0
	s_cbranch_execz .LBB150_21
; %bb.14:                               ;   in Loop: Header=BB150_4 Depth=1
	s_load_b32 s22, s[16:17], 0x0
	v_mov_b32_e32 v8, 0
	s_wait_kmcnt 0x0
	s_cmp_ge_i32 ttmp9, s22
	s_cbranch_scc1 .LBB150_17
; %bb.15:                               ;   in Loop: Header=BB150_4 Depth=1
	s_mov_b32 s23, s3
	s_mov_b32 s27, ttmp9
	s_mul_u64 s[28:29], s[18:19], s[22:23]
	s_wait_alu 0xfffe
	v_mad_co_u64_u32 v[4:5], null, s28, s2, v[2:3]
	s_delay_alu instid0(VALU_DEP_1) | instskip(NEXT) | instid1(VALU_DEP_1)
	v_mad_co_u64_u32 v[8:9], null, s29, s2, v[5:6]
	v_dual_mov_b32 v5, v8 :: v_dual_mov_b32 v8, 0
.LBB150_16:                             ;   Parent Loop BB150_4 Depth=1
                                        ; =>  This Inner Loop Header: Depth=2
	global_load_b32 v9, v[4:5], off
	v_add_co_u32 v4, vcc_lo, v4, s18
	s_wait_alu 0xfffd
	v_add_co_ci_u32_e64 v5, null, s19, v5, vcc_lo
	s_add_co_i32 s27, s27, 1
	s_delay_alu instid0(SALU_CYCLE_1)
	s_cmp_ge_i32 s27, s22
	s_wait_loadcnt 0x0
	v_add_f32_e32 v8, v8, v9
	s_cbranch_scc0 .LBB150_16
.LBB150_17:                             ;   in Loop: Header=BB150_4 Depth=1
	s_cmp_eq_f32 s1, 0
	s_cbranch_scc0 .LBB150_24
; %bb.18:                               ;   in Loop: Header=BB150_4 Depth=1
	s_delay_alu instid0(VALU_DEP_1)
	v_mul_f32_e32 v4, v7, v8
	s_cbranch_execnz .LBB150_20
.LBB150_19:                             ;   in Loop: Header=BB150_4 Depth=1
	v_add_co_u32 v4, vcc_lo, s20, v0
	s_wait_alu 0xfffd
	v_add_co_ci_u32_e64 v5, null, s21, v1, vcc_lo
	flat_load_b32 v4, v[4:5]
	s_wait_loadcnt_dscnt 0x0
	v_mul_f32_e32 v4, s1, v4
	s_delay_alu instid0(VALU_DEP_1)
	v_fmac_f32_e32 v4, v7, v8
.LBB150_20:                             ;   in Loop: Header=BB150_4 Depth=1
	s_or_b32 s25, s25, exec_lo
.LBB150_21:                             ;   in Loop: Header=BB150_4 Depth=1
	s_or_b32 exec_lo, exec_lo, s26
.LBB150_22:                             ;   in Loop: Header=BB150_4 Depth=1
	s_and_saveexec_b32 s1, s25
	s_cbranch_execz .LBB150_2
; %bb.23:                               ;   in Loop: Header=BB150_4 Depth=1
	s_wait_alu 0xfffe
	v_add_co_u32 v7, vcc_lo, s20, v0
	s_wait_alu 0xfffd
	v_add_co_ci_u32_e64 v8, null, s21, v1, vcc_lo
	flat_store_b32 v[7:8], v4
	s_branch .LBB150_2
.LBB150_24:                             ;   in Loop: Header=BB150_4 Depth=1
                                        ; implicit-def: $vgpr4
	s_branch .LBB150_19
.LBB150_25:
	s_endpgm
	.section	.rodata,"a",@progbits
	.p2align	6, 0x0
	.amdhsa_kernel _ZL36rocblas_hemvn_kernel_lower_block_sumILi64EiPKfPKPffEviT1_lS5_lT2_lT0_lPT3_i
		.amdhsa_group_segment_fixed_size 0
		.amdhsa_private_segment_fixed_size 0
		.amdhsa_kernarg_size 344
		.amdhsa_user_sgpr_count 2
		.amdhsa_user_sgpr_dispatch_ptr 0
		.amdhsa_user_sgpr_queue_ptr 0
		.amdhsa_user_sgpr_kernarg_segment_ptr 1
		.amdhsa_user_sgpr_dispatch_id 0
		.amdhsa_user_sgpr_private_segment_size 0
		.amdhsa_wavefront_size32 1
		.amdhsa_uses_dynamic_stack 0
		.amdhsa_enable_private_segment 0
		.amdhsa_system_sgpr_workgroup_id_x 1
		.amdhsa_system_sgpr_workgroup_id_y 0
		.amdhsa_system_sgpr_workgroup_id_z 1
		.amdhsa_system_sgpr_workgroup_info 0
		.amdhsa_system_vgpr_workitem_id 0
		.amdhsa_next_free_vgpr 10
		.amdhsa_next_free_sgpr 30
		.amdhsa_reserve_vcc 1
		.amdhsa_float_round_mode_32 0
		.amdhsa_float_round_mode_16_64 0
		.amdhsa_float_denorm_mode_32 3
		.amdhsa_float_denorm_mode_16_64 3
		.amdhsa_fp16_overflow 0
		.amdhsa_workgroup_processor_mode 1
		.amdhsa_memory_ordered 1
		.amdhsa_forward_progress 1
		.amdhsa_inst_pref_size 6
		.amdhsa_round_robin_scheduling 0
		.amdhsa_exception_fp_ieee_invalid_op 0
		.amdhsa_exception_fp_denorm_src 0
		.amdhsa_exception_fp_ieee_div_zero 0
		.amdhsa_exception_fp_ieee_overflow 0
		.amdhsa_exception_fp_ieee_underflow 0
		.amdhsa_exception_fp_ieee_inexact 0
		.amdhsa_exception_int_div_zero 0
	.end_amdhsa_kernel
	.section	.text._ZL36rocblas_hemvn_kernel_lower_block_sumILi64EiPKfPKPffEviT1_lS5_lT2_lT0_lPT3_i,"axG",@progbits,_ZL36rocblas_hemvn_kernel_lower_block_sumILi64EiPKfPKPffEviT1_lS5_lT2_lT0_lPT3_i,comdat
.Lfunc_end150:
	.size	_ZL36rocblas_hemvn_kernel_lower_block_sumILi64EiPKfPKPffEviT1_lS5_lT2_lT0_lPT3_i, .Lfunc_end150-_ZL36rocblas_hemvn_kernel_lower_block_sumILi64EiPKfPKPffEviT1_lS5_lT2_lT0_lPT3_i
                                        ; -- End function
	.set _ZL36rocblas_hemvn_kernel_lower_block_sumILi64EiPKfPKPffEviT1_lS5_lT2_lT0_lPT3_i.num_vgpr, 10
	.set _ZL36rocblas_hemvn_kernel_lower_block_sumILi64EiPKfPKPffEviT1_lS5_lT2_lT0_lPT3_i.num_agpr, 0
	.set _ZL36rocblas_hemvn_kernel_lower_block_sumILi64EiPKfPKPffEviT1_lS5_lT2_lT0_lPT3_i.numbered_sgpr, 30
	.set _ZL36rocblas_hemvn_kernel_lower_block_sumILi64EiPKfPKPffEviT1_lS5_lT2_lT0_lPT3_i.num_named_barrier, 0
	.set _ZL36rocblas_hemvn_kernel_lower_block_sumILi64EiPKfPKPffEviT1_lS5_lT2_lT0_lPT3_i.private_seg_size, 0
	.set _ZL36rocblas_hemvn_kernel_lower_block_sumILi64EiPKfPKPffEviT1_lS5_lT2_lT0_lPT3_i.uses_vcc, 1
	.set _ZL36rocblas_hemvn_kernel_lower_block_sumILi64EiPKfPKPffEviT1_lS5_lT2_lT0_lPT3_i.uses_flat_scratch, 0
	.set _ZL36rocblas_hemvn_kernel_lower_block_sumILi64EiPKfPKPffEviT1_lS5_lT2_lT0_lPT3_i.has_dyn_sized_stack, 0
	.set _ZL36rocblas_hemvn_kernel_lower_block_sumILi64EiPKfPKPffEviT1_lS5_lT2_lT0_lPT3_i.has_recursion, 0
	.set _ZL36rocblas_hemvn_kernel_lower_block_sumILi64EiPKfPKPffEviT1_lS5_lT2_lT0_lPT3_i.has_indirect_call, 0
	.section	.AMDGPU.csdata,"",@progbits
; Kernel info:
; codeLenInByte = 752
; TotalNumSgprs: 32
; NumVgprs: 10
; ScratchSize: 0
; MemoryBound: 0
; FloatMode: 240
; IeeeMode: 1
; LDSByteSize: 0 bytes/workgroup (compile time only)
; SGPRBlocks: 0
; VGPRBlocks: 1
; NumSGPRsForWavesPerEU: 32
; NumVGPRsForWavesPerEU: 10
; Occupancy: 16
; WaveLimiterHint : 1
; COMPUTE_PGM_RSRC2:SCRATCH_EN: 0
; COMPUTE_PGM_RSRC2:USER_SGPR: 2
; COMPUTE_PGM_RSRC2:TRAP_HANDLER: 0
; COMPUTE_PGM_RSRC2:TGID_X_EN: 1
; COMPUTE_PGM_RSRC2:TGID_Y_EN: 0
; COMPUTE_PGM_RSRC2:TGID_Z_EN: 1
; COMPUTE_PGM_RSRC2:TIDIG_COMP_CNT: 0
	.section	.text._ZL26rocblas_hemvn_kernel_lowerILb0ELi64ELi4ELi33ELi32ELi16ElfPKPKfPfEviT6_lT7_lT5_lS6_lS7_lS5_lT8_i,"axG",@progbits,_ZL26rocblas_hemvn_kernel_lowerILb0ELi64ELi4ELi33ELi32ELi16ElfPKPKfPfEviT6_lT7_lT5_lS6_lS7_lS5_lT8_i,comdat
	.globl	_ZL26rocblas_hemvn_kernel_lowerILb0ELi64ELi4ELi33ELi32ELi16ElfPKPKfPfEviT6_lT7_lT5_lS6_lS7_lS5_lT8_i ; -- Begin function _ZL26rocblas_hemvn_kernel_lowerILb0ELi64ELi4ELi33ELi32ELi16ElfPKPKfPfEviT6_lT7_lT5_lS6_lS7_lS5_lT8_i
	.p2align	8
	.type	_ZL26rocblas_hemvn_kernel_lowerILb0ELi64ELi4ELi33ELi32ELi16ElfPKPKfPfEviT6_lT7_lT5_lS6_lS7_lS5_lT8_i,@function
_ZL26rocblas_hemvn_kernel_lowerILb0ELi64ELi4ELi33ELi32ELi16ElfPKPKfPfEviT6_lT7_lT5_lS6_lS7_lS5_lT8_i: ; @_ZL26rocblas_hemvn_kernel_lowerILb0ELi64ELi4ELi33ELi32ELi16ElfPKPKfPfEviT6_lT7_lT5_lS6_lS7_lS5_lT8_i
; %bb.0:
	s_clause 0x1
	s_load_b64 s[2:3], s[0:1], 0x7c
	s_load_b32 s33, s[0:1], 0x68
	s_lshr_b32 s28, ttmp7, 16
	s_wait_kmcnt 0x0
	s_lshr_b32 s4, s2, 16
	s_and_b32 s2, s2, 0xffff
	s_and_b32 s3, s3, 0xffff
	s_mul_i32 s2, s4, s2
	s_delay_alu instid0(SALU_CYCLE_1) | instskip(NEXT) | instid1(SALU_CYCLE_1)
	s_mul_i32 s2, s2, s3
	s_cmp_lg_u32 s2, 0x100
	s_cselect_b32 s2, -1, 0
	s_cmp_ge_u32 s28, s33
	s_cselect_b32 s3, -1, 0
	s_delay_alu instid0(SALU_CYCLE_1) | instskip(NEXT) | instid1(SALU_CYCLE_1)
	s_or_b32 s2, s2, s3
	s_and_b32 vcc_lo, exec_lo, s2
	s_cbranch_vccnz .LBB151_81
; %bb.1:
	s_clause 0x3
	s_load_b64 s[2:3], s[0:1], 0x0
	s_load_b64 s[80:81], s[0:1], 0x20
	s_load_b32 s6, s[0:1], 0x50
	s_load_b64 s[30:31], s[0:1], 0x40
	s_add_nc_u64 s[4:5], s[0:1], 0x70
	s_clause 0x1
	s_load_b128 s[20:23], s[0:1], 0x10
	s_load_b128 s[24:27], s[0:1], 0x30
	s_load_b32 s34, s[4:5], 0x0
	s_load_b64 s[4:5], s[0:1], 0x60
	v_dual_mov_b32 v17, 0 :: v_dual_and_b32 v32, 0x3ff, v0
	v_bfe_u32 v14, v0, 10, 10
	v_and_b32_e32 v16, 31, v0
	s_mov_b32 s35, 0
	s_delay_alu instid0(VALU_DEP_3) | instskip(NEXT) | instid1(VALU_DEP_3)
	v_lshlrev_b32_e32 v55, 2, v32
	v_lshl_add_u32 v15, v14, 6, v32
	s_delay_alu instid0(VALU_DEP_3)
	v_lshlrev_b32_e32 v24, 2, v16
	v_cmp_eq_u32_e64 s0, 0, v14
	v_lshl_add_u32 v42, v14, 4, 0x10c0
	v_lshlrev_b32_e32 v54, 2, v16
	s_wait_kmcnt 0x0
	s_cmp_eq_f32 s3, 0
	v_lshrrev_b32_e32 v12, 5, v15
	v_lshl_or_b32 v36, v16, 7, v24
	v_and_b32_e32 v29, 0x7ff0, v15
	s_cselect_b32 s92, -1, 0
	s_cmp_neq_f32 s3, 0
	v_lshlrev_b32_e32 v18, 2, v12
	v_lshlrev_b32_e32 v19, 4, v12
	v_mad_co_u64_u32 v[1:2], null, s80, v12, v[16:17]
	s_cselect_b32 s1, -1, 0
	s_cmp_neq_f32 s6, 1.0
	s_mul_i32 s6, s2, ttmp9
	v_or_b32_e32 v20, 1, v18
	v_add_nc_u32_e32 v11, 16, v12
	s_cselect_b32 s7, -1, 0
	s_lshl_b32 s82, ttmp9, 6
	s_ashr_i32 s3, s2, 31
	v_add_nc_u32_e32 v3, s82, v32
	s_lshr_b32 s8, s3, 26
	s_add_co_i32 s9, s34, -1
	s_add_co_i32 s8, s2, s8
	s_or_b32 s93, s1, s7
	v_ashrrev_i32_e32 v4, 31, v3
	s_and_not1_b32 s8, s8, 63
	v_mul_lo_u32 v9, s31, v3
	s_sub_co_i32 s1, s2, s8
	s_cmp_eq_u32 ttmp9, s9
	v_mad_co_u64_u32 v[5:6], null, s30, v3, 0
	v_mul_lo_u32 v10, s30, v4
	s_cselect_b32 s36, s1, 0
	v_add_nc_u32_e32 v37, v36, v19
	v_cmp_gt_i32_e32 vcc_lo, s36, v32
	s_cmp_eq_u32 s36, 0
	v_add_nc_u32_e32 v38, 0x11c0, v19
	s_cselect_b32 s1, -1, 0
	s_ashr_i32 s7, s6, 31
	s_or_b32 s94, s1, vcc_lo
	v_add3_u32 v6, v6, v10, v9
	s_lshl_b64 s[6:7], s[6:7], 2
	s_ashr_i32 s83, s82, 31
	v_add_nc_u32_e32 v10, 8, v12
	v_lshlrev_b32_e32 v19, 2, v14
	s_cmp_lg_u32 s36, 0
	s_add_nc_u64 s[40:41], s[4:5], s[6:7]
	s_cselect_b32 s17, -1, 0
	v_cmp_lt_u32_e64 s7, v20, v16
	v_mul_u32_u24_e32 v26, 0x84, v20
	v_mul_u32_u24_e32 v20, 33, v16
	s_sub_co_i32 s15, s36, 32
	s_mul_u64 s[38:39], s[34:35], s[2:3]
	v_cmp_gt_i32_e64 s3, s36, v10
	v_cmp_gt_i32_e64 s4, s36, v11
	v_cmp_gt_i32_e64 s13, s15, v10
	v_cmp_gt_i32_e64 s14, s15, v11
	v_mad_co_u64_u32 v[10:11], null, s80, v19, 0
	v_mad_co_u64_u32 v[7:8], null, s81, v12, v[2:3]
	v_lshl_add_u32 v39, v20, 2, v18
	v_cmp_le_i32_e32 vcc_lo, s36, v32
	v_sub_co_u32 v8, s2, 0, v16
	v_add_nc_u32_e32 v13, 24, v12
	v_mul_u32_u24_e32 v22, 0x84, v12
	v_sub_co_ci_u32_e64 v9, null, 0, 0, s2
	v_cmp_gt_i32_e64 s2, s36, v12
	v_mul_u32_u24_e32 v25, 0x210, v12
	v_cmp_gt_i32_e64 s12, s15, v12
	v_cmp_eq_u32_e64 s16, 1, v12
	v_mul_i32_i24_e32 v27, -12, v12
	v_mad_u32_u24 v40, v12, 12, v39
	v_mad_co_u64_u32 v[11:12], null, s81, v19, v[11:12]
	s_and_b32 s17, s17, vcc_lo
	v_sub_co_u32 v12, vcc_lo, 0, v1
	v_dual_mov_b32 v2, v7 :: v_dual_lshlrev_b32 v33, 2, v32
	v_cmp_gt_i32_e64 s5, s36, v13
	v_or_b32_e32 v21, 2, v18
	v_cmp_gt_i32_e64 s15, s15, v13
	v_and_b32_e32 v19, 15, v0
	v_sub_co_ci_u32_e64 v13, null, 0, v7, vcc_lo
	v_lshrrev_b32_e32 v7, 2, v15
	v_and_b32_e32 v0, 48, v0
	v_or_b32_e32 v23, 3, v18
	v_cmp_lt_u32_e64 s8, v21, v16
	v_or_b32_e32 v21, 32, v16
	v_and_b32_e32 v7, 0x1ffc, v7
	v_mul_u32_u24_e32 v28, 0x10c, v19
	v_lshlrev_b32_e32 v0, 2, v0
	v_or_b32_e32 v20, 60, v33
	v_mad_u32_u24 v43, 0x430, v14, v33
	s_wait_alu 0xfffe
	s_mul_u64 s[18:19], s[30:31], s[82:83]
	s_mul_u64 s[42:43], s[80:81], s[82:83]
	s_lshl_b64 s[44:45], s[80:81], 5
	v_cmp_lt_u32_e64 s6, v18, v16
	v_cmp_lt_u32_e64 s9, v23, v16
	v_cmp_gt_i32_e64 s11, s36, v21
	v_mad_u32_u24 v44, 0x10c, v19, v7
	v_mad_u32_u24 v45, 0x10c, v19, v0
	;; [unrolled: 1-line block ×3, first 2 shown]
	v_add_nc_u32_e32 v48, 0x11c0, v18
	v_lshlrev_b64_e32 v[18:19], 2, v[5:6]
	v_lshlrev_b64_e32 v[20:21], 2, v[1:2]
	v_add_nc_u32_e32 v49, v24, v22
	v_lshlrev_b64_e32 v[22:23], 2, v[8:9]
	v_add_nc_u32_e32 v50, v24, v25
	v_add_nc_u32_e32 v51, v24, v26
	;; [unrolled: 1-line block ×3, first 2 shown]
	v_lshlrev_b64_e32 v[24:25], 2, v[12:13]
	v_lshlrev_b64_e32 v[26:27], 2, v[10:11]
	v_add_nc_u32_e32 v53, v28, v29
	v_lshlrev_b64_e32 v[28:29], 2, v[3:4]
	v_cndmask_b32_e64 v34, 0, 1, s1
	v_add_nc_u32_e32 v35, 0x11c0, v33
	s_lshl_b64 s[46:47], s[80:81], 6
	v_cmp_gt_i32_e64 s1, s36, v16
	s_ashr_i32 s37, s36, 31
	v_cmp_gt_u32_e64 s10, 32, v15
	s_xor_b32 s29, s17, -1
	s_sub_nc_u64 s[86:87], 0, s[18:19]
	v_add_nc_u32_e32 v41, 0x10c0, v33
	v_cmp_gt_u32_e64 s18, 64, v15
	v_mad_i32_i24 v47, 0xfffffcdc, v14, v43
	s_sub_nc_u64 s[84:85], 0, s[44:45]
	s_cmp_gt_i32 ttmp9, 0
	s_sub_nc_u64 s[88:89], 0, s[42:43]
	s_mul_u64 s[48:49], s[80:81], 0x60
	s_cselect_b32 s95, -1, 0
	s_and_b32 s96, s0, s29
	s_wait_alu 0xfffe
	s_sub_nc_u64 s[50:51], 0, s[36:37]
	s_lshl_b64 s[52:53], s[80:81], 2
	s_lshl_b64 s[54:55], s[80:81], 3
	;; [unrolled: 1-line block ×3, first 2 shown]
	s_mul_u64 s[58:59], s[80:81], 12
	s_mul_u64 s[60:61], s[80:81], 0x48
	;; [unrolled: 1-line block ×3, first 2 shown]
	s_lshl_b64 s[64:65], s[80:81], 7
	s_mul_u64 s[66:67], s[80:81], 0x88
	s_mul_u64 s[68:69], s[80:81], 0x8c
	;; [unrolled: 1-line block ×8, first 2 shown]
	s_lshl_b64 s[26:27], s[26:27], 2
	s_lshl_b64 s[22:23], s[22:23], 2
	;; [unrolled: 1-line block ×6, first 2 shown]
	s_branch .LBB151_4
.LBB151_2:                              ;   in Loop: Header=BB151_4 Depth=1
	s_wait_alu 0xfffe
	s_or_b32 exec_lo, exec_lo, s19
.LBB151_3:                              ;   in Loop: Header=BB151_4 Depth=1
	s_add_co_i32 s28, s28, 0x10000
	s_delay_alu instid0(SALU_CYCLE_1)
	s_cmp_lt_u32 s28, s33
	s_cbranch_scc0 .LBB151_81
.LBB151_4:                              ; =>This Loop Header: Depth=1
                                        ;     Child Loop BB151_69 Depth 2
	s_and_not1_b32 vcc_lo, exec_lo, s93
	s_wait_alu 0xfffe
	s_cbranch_vccnz .LBB151_3
; %bb.5:                                ;   in Loop: Header=BB151_4 Depth=1
	s_and_b32 vcc_lo, exec_lo, s92
	s_wait_alu 0xfffe
	s_cbranch_vccz .LBB151_7
; %bb.6:                                ;   in Loop: Header=BB151_4 Depth=1
	s_cbranch_execnz .LBB151_3
	s_branch .LBB151_8
.LBB151_7:                              ;   in Loop: Header=BB151_4 Depth=1
.LBB151_8:                              ;   in Loop: Header=BB151_4 Depth=1
	s_mov_b32 s29, s35
	s_delay_alu instid0(SALU_CYCLE_1)
	s_lshl_b64 s[90:91], s[28:29], 3
	s_wait_alu 0xfffe
	s_add_nc_u64 s[98:99], s[24:25], s[90:91]
	s_add_nc_u64 s[90:91], s[20:21], s[90:91]
	s_clause 0x1
	global_load_b64 v[2:3], v17, s[98:99]
	global_load_b64 v[0:1], v17, s[90:91]
	s_wait_loadcnt 0x1
	v_add_co_u32 v2, vcc_lo, v2, s26
	s_wait_alu 0xfffd
	v_add_co_ci_u32_e64 v3, null, s27, v3, vcc_lo
	s_delay_alu instid0(VALU_DEP_2) | instskip(SKIP_1) | instid1(VALU_DEP_2)
	v_add_co_u32 v4, vcc_lo, v2, v18
	s_wait_alu 0xfffd
	v_add_co_ci_u32_e64 v5, null, v3, v19, vcc_lo
	s_and_saveexec_b32 s19, s0
	s_cbranch_execz .LBB151_12
; %bb.9:                                ;   in Loop: Header=BB151_4 Depth=1
	v_mov_b32_e32 v2, 0
	s_and_saveexec_b32 s34, s94
	s_cbranch_execz .LBB151_11
; %bb.10:                               ;   in Loop: Header=BB151_4 Depth=1
	flat_load_b32 v2, v[4:5]
.LBB151_11:                             ;   in Loop: Header=BB151_4 Depth=1
	s_wait_alu 0xfffe
	s_or_b32 exec_lo, exec_lo, s34
	s_wait_loadcnt_dscnt 0x0
	ds_store_b32 v35, v2
.LBB151_12:                             ;   in Loop: Header=BB151_4 Depth=1
	s_wait_alu 0xfffe
	s_or_b32 exec_lo, exec_lo, s19
	s_wait_loadcnt 0x0
	v_add_co_u32 v0, vcc_lo, v0, s22
	s_wait_alu 0xfffd
	v_add_co_ci_u32_e64 v1, null, s23, v1, vcc_lo
	s_lshl_b64 s[90:91], s[42:43], 2
	v_add_co_u32 v0, vcc_lo, v0, s82
	s_wait_alu 0xfffd
	v_add_co_ci_u32_e64 v1, null, s83, v1, vcc_lo
	s_delay_alu instid0(VALU_DEP_2) | instskip(SKIP_1) | instid1(VALU_DEP_2)
	v_add_co_u32 v0, vcc_lo, v0, v20
	s_wait_alu 0xfffd
	v_add_co_ci_u32_e64 v1, null, v1, v21, vcc_lo
	v_cmp_ne_u32_e32 vcc_lo, 1, v34
	s_wait_alu 0xfffe
	v_add_co_u32 v0, s19, v0, s90
	s_wait_alu 0xf1ff
	v_add_co_ci_u32_e64 v1, null, s91, v1, s19
	s_mov_b32 s19, -1
	s_cbranch_vccnz .LBB151_14
; %bb.13:                               ;   in Loop: Header=BB151_4 Depth=1
	v_add_co_u32 v2, vcc_lo, v0, s44
	s_wait_alu 0xfffd
	v_add_co_ci_u32_e64 v3, null, s45, v1, vcc_lo
	s_mov_b32 s19, 0
	v_add_co_u32 v6, vcc_lo, v2, s44
	s_wait_alu 0xfffd
	v_add_co_ci_u32_e64 v7, null, s45, v3, vcc_lo
	s_delay_alu instid0(VALU_DEP_2) | instskip(SKIP_1) | instid1(VALU_DEP_2)
	v_add_co_u32 v8, vcc_lo, v6, s44
	s_wait_alu 0xfffd
	v_add_co_ci_u32_e64 v9, null, s45, v7, vcc_lo
	s_clause 0x3
	flat_load_b32 v10, v[0:1]
	flat_load_b32 v2, v[2:3]
	;; [unrolled: 1-line block ×4, first 2 shown]
	s_wait_loadcnt_dscnt 0x303
	ds_store_b32 v49, v10
	s_wait_loadcnt_dscnt 0x203
	ds_store_b32 v49, v2 offset:1056
	s_wait_loadcnt_dscnt 0x103
	ds_store_b32 v49, v3 offset:2112
	;; [unrolled: 2-line block ×3, first 2 shown]
.LBB151_14:                             ;   in Loop: Header=BB151_4 Depth=1
	s_wait_alu 0xfffe
	s_and_not1_b32 vcc_lo, exec_lo, s19
	s_wait_alu 0xfffe
	s_cbranch_vccnz .LBB151_24
; %bb.15:                               ;   in Loop: Header=BB151_4 Depth=1
	v_add_co_u32 v2, vcc_lo, v0, v22
	s_wait_alu 0xfffd
	v_add_co_ci_u32_e64 v3, null, v1, v23, vcc_lo
	s_lshl_b64 s[90:91], s[36:37], 2
	v_dual_mov_b32 v7, 0 :: v_dual_mov_b32 v6, 0
	s_wait_alu 0xfffe
	v_add_co_u32 v2, vcc_lo, v2, s90
	s_wait_alu 0xfffd
	v_add_co_ci_u32_e64 v3, null, s91, v3, vcc_lo
	s_delay_alu instid0(VALU_DEP_2) | instskip(SKIP_1) | instid1(VALU_DEP_2)
	v_add_co_u32 v2, vcc_lo, v2, -4
	s_wait_alu 0xfffd
	v_add_co_ci_u32_e64 v3, null, -1, v3, vcc_lo
	s_delay_alu instid0(VALU_DEP_2) | instskip(NEXT) | instid1(VALU_DEP_2)
	v_cndmask_b32_e64 v2, v2, v0, s1
	v_cndmask_b32_e64 v3, v3, v1, s1
	s_and_saveexec_b32 s19, s2
	s_cbranch_execz .LBB151_17
; %bb.16:                               ;   in Loop: Header=BB151_4 Depth=1
	flat_load_b32 v6, v[2:3]
.LBB151_17:                             ;   in Loop: Header=BB151_4 Depth=1
	s_wait_alu 0xfffe
	s_or_b32 exec_lo, exec_lo, s19
	s_wait_loadcnt_dscnt 0x0
	ds_store_b32 v49, v6
	s_and_saveexec_b32 s19, s3
	s_cbranch_execz .LBB151_19
; %bb.18:                               ;   in Loop: Header=BB151_4 Depth=1
	v_add_co_u32 v6, vcc_lo, v2, s44
	s_wait_alu 0xfffd
	v_add_co_ci_u32_e64 v7, null, s45, v3, vcc_lo
	flat_load_b32 v7, v[6:7]
.LBB151_19:                             ;   in Loop: Header=BB151_4 Depth=1
	s_wait_alu 0xfffe
	s_or_b32 exec_lo, exec_lo, s19
	v_mov_b32_e32 v6, 0
	v_mov_b32_e32 v8, 0
	s_wait_loadcnt_dscnt 0x0
	ds_store_b32 v49, v7 offset:1056
	s_and_saveexec_b32 s19, s4
	s_cbranch_execz .LBB151_21
; %bb.20:                               ;   in Loop: Header=BB151_4 Depth=1
	v_add_co_u32 v7, vcc_lo, v2, s46
	s_wait_alu 0xfffd
	v_add_co_ci_u32_e64 v8, null, s47, v3, vcc_lo
	flat_load_b32 v8, v[7:8]
.LBB151_21:                             ;   in Loop: Header=BB151_4 Depth=1
	s_wait_alu 0xfffe
	s_or_b32 exec_lo, exec_lo, s19
	s_wait_loadcnt_dscnt 0x0
	ds_store_b32 v49, v8 offset:2112
	s_and_saveexec_b32 s19, s5
	s_cbranch_execz .LBB151_23
; %bb.22:                               ;   in Loop: Header=BB151_4 Depth=1
	v_add_co_u32 v6, vcc_lo, v2, s48
	s_wait_alu 0xfffd
	v_add_co_ci_u32_e64 v7, null, s49, v3, vcc_lo
	flat_load_b32 v6, v[6:7]
.LBB151_23:                             ;   in Loop: Header=BB151_4 Depth=1
	s_wait_alu 0xfffe
	s_or_b32 exec_lo, exec_lo, s19
	v_add_co_u32 v2, vcc_lo, v2, v54
	s_wait_alu 0xfffd
	v_add_co_ci_u32_e64 v3, null, 0, v3, vcc_lo
	s_lshl_b64 s[90:91], s[50:51], 2
	s_wait_loadcnt_dscnt 0x0
	ds_store_b32 v49, v6 offset:3168
	s_wait_alu 0xfffe
	v_add_co_u32 v2, vcc_lo, v2, s90
	s_wait_alu 0xfffd
	v_add_co_ci_u32_e64 v3, null, s91, v3, vcc_lo
	s_delay_alu instid0(VALU_DEP_2) | instskip(SKIP_1) | instid1(VALU_DEP_2)
	v_add_co_u32 v2, vcc_lo, v2, 4
	s_wait_alu 0xfffd
	v_add_co_ci_u32_e64 v3, null, 0, v3, vcc_lo
	s_delay_alu instid0(VALU_DEP_2) | instskip(NEXT) | instid1(VALU_DEP_2)
	v_cndmask_b32_e64 v0, v2, v0, s1
	v_cndmask_b32_e64 v1, v3, v1, s1
.LBB151_24:                             ;   in Loop: Header=BB151_4 Depth=1
	s_wait_dscnt 0x0
	s_barrier_signal -1
	s_barrier_wait -1
	global_inv scope:SCOPE_SE
	s_and_saveexec_b32 s19, s6
	s_cbranch_execnz .LBB151_75
; %bb.25:                               ;   in Loop: Header=BB151_4 Depth=1
	s_wait_alu 0xfffe
	s_or_b32 exec_lo, exec_lo, s19
	s_and_saveexec_b32 s19, s7
	s_cbranch_execnz .LBB151_76
.LBB151_26:                             ;   in Loop: Header=BB151_4 Depth=1
	s_wait_alu 0xfffe
	s_or_b32 exec_lo, exec_lo, s19
	s_and_saveexec_b32 s19, s8
	s_cbranch_execnz .LBB151_77
.LBB151_27:                             ;   in Loop: Header=BB151_4 Depth=1
	s_wait_alu 0xfffe
	s_or_b32 exec_lo, exec_lo, s19
	s_and_saveexec_b32 s19, s9
	s_cbranch_execz .LBB151_29
.LBB151_28:                             ;   in Loop: Header=BB151_4 Depth=1
	ds_load_b32 v2, v51 offset:264
	s_wait_dscnt 0x0
	ds_store_b32 v37, v2 offset:12
.LBB151_29:                             ;   in Loop: Header=BB151_4 Depth=1
	s_wait_alu 0xfffe
	s_or_b32 exec_lo, exec_lo, s19
	s_wait_loadcnt_dscnt 0x0
	s_barrier_signal -1
	s_barrier_wait -1
	global_inv scope:SCOPE_SE
	ds_load_b32 v10, v50
	ds_load_b32 v11, v51 offset:264
	ds_load_b128 v[6:9], v38
	ds_load_2addr_b32 v[2:3], v51 offset1:33
	v_mov_b32_e32 v56, 0
	s_wait_loadcnt_dscnt 0x0
	s_barrier_signal -1
	s_barrier_wait -1
	global_inv scope:SCOPE_SE
	v_fma_f32 v6, v10, v6, 0
	s_delay_alu instid0(VALU_DEP_1) | instskip(NEXT) | instid1(VALU_DEP_1)
	v_fmac_f32_e32 v6, v2, v7
	v_fmac_f32_e32 v6, v3, v8
	s_delay_alu instid0(VALU_DEP_1)
	v_fmac_f32_e32 v6, v11, v9
	ds_store_b32 v39, v6
	s_wait_loadcnt_dscnt 0x0
	s_barrier_signal -1
	s_barrier_wait -1
	global_inv scope:SCOPE_SE
	s_and_saveexec_b32 s19, s10
	s_cbranch_execz .LBB151_31
; %bb.30:                               ;   in Loop: Header=BB151_4 Depth=1
	ds_load_2addr_b32 v[2:3], v36 offset1:1
	ds_load_2addr_b32 v[6:7], v36 offset0:2 offset1:3
	ds_load_2addr_b32 v[8:9], v36 offset0:4 offset1:5
	;; [unrolled: 1-line block ×3, first 2 shown]
	s_wait_dscnt 0x3
	v_add_f32_e32 v2, v2, v3
	s_wait_dscnt 0x2
	s_delay_alu instid0(VALU_DEP_1) | instskip(NEXT) | instid1(VALU_DEP_1)
	v_add_f32_e32 v2, v2, v6
	v_add_f32_e32 v2, v2, v7
	s_wait_dscnt 0x1
	s_delay_alu instid0(VALU_DEP_1) | instskip(NEXT) | instid1(VALU_DEP_1)
	v_add_f32_e32 v2, v2, v8
	;; [unrolled: 4-line block ×3, first 2 shown]
	v_add_f32_e32 v56, v2, v11
.LBB151_31:                             ;   in Loop: Header=BB151_4 Depth=1
	s_wait_alu 0xfffe
	s_or_b32 exec_lo, exec_lo, s19
	s_lshl_b64 s[90:91], s[44:45], 2
	v_cmp_ne_u32_e32 vcc_lo, 1, v34
	s_wait_alu 0xfffe
	v_add_co_u32 v0, s19, v0, s90
	s_wait_alu 0xf1ff
	v_add_co_ci_u32_e64 v1, null, s91, v1, s19
	s_and_b32 vcc_lo, exec_lo, vcc_lo
	s_mov_b32 s19, -1
	s_wait_loadcnt 0x0
	s_barrier_signal -1
	s_barrier_wait -1
	global_inv scope:SCOPE_SE
	s_wait_alu 0xfffe
	s_cbranch_vccnz .LBB151_33
; %bb.32:                               ;   in Loop: Header=BB151_4 Depth=1
	v_add_co_u32 v2, vcc_lo, v0, s44
	s_wait_alu 0xfffd
	v_add_co_ci_u32_e64 v3, null, s45, v1, vcc_lo
	s_mov_b32 s19, 0
	v_add_co_u32 v6, vcc_lo, v2, s44
	s_wait_alu 0xfffd
	v_add_co_ci_u32_e64 v7, null, s45, v3, vcc_lo
	s_delay_alu instid0(VALU_DEP_2) | instskip(SKIP_1) | instid1(VALU_DEP_2)
	v_add_co_u32 v8, vcc_lo, v6, s44
	s_wait_alu 0xfffd
	v_add_co_ci_u32_e64 v9, null, s45, v7, vcc_lo
	s_clause 0x3
	flat_load_b32 v10, v[0:1] offset:128
	flat_load_b32 v2, v[2:3] offset:128
	;; [unrolled: 1-line block ×4, first 2 shown]
	s_wait_loadcnt_dscnt 0x303
	ds_store_b32 v49, v10
	s_wait_loadcnt_dscnt 0x203
	ds_store_b32 v49, v2 offset:1056
	s_wait_loadcnt_dscnt 0x103
	ds_store_b32 v49, v3 offset:2112
	;; [unrolled: 2-line block ×3, first 2 shown]
.LBB151_33:                             ;   in Loop: Header=BB151_4 Depth=1
	v_add_co_u32 v2, vcc_lo, 0x80, v0
	s_wait_alu 0xfffd
	v_add_co_ci_u32_e64 v3, null, 0, v1, vcc_lo
	s_wait_alu 0xfffe
	s_and_not1_b32 vcc_lo, exec_lo, s19
	s_wait_alu 0xfffe
	s_cbranch_vccnz .LBB151_43
; %bb.34:                               ;   in Loop: Header=BB151_4 Depth=1
	v_add_co_u32 v0, vcc_lo, v0, v22
	s_wait_alu 0xfffd
	v_add_co_ci_u32_e64 v1, null, v1, v23, vcc_lo
	s_lshl_b64 s[90:91], s[36:37], 2
	v_dual_mov_b32 v7, 0 :: v_dual_mov_b32 v6, 0
	s_wait_alu 0xfffe
	v_add_co_u32 v0, vcc_lo, v0, s90
	s_wait_alu 0xfffd
	v_add_co_ci_u32_e64 v1, null, s91, v1, vcc_lo
	s_delay_alu instid0(VALU_DEP_2) | instskip(SKIP_1) | instid1(VALU_DEP_2)
	v_add_co_u32 v0, vcc_lo, v0, -4
	s_wait_alu 0xfffd
	v_add_co_ci_u32_e64 v1, null, -1, v1, vcc_lo
	s_delay_alu instid0(VALU_DEP_2) | instskip(NEXT) | instid1(VALU_DEP_2)
	v_cndmask_b32_e64 v0, v0, v2, s11
	v_cndmask_b32_e64 v1, v1, v3, s11
	s_and_saveexec_b32 s19, s12
	s_cbranch_execz .LBB151_36
; %bb.35:                               ;   in Loop: Header=BB151_4 Depth=1
	flat_load_b32 v6, v[0:1]
.LBB151_36:                             ;   in Loop: Header=BB151_4 Depth=1
	s_wait_alu 0xfffe
	s_or_b32 exec_lo, exec_lo, s19
	s_wait_loadcnt_dscnt 0x0
	ds_store_b32 v49, v6
	s_and_saveexec_b32 s19, s13
	s_cbranch_execz .LBB151_38
; %bb.37:                               ;   in Loop: Header=BB151_4 Depth=1
	v_add_co_u32 v6, vcc_lo, v0, s44
	s_wait_alu 0xfffd
	v_add_co_ci_u32_e64 v7, null, s45, v1, vcc_lo
	flat_load_b32 v7, v[6:7]
.LBB151_38:                             ;   in Loop: Header=BB151_4 Depth=1
	s_wait_alu 0xfffe
	s_or_b32 exec_lo, exec_lo, s19
	v_mov_b32_e32 v6, 0
	v_mov_b32_e32 v8, 0
	s_wait_loadcnt_dscnt 0x0
	ds_store_b32 v49, v7 offset:1056
	s_and_saveexec_b32 s19, s14
	s_cbranch_execz .LBB151_40
; %bb.39:                               ;   in Loop: Header=BB151_4 Depth=1
	v_add_co_u32 v7, vcc_lo, v0, s46
	s_wait_alu 0xfffd
	v_add_co_ci_u32_e64 v8, null, s47, v1, vcc_lo
	flat_load_b32 v8, v[7:8]
.LBB151_40:                             ;   in Loop: Header=BB151_4 Depth=1
	s_wait_alu 0xfffe
	s_or_b32 exec_lo, exec_lo, s19
	s_wait_loadcnt_dscnt 0x0
	ds_store_b32 v49, v8 offset:2112
	s_and_saveexec_b32 s19, s15
	s_cbranch_execz .LBB151_42
; %bb.41:                               ;   in Loop: Header=BB151_4 Depth=1
	v_add_co_u32 v6, vcc_lo, v0, s48
	s_wait_alu 0xfffd
	v_add_co_ci_u32_e64 v7, null, s49, v1, vcc_lo
	flat_load_b32 v6, v[6:7]
.LBB151_42:                             ;   in Loop: Header=BB151_4 Depth=1
	s_wait_alu 0xfffe
	s_or_b32 exec_lo, exec_lo, s19
	v_add_co_u32 v0, vcc_lo, v0, v54
	s_wait_alu 0xfffd
	v_add_co_ci_u32_e64 v1, null, 0, v1, vcc_lo
	s_lshl_b64 s[90:91], s[50:51], 2
	s_wait_loadcnt_dscnt 0x0
	ds_store_b32 v49, v6 offset:3168
	s_wait_alu 0xfffe
	v_add_co_u32 v0, vcc_lo, v0, s90
	s_wait_alu 0xfffd
	v_add_co_ci_u32_e64 v1, null, s91, v1, vcc_lo
	s_delay_alu instid0(VALU_DEP_2) | instskip(SKIP_1) | instid1(VALU_DEP_2)
	v_add_co_u32 v0, vcc_lo, 0x84, v0
	s_wait_alu 0xfffd
	v_add_co_ci_u32_e64 v1, null, 0, v1, vcc_lo
	s_delay_alu instid0(VALU_DEP_2) | instskip(NEXT) | instid1(VALU_DEP_2)
	v_cndmask_b32_e64 v2, v0, v2, s11
	v_cndmask_b32_e64 v3, v1, v3, s11
.LBB151_43:                             ;   in Loop: Header=BB151_4 Depth=1
	s_wait_loadcnt_dscnt 0x0
	s_barrier_signal -1
	s_barrier_wait -1
	global_inv scope:SCOPE_SE
	s_and_saveexec_b32 s19, s6
	s_cbranch_execnz .LBB151_78
; %bb.44:                               ;   in Loop: Header=BB151_4 Depth=1
	s_wait_alu 0xfffe
	s_or_b32 exec_lo, exec_lo, s19
	s_and_saveexec_b32 s19, s7
	s_cbranch_execnz .LBB151_79
.LBB151_45:                             ;   in Loop: Header=BB151_4 Depth=1
	s_wait_alu 0xfffe
	s_or_b32 exec_lo, exec_lo, s19
	s_and_saveexec_b32 s19, s8
	s_cbranch_execnz .LBB151_80
.LBB151_46:                             ;   in Loop: Header=BB151_4 Depth=1
	s_wait_alu 0xfffe
	s_or_b32 exec_lo, exec_lo, s19
	s_and_saveexec_b32 s19, s9
	s_cbranch_execz .LBB151_48
.LBB151_47:                             ;   in Loop: Header=BB151_4 Depth=1
	ds_load_b32 v0, v51 offset:264
	s_wait_dscnt 0x0
	ds_store_b32 v37, v0 offset:12
.LBB151_48:                             ;   in Loop: Header=BB151_4 Depth=1
	s_wait_alu 0xfffe
	s_or_b32 exec_lo, exec_lo, s19
	s_wait_loadcnt_dscnt 0x0
	s_barrier_signal -1
	s_barrier_wait -1
	global_inv scope:SCOPE_SE
	ds_load_b32 v10, v50
	ds_load_b32 v11, v51 offset:264
	ds_load_b128 v[6:9], v38 offset:128
	ds_load_2addr_b32 v[0:1], v51 offset1:33
	s_wait_loadcnt_dscnt 0x0
	s_barrier_signal -1
	s_barrier_wait -1
	global_inv scope:SCOPE_SE
	v_fma_f32 v6, v10, v6, 0
	s_delay_alu instid0(VALU_DEP_1) | instskip(NEXT) | instid1(VALU_DEP_1)
	v_fmac_f32_e32 v6, v0, v7
	v_fmac_f32_e32 v6, v1, v8
	s_delay_alu instid0(VALU_DEP_1)
	v_fmac_f32_e32 v6, v11, v9
	ds_store_b32 v39, v6
	s_wait_loadcnt_dscnt 0x0
	s_barrier_signal -1
	s_barrier_wait -1
	global_inv scope:SCOPE_SE
	s_and_saveexec_b32 s19, s16
	s_cbranch_execz .LBB151_50
; %bb.49:                               ;   in Loop: Header=BB151_4 Depth=1
	ds_load_2addr_b32 v[0:1], v36 offset1:1
	ds_load_2addr_b32 v[6:7], v36 offset0:2 offset1:3
	ds_load_2addr_b32 v[8:9], v36 offset0:4 offset1:5
	;; [unrolled: 1-line block ×3, first 2 shown]
	s_wait_dscnt 0x3
	v_add_f32_e32 v0, v0, v1
	s_wait_dscnt 0x2
	s_delay_alu instid0(VALU_DEP_1) | instskip(NEXT) | instid1(VALU_DEP_1)
	v_add_f32_e32 v0, v0, v6
	v_add_f32_e32 v0, v0, v7
	s_wait_dscnt 0x1
	s_delay_alu instid0(VALU_DEP_1) | instskip(NEXT) | instid1(VALU_DEP_1)
	v_add_f32_e32 v0, v0, v8
	;; [unrolled: 4-line block ×3, first 2 shown]
	v_add_f32_e32 v56, v0, v11
.LBB151_50:                             ;   in Loop: Header=BB151_4 Depth=1
	s_wait_alu 0xfffe
	s_or_b32 exec_lo, exec_lo, s19
	v_cmp_ne_u32_e32 vcc_lo, 1, v34
	v_add_co_u32 v6, s19, v2, s84
	s_wait_alu 0xf1ff
	v_add_co_ci_u32_e64 v7, null, s85, v3, s19
	s_and_b32 vcc_lo, exec_lo, vcc_lo
	s_mov_b32 s19, -1
	s_wait_loadcnt 0x0
	s_barrier_signal -1
	s_barrier_wait -1
	global_inv scope:SCOPE_SE
	s_wait_alu 0xfffe
	s_cbranch_vccnz .LBB151_52
; %bb.51:                               ;   in Loop: Header=BB151_4 Depth=1
	v_add_co_u32 v0, vcc_lo, v6, s44
	s_wait_alu 0xfffd
	v_add_co_ci_u32_e64 v1, null, s45, v7, vcc_lo
	s_mov_b32 s19, 0
	v_add_co_u32 v2, vcc_lo, v0, s44
	s_wait_alu 0xfffd
	v_add_co_ci_u32_e64 v3, null, s45, v1, vcc_lo
	s_delay_alu instid0(VALU_DEP_2) | instskip(SKIP_1) | instid1(VALU_DEP_2)
	v_add_co_u32 v8, vcc_lo, v2, s44
	s_wait_alu 0xfffd
	v_add_co_ci_u32_e64 v9, null, s45, v3, vcc_lo
	s_clause 0x3
	flat_load_b32 v10, v[6:7]
	flat_load_b32 v0, v[0:1]
	;; [unrolled: 1-line block ×4, first 2 shown]
	s_wait_loadcnt_dscnt 0x303
	ds_store_b32 v49, v10
	s_wait_loadcnt_dscnt 0x203
	ds_store_b32 v49, v0 offset:1056
	s_wait_loadcnt_dscnt 0x103
	ds_store_b32 v49, v1 offset:2112
	;; [unrolled: 2-line block ×3, first 2 shown]
.LBB151_52:                             ;   in Loop: Header=BB151_4 Depth=1
	s_wait_alu 0xfffe
	s_and_not1_b32 vcc_lo, exec_lo, s19
	s_wait_alu 0xfffe
	s_cbranch_vccnz .LBB151_62
; %bb.53:                               ;   in Loop: Header=BB151_4 Depth=1
	v_add_co_u32 v0, vcc_lo, v6, v22
	s_wait_alu 0xfffd
	v_add_co_ci_u32_e64 v1, null, v7, v23, vcc_lo
	s_lshl_b64 s[90:91], s[36:37], 2
	v_dual_mov_b32 v3, 0 :: v_dual_mov_b32 v2, 0
	s_wait_alu 0xfffe
	v_add_co_u32 v0, vcc_lo, v0, s90
	s_wait_alu 0xfffd
	v_add_co_ci_u32_e64 v1, null, s91, v1, vcc_lo
	s_delay_alu instid0(VALU_DEP_2) | instskip(SKIP_1) | instid1(VALU_DEP_2)
	v_add_co_u32 v0, vcc_lo, 0xffffff7c, v0
	s_wait_alu 0xfffd
	v_add_co_ci_u32_e64 v1, null, -1, v1, vcc_lo
	s_delay_alu instid0(VALU_DEP_2) | instskip(NEXT) | instid1(VALU_DEP_2)
	v_cndmask_b32_e64 v0, v0, v6, s11
	v_cndmask_b32_e64 v1, v1, v7, s11
	s_and_saveexec_b32 s19, s2
	s_cbranch_execz .LBB151_55
; %bb.54:                               ;   in Loop: Header=BB151_4 Depth=1
	flat_load_b32 v2, v[0:1]
.LBB151_55:                             ;   in Loop: Header=BB151_4 Depth=1
	s_wait_alu 0xfffe
	s_or_b32 exec_lo, exec_lo, s19
	s_wait_loadcnt_dscnt 0x0
	ds_store_b32 v49, v2
	s_and_saveexec_b32 s19, s3
	s_cbranch_execz .LBB151_57
; %bb.56:                               ;   in Loop: Header=BB151_4 Depth=1
	v_add_co_u32 v2, vcc_lo, v0, s44
	s_wait_alu 0xfffd
	v_add_co_ci_u32_e64 v3, null, s45, v1, vcc_lo
	flat_load_b32 v3, v[2:3]
.LBB151_57:                             ;   in Loop: Header=BB151_4 Depth=1
	s_wait_alu 0xfffe
	s_or_b32 exec_lo, exec_lo, s19
	v_mov_b32_e32 v2, 0
	v_mov_b32_e32 v8, 0
	s_wait_loadcnt_dscnt 0x0
	ds_store_b32 v49, v3 offset:1056
	s_and_saveexec_b32 s19, s4
	s_cbranch_execz .LBB151_59
; %bb.58:                               ;   in Loop: Header=BB151_4 Depth=1
	v_add_co_u32 v8, vcc_lo, v0, s46
	s_wait_alu 0xfffd
	v_add_co_ci_u32_e64 v9, null, s47, v1, vcc_lo
	flat_load_b32 v8, v[8:9]
.LBB151_59:                             ;   in Loop: Header=BB151_4 Depth=1
	s_wait_alu 0xfffe
	s_or_b32 exec_lo, exec_lo, s19
	s_wait_loadcnt_dscnt 0x0
	ds_store_b32 v49, v8 offset:2112
	s_and_saveexec_b32 s19, s5
	s_cbranch_execz .LBB151_61
; %bb.60:                               ;   in Loop: Header=BB151_4 Depth=1
	v_add_co_u32 v2, vcc_lo, v0, s48
	s_wait_alu 0xfffd
	v_add_co_ci_u32_e64 v3, null, s49, v1, vcc_lo
	flat_load_b32 v2, v[2:3]
.LBB151_61:                             ;   in Loop: Header=BB151_4 Depth=1
	s_wait_alu 0xfffe
	s_or_b32 exec_lo, exec_lo, s19
	v_add_co_u32 v0, vcc_lo, v0, v54
	s_wait_alu 0xfffd
	v_add_co_ci_u32_e64 v1, null, 0, v1, vcc_lo
	s_lshl_b64 s[90:91], s[50:51], 2
	s_wait_loadcnt_dscnt 0x0
	ds_store_b32 v49, v2 offset:3168
	s_wait_alu 0xfffe
	v_add_co_u32 v0, vcc_lo, v0, s90
	s_wait_alu 0xfffd
	v_add_co_ci_u32_e64 v1, null, s91, v1, vcc_lo
	s_delay_alu instid0(VALU_DEP_2) | instskip(SKIP_1) | instid1(VALU_DEP_2)
	v_add_co_u32 v0, vcc_lo, 0x84, v0
	s_wait_alu 0xfffd
	v_add_co_ci_u32_e64 v1, null, 0, v1, vcc_lo
	s_delay_alu instid0(VALU_DEP_2) | instskip(NEXT) | instid1(VALU_DEP_2)
	v_cndmask_b32_e64 v6, v0, v6, s11
	v_cndmask_b32_e64 v7, v1, v7, s11
.LBB151_62:                             ;   in Loop: Header=BB151_4 Depth=1
	s_wait_loadcnt_dscnt 0x0
	s_barrier_signal -1
	s_barrier_wait -1
	global_inv scope:SCOPE_SE
	ds_load_b32 v0, v49
	ds_load_b32 v1, v52
	ds_load_2addr_b32 v[12:13], v48 offset0:8 offset1:16
	ds_load_b32 v14, v49 offset:1056
	ds_load_b32 v15, v49 offset:2112
	;; [unrolled: 1-line block ×4, first 2 shown]
	s_wait_dscnt 0x5
	v_fma_f32 v31, v0, v1, 0
	ds_load_2addr_b32 v[10:11], v40 offset1:1
	ds_load_b128 v[0:3], v38 offset:128
	ds_load_2addr_b32 v[8:9], v40 offset0:2 offset1:3
	s_wait_loadcnt_dscnt 0x0
	s_barrier_signal -1
	s_barrier_wait -1
	v_fmac_f32_e32 v31, v14, v12
	global_inv scope:SCOPE_SE
	v_fmac_f32_e32 v31, v15, v13
	s_delay_alu instid0(VALU_DEP_1)
	v_fmac_f32_e32 v31, v16, v30
	ds_store_b32 v39, v31
	s_wait_loadcnt_dscnt 0x0
	s_barrier_signal -1
	s_barrier_wait -1
	global_inv scope:SCOPE_SE
	s_and_saveexec_b32 s19, s16
	s_cbranch_execz .LBB151_64
; %bb.63:                               ;   in Loop: Header=BB151_4 Depth=1
	ds_load_2addr_b32 v[12:13], v36 offset1:1
	ds_load_2addr_b32 v[14:15], v36 offset0:2 offset1:3
	ds_load_2addr_b32 v[30:31], v36 offset0:4 offset1:5
	;; [unrolled: 1-line block ×3, first 2 shown]
	s_wait_dscnt 0x3
	v_add_f32_e32 v12, v56, v12
	s_delay_alu instid0(VALU_DEP_1) | instskip(SKIP_1) | instid1(VALU_DEP_1)
	v_add_f32_e32 v12, v12, v13
	s_wait_dscnt 0x2
	v_add_f32_e32 v12, v12, v14
	s_delay_alu instid0(VALU_DEP_1) | instskip(SKIP_1) | instid1(VALU_DEP_1)
	v_add_f32_e32 v12, v12, v15
	s_wait_dscnt 0x1
	v_add_f32_e32 v12, v12, v30
	s_delay_alu instid0(VALU_DEP_1) | instskip(SKIP_1) | instid1(VALU_DEP_1)
	v_add_f32_e32 v12, v12, v31
	s_wait_dscnt 0x0
	v_add_f32_e32 v12, v12, v57
	s_delay_alu instid0(VALU_DEP_1)
	v_add_f32_e32 v56, v12, v58
.LBB151_64:                             ;   in Loop: Header=BB151_4 Depth=1
	s_wait_alu 0xfffe
	s_or_b32 exec_lo, exec_lo, s19
	v_fma_f32 v0, v10, v0, 0
	s_wait_loadcnt 0x0
	s_barrier_signal -1
	s_barrier_wait -1
	global_inv scope:SCOPE_SE
	v_fmac_f32_e32 v0, v11, v1
	s_delay_alu instid0(VALU_DEP_1) | instskip(NEXT) | instid1(VALU_DEP_1)
	v_fmac_f32_e32 v0, v8, v2
	v_fmac_f32_e32 v0, v9, v3
	ds_store_b32 v39, v0
	s_wait_loadcnt_dscnt 0x0
	s_barrier_signal -1
	s_barrier_wait -1
	global_inv scope:SCOPE_SE
	s_and_saveexec_b32 s19, s10
	s_cbranch_execz .LBB151_66
; %bb.65:                               ;   in Loop: Header=BB151_4 Depth=1
	ds_load_2addr_b32 v[0:1], v36 offset1:1
	ds_load_2addr_b32 v[2:3], v36 offset0:2 offset1:3
	ds_load_2addr_b32 v[8:9], v36 offset0:4 offset1:5
	;; [unrolled: 1-line block ×3, first 2 shown]
	s_wait_dscnt 0x3
	v_add_f32_e32 v0, v56, v0
	s_delay_alu instid0(VALU_DEP_1) | instskip(SKIP_1) | instid1(VALU_DEP_1)
	v_add_f32_e32 v0, v0, v1
	s_wait_dscnt 0x2
	v_add_f32_e32 v0, v0, v2
	s_delay_alu instid0(VALU_DEP_1) | instskip(SKIP_1) | instid1(VALU_DEP_1)
	v_add_f32_e32 v0, v0, v3
	;; [unrolled: 4-line block ×3, first 2 shown]
	s_wait_dscnt 0x0
	v_add_f32_e32 v0, v0, v10
	s_delay_alu instid0(VALU_DEP_1)
	v_add_f32_e32 v56, v0, v11
.LBB151_66:                             ;   in Loop: Header=BB151_4 Depth=1
	s_wait_alu 0xfffe
	s_or_b32 exec_lo, exec_lo, s19
	s_mul_u64 s[90:91], s[38:39], s[28:29]
	s_and_not1_b32 vcc_lo, exec_lo, s95
	s_wait_alu 0xfffe
	s_lshl_b64 s[90:91], s[90:91], 2
	s_wait_loadcnt 0x0
	s_wait_alu 0xfffe
	s_add_nc_u64 s[90:91], s[40:41], s[90:91]
	s_barrier_signal -1
	s_barrier_wait -1
	global_inv scope:SCOPE_SE
	s_cbranch_vccnz .LBB151_73
; %bb.67:                               ;   in Loop: Header=BB151_4 Depth=1
	v_add_co_u32 v0, vcc_lo, v6, s88
	s_wait_alu 0xfffd
	v_add_co_ci_u32_e64 v1, null, s89, v7, vcc_lo
	s_lshl_b64 s[98:99], s[36:37], 2
	v_add_co_u32 v0, vcc_lo, v0, v24
	s_wait_alu 0xfffd
	v_add_co_ci_u32_e64 v1, null, v1, v25, vcc_lo
	s_mov_b32 s19, ttmp9
	v_add_co_u32 v0, vcc_lo, v0, v26
	s_wait_alu 0xfffd
	v_add_co_ci_u32_e64 v1, null, v1, v27, vcc_lo
	s_mov_b32 s34, 0
	s_wait_alu 0xfffe
	v_add_co_u32 v2, vcc_lo, v0, s98
	s_wait_alu 0xfffd
	v_add_co_ci_u32_e64 v3, null, s99, v1, vcc_lo
	v_add_co_u32 v0, vcc_lo, v0, v55
	s_wait_alu 0xfffd
	v_add_co_ci_u32_e64 v1, null, 0, v1, vcc_lo
	v_add_co_u32 v2, vcc_lo, 0xffffff7c, v2
	s_wait_alu 0xfffd
	v_add_co_ci_u32_e64 v3, null, -1, v3, vcc_lo
	v_add_co_u32 v0, vcc_lo, 0xffffff80, v0
	s_wait_alu 0xfffd
	v_add_co_ci_u32_e64 v1, null, -1, v1, vcc_lo
	v_add_co_u32 v57, vcc_lo, v4, s86
	s_wait_alu 0xfffd
	v_add_co_ci_u32_e64 v58, null, s87, v5, vcc_lo
	s_delay_alu instid0(VALU_DEP_3)
	v_cndmask_b32_e64 v31, v1, v3, s17
	v_cndmask_b32_e64 v30, v0, v2, s17
	s_branch .LBB151_69
.LBB151_68:                             ;   in Loop: Header=BB151_69 Depth=2
	s_or_b32 exec_lo, exec_lo, s29
	v_fmac_f32_e32 v56, v62, v0
	v_add_co_u32 v30, vcc_lo, v30, s56
	s_wait_alu 0xfffd
	v_add_co_ci_u32_e64 v31, null, s57, v31, vcc_lo
	s_delay_alu instid0(VALU_DEP_3)
	v_fmac_f32_e32 v56, v60, v1
	s_wait_alu 0xfffe
	s_add_co_i32 s19, s19, -1
	s_add_co_i32 s34, s34, 64
	s_wait_alu 0xfffe
	s_cmp_eq_u32 s19, 0
	s_wait_loadcnt 0x0
	s_wait_storecnt 0x0
	v_fmac_f32_e32 v56, v59, v2
	s_barrier_signal -1
	s_barrier_wait -1
	global_inv scope:SCOPE_SE
	v_fmac_f32_e32 v56, v61, v3
	s_delay_alu instid0(VALU_DEP_1) | instskip(NEXT) | instid1(VALU_DEP_1)
	v_fmac_f32_e32 v56, v66, v4
	v_fmac_f32_e32 v56, v64, v5
	s_delay_alu instid0(VALU_DEP_1) | instskip(NEXT) | instid1(VALU_DEP_1)
	v_fmac_f32_e32 v56, v63, v6
	;; [unrolled: 3-line block ×6, first 2 shown]
	v_fmac_f32_e32 v56, v71, v15
	s_cbranch_scc1 .LBB151_73
.LBB151_69:                             ;   Parent Loop BB151_4 Depth=1
                                        ; =>  This Inner Loop Header: Depth=2
	s_and_saveexec_b32 s29, s0
	s_cbranch_execz .LBB151_71
; %bb.70:                               ;   in Loop: Header=BB151_69 Depth=2
	s_mul_u64 s[98:99], s[30:31], s[34:35]
	s_wait_alu 0xfffe
	s_lshl_b64 s[98:99], s[98:99], 2
	s_wait_alu 0xfffe
	v_add_co_u32 v0, vcc_lo, v57, s98
	s_wait_alu 0xfffd
	v_add_co_ci_u32_e64 v1, null, s99, v58, vcc_lo
	flat_load_b32 v0, v[0:1]
	s_wait_loadcnt_dscnt 0x0
	ds_store_b32 v41, v0
.LBB151_71:                             ;   in Loop: Header=BB151_69 Depth=2
	s_or_b32 exec_lo, exec_lo, s29
	v_add_co_u32 v0, vcc_lo, v30, s52
	s_wait_alu 0xfffd
	v_add_co_ci_u32_e64 v1, null, s53, v31, vcc_lo
	v_add_co_u32 v2, vcc_lo, v30, s54
	s_wait_alu 0xfffd
	v_add_co_ci_u32_e64 v3, null, s55, v31, vcc_lo
	;; [unrolled: 3-line block ×3, first 2 shown]
	s_wait_loadcnt_dscnt 0x0
	s_barrier_signal -1
	s_barrier_wait -1
	global_inv scope:SCOPE_SE
	s_clause 0x3
	flat_load_b32 v62, v[30:31]
	flat_load_b32 v60, v[0:1]
	;; [unrolled: 1-line block ×4, first 2 shown]
	ds_load_b32 v10, v35
	ds_load_b128 v[0:3], v42
	v_add_co_u32 v4, vcc_lo, v30, s46
	s_wait_alu 0xfffd
	v_add_co_ci_u32_e64 v5, null, s47, v31, vcc_lo
	v_add_co_u32 v6, vcc_lo, v30, s80
	s_wait_alu 0xfffd
	v_add_co_ci_u32_e64 v7, null, s81, v31, vcc_lo
	;; [unrolled: 3-line block ×3, first 2 shown]
	s_wait_loadcnt_dscnt 0x301
	v_mul_f32_e32 v12, v62, v10
	s_wait_loadcnt 0x2
	v_mul_f32_e32 v13, v60, v10
	s_wait_loadcnt 0x1
	v_mul_f32_e32 v14, v59, v10
	s_wait_loadcnt 0x0
	v_mul_f32_e32 v15, v61, v10
	v_add_co_u32 v10, vcc_lo, v30, s62
	s_wait_alu 0xfffd
	v_add_co_ci_u32_e64 v11, null, s63, v31, vcc_lo
	ds_store_2addr_b32 v43, v12, v13 offset1:67
	ds_store_2addr_b32 v43, v14, v15 offset0:134 offset1:201
	s_wait_dscnt 0x0
	s_barrier_signal -1
	s_barrier_wait -1
	global_inv scope:SCOPE_SE
	ds_load_2addr_b32 v[75:76], v53 offset1:1
	ds_load_2addr_b32 v[77:78], v53 offset0:2 offset1:3
	s_wait_loadcnt_dscnt 0x0
	s_barrier_signal -1
	s_barrier_wait -1
	global_inv scope:SCOPE_SE
	s_clause 0x3
	flat_load_b32 v66, v[4:5]
	flat_load_b32 v64, v[6:7]
	;; [unrolled: 1-line block ×4, first 2 shown]
	ds_load_b32 v14, v35
	ds_load_b128 v[4:7], v42 offset:64
	v_add_co_u32 v8, vcc_lo, v30, s64
	s_wait_alu 0xfffd
	v_add_co_ci_u32_e64 v9, null, s65, v31, vcc_lo
	v_add_co_u32 v10, vcc_lo, v30, s78
	s_wait_alu 0xfffd
	v_add_co_ci_u32_e64 v11, null, s79, v31, vcc_lo
	;; [unrolled: 3-line block ×3, first 2 shown]
	s_wait_loadcnt_dscnt 0x301
	v_mul_f32_e32 v16, v66, v14
	s_wait_loadcnt 0x2
	v_mul_f32_e32 v67, v64, v14
	s_wait_loadcnt 0x1
	;; [unrolled: 2-line block ×3, first 2 shown]
	v_mul_f32_e32 v69, v65, v14
	v_add_co_u32 v14, vcc_lo, v30, s68
	s_wait_alu 0xfffd
	v_add_co_ci_u32_e64 v15, null, s69, v31, vcc_lo
	ds_store_2addr_b32 v43, v16, v67 offset1:67
	ds_store_2addr_b32 v43, v68, v69 offset0:134 offset1:201
	s_wait_dscnt 0x0
	s_barrier_signal -1
	s_barrier_wait -1
	global_inv scope:SCOPE_SE
	ds_load_2addr_b32 v[79:80], v53 offset1:1
	ds_load_2addr_b32 v[81:82], v53 offset0:2 offset1:3
	s_wait_loadcnt_dscnt 0x0
	s_barrier_signal -1
	s_barrier_wait -1
	global_inv scope:SCOPE_SE
	s_clause 0x3
	flat_load_b32 v70, v[8:9]
	flat_load_b32 v68, v[10:11]
	;; [unrolled: 1-line block ×4, first 2 shown]
	ds_load_b32 v16, v35
	ds_load_b128 v[8:11], v42 offset:128
	v_add_co_u32 v12, vcc_lo, v30, s70
	s_wait_alu 0xfffd
	v_add_co_ci_u32_e64 v13, null, s71, v31, vcc_lo
	v_add_co_u32 v14, vcc_lo, v30, s76
	s_wait_alu 0xfffd
	v_add_co_ci_u32_e64 v15, null, s77, v31, vcc_lo
	;; [unrolled: 3-line block ×4, first 2 shown]
	s_wait_loadcnt_dscnt 0x301
	v_mul_f32_e32 v73, v70, v16
	s_wait_loadcnt 0x2
	v_mul_f32_e32 v74, v68, v16
	s_wait_loadcnt 0x1
	v_mul_f32_e32 v85, v67, v16
	s_wait_loadcnt 0x0
	v_mul_f32_e32 v16, v69, v16
	ds_store_2addr_b32 v43, v73, v74 offset1:67
	ds_store_2addr_b32 v43, v85, v16 offset0:134 offset1:201
	s_wait_dscnt 0x0
	s_barrier_signal -1
	s_barrier_wait -1
	global_inv scope:SCOPE_SE
	ds_load_2addr_b32 v[85:86], v53 offset1:1
	ds_load_2addr_b32 v[87:88], v53 offset0:2 offset1:3
	s_wait_loadcnt_dscnt 0x0
	s_barrier_signal -1
	s_barrier_wait -1
	global_inv scope:SCOPE_SE
	s_clause 0x3
	flat_load_b32 v74, v[12:13]
	flat_load_b32 v73, v[14:15]
	;; [unrolled: 1-line block ×4, first 2 shown]
	ds_load_b32 v16, v35
	ds_load_b128 v[12:15], v42 offset:192
	s_wait_loadcnt_dscnt 0x301
	v_mul_f32_e32 v83, v74, v16
	s_wait_loadcnt 0x2
	v_mul_f32_e32 v84, v73, v16
	s_wait_loadcnt 0x1
	;; [unrolled: 2-line block ×3, first 2 shown]
	v_mul_f32_e32 v16, v71, v16
	ds_store_2addr_b32 v43, v83, v84 offset1:67
	ds_store_2addr_b32 v43, v89, v16 offset0:134 offset1:201
	s_wait_dscnt 0x0
	s_barrier_signal -1
	s_barrier_wait -1
	global_inv scope:SCOPE_SE
	ds_load_2addr_b32 v[83:84], v53 offset1:1
	ds_load_2addr_b32 v[89:90], v53 offset0:2 offset1:3
	v_add_f32_e32 v16, 0, v75
	v_add_f32_e32 v75, 0, v79
	;; [unrolled: 1-line block ×3, first 2 shown]
	s_wait_loadcnt_dscnt 0x0
	s_barrier_signal -1
	v_add_f32_e32 v16, v16, v76
	v_add_f32_e32 v75, v75, v80
	;; [unrolled: 1-line block ×3, first 2 shown]
	s_barrier_wait -1
	global_inv scope:SCOPE_SE
	v_add_f32_e32 v16, v16, v77
	v_dual_add_f32 v75, v75, v81 :: v_dual_add_f32 v76, v76, v87
	s_delay_alu instid0(VALU_DEP_2) | instskip(NEXT) | instid1(VALU_DEP_2)
	v_add_f32_e32 v16, v16, v78
	v_dual_add_f32 v75, v75, v82 :: v_dual_add_f32 v76, v76, v88
	v_add_f32_e32 v83, 0, v83
	s_delay_alu instid0(VALU_DEP_1) | instskip(NEXT) | instid1(VALU_DEP_1)
	v_add_f32_e32 v79, v83, v84
	v_add_f32_e32 v77, v79, v89
	s_delay_alu instid0(VALU_DEP_1)
	v_add_f32_e32 v77, v77, v90
	ds_store_2addr_b32 v44, v16, v75 offset1:16
	ds_store_2addr_b32 v44, v76, v77 offset0:32 offset1:48
	s_wait_loadcnt_dscnt 0x0
	s_barrier_signal -1
	s_barrier_wait -1
	global_inv scope:SCOPE_SE
	s_and_saveexec_b32 s29, s18
	s_cbranch_execz .LBB151_68
; %bb.72:                               ;   in Loop: Header=BB151_69 Depth=2
	ds_load_2addr_b32 v[75:76], v45 offset1:1
	ds_load_2addr_b32 v[77:78], v45 offset0:2 offset1:3
	ds_load_2addr_b32 v[79:80], v45 offset0:4 offset1:5
	;; [unrolled: 1-line block ×3, first 2 shown]
	s_wait_dscnt 0x3
	v_add_f32_e32 v16, v75, v76
	ds_load_2addr_b32 v[75:76], v45 offset0:8 offset1:9
	s_wait_dscnt 0x3
	v_add_f32_e32 v16, v16, v77
	s_delay_alu instid0(VALU_DEP_1) | instskip(SKIP_3) | instid1(VALU_DEP_1)
	v_add_f32_e32 v16, v16, v78
	ds_load_2addr_b32 v[77:78], v45 offset0:10 offset1:11
	s_wait_dscnt 0x3
	v_add_f32_e32 v16, v16, v79
	v_add_f32_e32 v16, v16, v80
	s_wait_dscnt 0x2
	s_delay_alu instid0(VALU_DEP_1) | instskip(SKIP_4) | instid1(VALU_DEP_1)
	v_add_f32_e32 v16, v16, v81
	ds_load_2addr_b32 v[79:80], v45 offset0:12 offset1:13
	ds_load_b32 v81, v45 offset:56
	v_add_f32_e32 v16, v16, v82
	s_wait_dscnt 0x3
	v_add_f32_e32 v16, v16, v75
	s_delay_alu instid0(VALU_DEP_1) | instskip(SKIP_1) | instid1(VALU_DEP_1)
	v_add_f32_e32 v16, v16, v76
	s_wait_dscnt 0x2
	v_add_f32_e32 v16, v16, v77
	ds_load_b32 v77, v46
	v_add_f32_e32 v16, v16, v78
	s_wait_dscnt 0x2
	s_delay_alu instid0(VALU_DEP_1) | instskip(NEXT) | instid1(VALU_DEP_1)
	v_add_f32_e32 v16, v16, v79
	v_add_f32_e32 v75, v16, v80
	v_add_nc_u32_e32 v16, s34, v32
	s_wait_dscnt 0x1
	s_delay_alu instid0(VALU_DEP_2) | instskip(NEXT) | instid1(VALU_DEP_2)
	v_add_f32_e32 v78, v75, v81
	v_lshlrev_b64_e32 v[75:76], 2, v[16:17]
	s_wait_dscnt 0x0
	s_delay_alu instid0(VALU_DEP_2) | instskip(SKIP_1) | instid1(VALU_DEP_2)
	v_add_f32_e32 v16, v78, v77
	s_wait_alu 0xfffe
	v_add_co_u32 v75, vcc_lo, s90, v75
	s_wait_alu 0xfffd
	v_add_co_ci_u32_e64 v76, null, s91, v76, vcc_lo
	global_store_b32 v[75:76], v16, off
	s_branch .LBB151_68
.LBB151_73:                             ;   in Loop: Header=BB151_4 Depth=1
	ds_store_b32 v47, v56
	s_wait_loadcnt_dscnt 0x0
	s_barrier_signal -1
	s_barrier_wait -1
	global_inv scope:SCOPE_SE
	s_and_saveexec_b32 s19, s96
	s_cbranch_execz .LBB151_2
; %bb.74:                               ;   in Loop: Header=BB151_4 Depth=1
	ds_load_2addr_b32 v[0:1], v33 offset1:67
	ds_load_2addr_b32 v[2:3], v33 offset0:134 offset1:201
	s_wait_dscnt 0x1
	v_add_f32_e32 v0, v0, v1
	s_wait_dscnt 0x0
	s_delay_alu instid0(VALU_DEP_1) | instskip(NEXT) | instid1(VALU_DEP_1)
	v_add_f32_e32 v0, v0, v2
	v_add_f32_e32 v2, v0, v3
	s_wait_alu 0xfffe
	v_add_co_u32 v0, vcc_lo, s90, v28
	s_wait_alu 0xfffd
	v_add_co_ci_u32_e64 v1, null, s91, v29, vcc_lo
	global_store_b32 v[0:1], v2, off
	s_branch .LBB151_2
.LBB151_75:                             ;   in Loop: Header=BB151_4 Depth=1
	ds_load_b32 v2, v50
	s_wait_dscnt 0x0
	ds_store_b32 v37, v2
	s_wait_alu 0xfffe
	s_or_b32 exec_lo, exec_lo, s19
	s_and_saveexec_b32 s19, s7
	s_cbranch_execz .LBB151_26
.LBB151_76:                             ;   in Loop: Header=BB151_4 Depth=1
	ds_load_b32 v2, v51
	s_wait_dscnt 0x0
	ds_store_b32 v37, v2 offset:4
	s_wait_alu 0xfffe
	s_or_b32 exec_lo, exec_lo, s19
	s_and_saveexec_b32 s19, s8
	s_cbranch_execz .LBB151_27
.LBB151_77:                             ;   in Loop: Header=BB151_4 Depth=1
	ds_load_b32 v2, v51 offset:132
	s_wait_dscnt 0x0
	ds_store_b32 v37, v2 offset:8
	s_wait_alu 0xfffe
	s_or_b32 exec_lo, exec_lo, s19
	s_and_saveexec_b32 s19, s9
	s_cbranch_execnz .LBB151_28
	s_branch .LBB151_29
.LBB151_78:                             ;   in Loop: Header=BB151_4 Depth=1
	ds_load_b32 v0, v50
	s_wait_dscnt 0x0
	ds_store_b32 v37, v0
	s_wait_alu 0xfffe
	s_or_b32 exec_lo, exec_lo, s19
	s_and_saveexec_b32 s19, s7
	s_cbranch_execz .LBB151_45
.LBB151_79:                             ;   in Loop: Header=BB151_4 Depth=1
	ds_load_b32 v0, v51
	s_wait_dscnt 0x0
	ds_store_b32 v37, v0 offset:4
	s_wait_alu 0xfffe
	s_or_b32 exec_lo, exec_lo, s19
	s_and_saveexec_b32 s19, s8
	s_cbranch_execz .LBB151_46
.LBB151_80:                             ;   in Loop: Header=BB151_4 Depth=1
	ds_load_b32 v0, v51 offset:132
	s_wait_dscnt 0x0
	ds_store_b32 v37, v0 offset:8
	s_wait_alu 0xfffe
	s_or_b32 exec_lo, exec_lo, s19
	s_and_saveexec_b32 s19, s9
	s_cbranch_execnz .LBB151_47
	s_branch .LBB151_48
.LBB151_81:
	s_endpgm
	.section	.rodata,"a",@progbits
	.p2align	6, 0x0
	.amdhsa_kernel _ZL26rocblas_hemvn_kernel_lowerILb0ELi64ELi4ELi33ELi32ELi16ElfPKPKfPfEviT6_lT7_lT5_lS6_lS7_lS5_lT8_i
		.amdhsa_group_segment_fixed_size 4800
		.amdhsa_private_segment_fixed_size 0
		.amdhsa_kernarg_size 368
		.amdhsa_user_sgpr_count 2
		.amdhsa_user_sgpr_dispatch_ptr 0
		.amdhsa_user_sgpr_queue_ptr 0
		.amdhsa_user_sgpr_kernarg_segment_ptr 1
		.amdhsa_user_sgpr_dispatch_id 0
		.amdhsa_user_sgpr_private_segment_size 0
		.amdhsa_wavefront_size32 1
		.amdhsa_uses_dynamic_stack 0
		.amdhsa_enable_private_segment 0
		.amdhsa_system_sgpr_workgroup_id_x 1
		.amdhsa_system_sgpr_workgroup_id_y 0
		.amdhsa_system_sgpr_workgroup_id_z 1
		.amdhsa_system_sgpr_workgroup_info 0
		.amdhsa_system_vgpr_workitem_id 1
		.amdhsa_next_free_vgpr 91
		.amdhsa_next_free_sgpr 100
		.amdhsa_reserve_vcc 1
		.amdhsa_float_round_mode_32 0
		.amdhsa_float_round_mode_16_64 0
		.amdhsa_float_denorm_mode_32 3
		.amdhsa_float_denorm_mode_16_64 3
		.amdhsa_fp16_overflow 0
		.amdhsa_workgroup_processor_mode 1
		.amdhsa_memory_ordered 1
		.amdhsa_forward_progress 1
		.amdhsa_inst_pref_size 54
		.amdhsa_round_robin_scheduling 0
		.amdhsa_exception_fp_ieee_invalid_op 0
		.amdhsa_exception_fp_denorm_src 0
		.amdhsa_exception_fp_ieee_div_zero 0
		.amdhsa_exception_fp_ieee_overflow 0
		.amdhsa_exception_fp_ieee_underflow 0
		.amdhsa_exception_fp_ieee_inexact 0
		.amdhsa_exception_int_div_zero 0
	.end_amdhsa_kernel
	.section	.text._ZL26rocblas_hemvn_kernel_lowerILb0ELi64ELi4ELi33ELi32ELi16ElfPKPKfPfEviT6_lT7_lT5_lS6_lS7_lS5_lT8_i,"axG",@progbits,_ZL26rocblas_hemvn_kernel_lowerILb0ELi64ELi4ELi33ELi32ELi16ElfPKPKfPfEviT6_lT7_lT5_lS6_lS7_lS5_lT8_i,comdat
.Lfunc_end151:
	.size	_ZL26rocblas_hemvn_kernel_lowerILb0ELi64ELi4ELi33ELi32ELi16ElfPKPKfPfEviT6_lT7_lT5_lS6_lS7_lS5_lT8_i, .Lfunc_end151-_ZL26rocblas_hemvn_kernel_lowerILb0ELi64ELi4ELi33ELi32ELi16ElfPKPKfPfEviT6_lT7_lT5_lS6_lS7_lS5_lT8_i
                                        ; -- End function
	.set _ZL26rocblas_hemvn_kernel_lowerILb0ELi64ELi4ELi33ELi32ELi16ElfPKPKfPfEviT6_lT7_lT5_lS6_lS7_lS5_lT8_i.num_vgpr, 91
	.set _ZL26rocblas_hemvn_kernel_lowerILb0ELi64ELi4ELi33ELi32ELi16ElfPKPKfPfEviT6_lT7_lT5_lS6_lS7_lS5_lT8_i.num_agpr, 0
	.set _ZL26rocblas_hemvn_kernel_lowerILb0ELi64ELi4ELi33ELi32ELi16ElfPKPKfPfEviT6_lT7_lT5_lS6_lS7_lS5_lT8_i.numbered_sgpr, 100
	.set _ZL26rocblas_hemvn_kernel_lowerILb0ELi64ELi4ELi33ELi32ELi16ElfPKPKfPfEviT6_lT7_lT5_lS6_lS7_lS5_lT8_i.num_named_barrier, 0
	.set _ZL26rocblas_hemvn_kernel_lowerILb0ELi64ELi4ELi33ELi32ELi16ElfPKPKfPfEviT6_lT7_lT5_lS6_lS7_lS5_lT8_i.private_seg_size, 0
	.set _ZL26rocblas_hemvn_kernel_lowerILb0ELi64ELi4ELi33ELi32ELi16ElfPKPKfPfEviT6_lT7_lT5_lS6_lS7_lS5_lT8_i.uses_vcc, 1
	.set _ZL26rocblas_hemvn_kernel_lowerILb0ELi64ELi4ELi33ELi32ELi16ElfPKPKfPfEviT6_lT7_lT5_lS6_lS7_lS5_lT8_i.uses_flat_scratch, 1
	.set _ZL26rocblas_hemvn_kernel_lowerILb0ELi64ELi4ELi33ELi32ELi16ElfPKPKfPfEviT6_lT7_lT5_lS6_lS7_lS5_lT8_i.has_dyn_sized_stack, 0
	.set _ZL26rocblas_hemvn_kernel_lowerILb0ELi64ELi4ELi33ELi32ELi16ElfPKPKfPfEviT6_lT7_lT5_lS6_lS7_lS5_lT8_i.has_recursion, 0
	.set _ZL26rocblas_hemvn_kernel_lowerILb0ELi64ELi4ELi33ELi32ELi16ElfPKPKfPfEviT6_lT7_lT5_lS6_lS7_lS5_lT8_i.has_indirect_call, 0
	.section	.AMDGPU.csdata,"",@progbits
; Kernel info:
; codeLenInByte = 6884
; TotalNumSgprs: 102
; NumVgprs: 91
; ScratchSize: 0
; MemoryBound: 0
; FloatMode: 240
; IeeeMode: 1
; LDSByteSize: 4800 bytes/workgroup (compile time only)
; SGPRBlocks: 0
; VGPRBlocks: 11
; NumSGPRsForWavesPerEU: 102
; NumVGPRsForWavesPerEU: 91
; Occupancy: 16
; WaveLimiterHint : 1
; COMPUTE_PGM_RSRC2:SCRATCH_EN: 0
; COMPUTE_PGM_RSRC2:USER_SGPR: 2
; COMPUTE_PGM_RSRC2:TRAP_HANDLER: 0
; COMPUTE_PGM_RSRC2:TGID_X_EN: 1
; COMPUTE_PGM_RSRC2:TGID_Y_EN: 0
; COMPUTE_PGM_RSRC2:TGID_Z_EN: 1
; COMPUTE_PGM_RSRC2:TIDIG_COMP_CNT: 1
	.section	.text._ZL36rocblas_hemvn_kernel_lower_block_sumILi64ElfPKPffEviT1_lS3_lT2_lT0_lPT3_i,"axG",@progbits,_ZL36rocblas_hemvn_kernel_lower_block_sumILi64ElfPKPffEviT1_lS3_lT2_lT0_lPT3_i,comdat
	.globl	_ZL36rocblas_hemvn_kernel_lower_block_sumILi64ElfPKPffEviT1_lS3_lT2_lT0_lPT3_i ; -- Begin function _ZL36rocblas_hemvn_kernel_lower_block_sumILi64ElfPKPffEviT1_lS3_lT2_lT0_lPT3_i
	.p2align	8
	.type	_ZL36rocblas_hemvn_kernel_lower_block_sumILi64ElfPKPffEviT1_lS3_lT2_lT0_lPT3_i,@function
_ZL36rocblas_hemvn_kernel_lower_block_sumILi64ElfPKPffEviT1_lS3_lT2_lT0_lPT3_i: ; @_ZL36rocblas_hemvn_kernel_lower_block_sumILi64ElfPKPffEviT1_lS3_lT2_lT0_lPT3_i
; %bb.0:
	s_load_b32 s3, s[0:1], 0x48
	s_lshr_b32 s8, ttmp7, 16
	s_wait_kmcnt 0x0
	s_cmp_ge_u32 s8, s3
	s_cbranch_scc1 .LBB152_25
; %bb.1:
	s_clause 0x4
	s_load_b64 s[10:11], s[0:1], 0x0
	s_load_b32 s18, s[0:1], 0x10
	s_load_b128 s[4:7], s[0:1], 0x28
	s_load_b64 s[12:13], s[0:1], 0x20
	s_load_b64 s[14:15], s[0:1], 0x40
	s_add_nc_u64 s[0:1], s[0:1], 0x50
	s_wait_kmcnt 0x0
	s_cmp_eq_f32 s11, 0
	s_cselect_b32 s19, -1, 0
	s_cmp_neq_f32 s11, 0
	s_cselect_b32 s2, -1, 0
	s_cmp_neq_f32 s18, 1.0
	s_cselect_b32 s9, -1, 0
	s_lshl_b32 s16, ttmp9, 6
	s_or_b32 s20, s2, s9
	v_or_b32_e32 v0, s16, v0
	s_cmp_neq_f32 s18, 0
	s_mov_b32 s9, 0
	s_delay_alu instid0(VALU_DEP_1)
	v_mad_co_u64_u32 v[1:2], null, s10, ttmp9, v[0:1]
	s_cselect_b32 s21, -1, 0
	s_cmp_eq_f32 s18, 0
	v_mul_lo_u32 v5, s7, v0
	v_mad_co_u64_u32 v[3:4], null, s6, v0, 0
	s_cselect_b32 s22, -1, 0
	v_ashrrev_i32_e32 v2, 31, v1
	s_ashr_i32 s2, s16, 31
	s_mov_b32 s16, s10
	s_mul_i32 s2, s6, s2
	s_ashr_i32 s17, s10, 31
	v_add3_u32 v4, v4, s2, v5
	v_lshlrev_b64_e32 v[5:6], 2, v[1:2]
	v_cmp_gt_i32_e64 s2, s10, v0
	s_wait_alu 0xfffe
	s_lshl_b64 s[6:7], s[16:17], 2
	s_lshl_b64 s[4:5], s[4:5], 2
	v_lshlrev_b64_e32 v[0:1], 2, v[3:4]
	v_add_co_u32 v2, vcc_lo, s14, v5
	s_delay_alu instid0(VALU_DEP_1)
	v_add_co_ci_u32_e64 v3, null, s15, v6, vcc_lo
	s_branch .LBB152_4
.LBB152_2:                              ;   in Loop: Header=BB152_4 Depth=1
	s_wait_alu 0xfffe
	s_or_b32 exec_lo, exec_lo, s16
.LBB152_3:                              ;   in Loop: Header=BB152_4 Depth=1
	s_add_co_i32 s8, s8, 0x10000
	s_wait_alu 0xfffe
	s_cmp_lt_u32 s8, s3
	s_cbranch_scc0 .LBB152_25
.LBB152_4:                              ; =>This Loop Header: Depth=1
                                        ;     Child Loop BB152_16 Depth 2
	s_and_not1_b32 vcc_lo, exec_lo, s20
	s_wait_alu 0xfffe
	s_cbranch_vccnz .LBB152_3
; %bb.5:                                ;   in Loop: Header=BB152_4 Depth=1
	s_lshl_b64 s[14:15], s[8:9], 3
	s_and_not1_b32 vcc_lo, exec_lo, s19
	s_wait_alu 0xfffe
	s_add_nc_u64 s[14:15], s[12:13], s[14:15]
	s_load_b64 s[14:15], s[14:15], 0x0
	s_wait_kmcnt 0x0
	s_add_nc_u64 s[14:15], s[14:15], s[4:5]
	s_cbranch_vccnz .LBB152_9
; %bb.6:                                ;   in Loop: Header=BB152_4 Depth=1
	s_mov_b32 s16, 0
	s_mov_b32 s10, 0
                                        ; implicit-def: $vgpr4
	s_and_saveexec_b32 s17, s2
	s_cbranch_execz .LBB152_10
; %bb.7:                                ;   in Loop: Header=BB152_4 Depth=1
	s_and_not1_b32 vcc_lo, exec_lo, s21
	s_wait_alu 0xfffe
	s_cbranch_vccnz .LBB152_11
; %bb.8:                                ;   in Loop: Header=BB152_4 Depth=1
	v_add_co_u32 v4, vcc_lo, s14, v0
	s_wait_alu 0xfffd
	v_add_co_ci_u32_e64 v5, null, s15, v1, vcc_lo
	flat_load_b32 v4, v[4:5]
	s_wait_loadcnt_dscnt 0x0
	v_mul_f32_e32 v4, s18, v4
	s_branch .LBB152_12
.LBB152_9:                              ;   in Loop: Header=BB152_4 Depth=1
	s_mov_b32 s10, 0
                                        ; implicit-def: $vgpr4
	s_cbranch_execnz .LBB152_13
	s_branch .LBB152_23
.LBB152_10:                             ;   in Loop: Header=BB152_4 Depth=1
	s_wait_alu 0xfffe
	s_or_b32 exec_lo, exec_lo, s17
	s_delay_alu instid0(SALU_CYCLE_1)
	s_and_b32 vcc_lo, exec_lo, s16
	s_wait_alu 0xfffe
	s_cbranch_vccnz .LBB152_13
	s_branch .LBB152_23
.LBB152_11:                             ;   in Loop: Header=BB152_4 Depth=1
	v_mov_b32_e32 v4, 0
.LBB152_12:                             ;   in Loop: Header=BB152_4 Depth=1
	s_mov_b32 s10, exec_lo
	s_or_b32 exec_lo, exec_lo, s17
	s_delay_alu instid0(SALU_CYCLE_1)
	s_and_b32 vcc_lo, exec_lo, s16
	s_wait_alu 0xfffe
	s_cbranch_vccz .LBB152_23
.LBB152_13:                             ;   in Loop: Header=BB152_4 Depth=1
                                        ; implicit-def: $vgpr4
	s_and_saveexec_b32 s23, s2
	s_cbranch_execz .LBB152_22
; %bb.14:                               ;   in Loop: Header=BB152_4 Depth=1
	s_load_b32 s16, s[0:1], 0x0
	v_mov_b32_e32 v6, 0
	s_wait_kmcnt 0x0
	s_cmp_ge_i32 ttmp9, s16
	s_cbranch_scc1 .LBB152_17
; %bb.15:                               ;   in Loop: Header=BB152_4 Depth=1
	s_mov_b32 s17, s9
	s_mov_b32 s24, ttmp9
	s_wait_alu 0xfffe
	s_mul_u64 s[26:27], s[6:7], s[16:17]
	s_wait_alu 0xfffe
	v_mad_co_u64_u32 v[4:5], null, s26, s8, v[2:3]
	s_delay_alu instid0(VALU_DEP_1)
	v_mad_co_u64_u32 v[5:6], null, s27, s8, v[5:6]
	v_mov_b32_e32 v6, 0
.LBB152_16:                             ;   Parent Loop BB152_4 Depth=1
                                        ; =>  This Inner Loop Header: Depth=2
	global_load_b32 v7, v[4:5], off
	v_add_co_u32 v4, vcc_lo, v4, s6
	s_wait_alu 0xfffd
	v_add_co_ci_u32_e64 v5, null, s7, v5, vcc_lo
	s_add_co_i32 s24, s24, 1
	s_delay_alu instid0(SALU_CYCLE_1)
	s_cmp_ge_i32 s24, s16
	s_wait_loadcnt 0x0
	v_add_f32_e32 v6, v6, v7
	s_cbranch_scc0 .LBB152_16
.LBB152_17:                             ;   in Loop: Header=BB152_4 Depth=1
	s_and_b32 vcc_lo, exec_lo, s22
	s_mov_b32 s16, -1
                                        ; implicit-def: $vgpr4
	s_wait_alu 0xfffe
	s_cbranch_vccz .LBB152_19
; %bb.18:                               ;   in Loop: Header=BB152_4 Depth=1
	v_mul_f32_e32 v4, s11, v6
	s_mov_b32 s16, 0
.LBB152_19:                             ;   in Loop: Header=BB152_4 Depth=1
	s_wait_alu 0xfffe
	s_and_not1_b32 vcc_lo, exec_lo, s16
	s_wait_alu 0xfffe
	s_cbranch_vccnz .LBB152_21
; %bb.20:                               ;   in Loop: Header=BB152_4 Depth=1
	v_add_co_u32 v4, vcc_lo, s14, v0
	s_wait_alu 0xfffd
	v_add_co_ci_u32_e64 v5, null, s15, v1, vcc_lo
	flat_load_b32 v4, v[4:5]
	s_wait_loadcnt_dscnt 0x0
	v_mul_f32_e32 v4, s18, v4
	s_delay_alu instid0(VALU_DEP_1)
	v_fmac_f32_e32 v4, s11, v6
.LBB152_21:                             ;   in Loop: Header=BB152_4 Depth=1
	s_or_b32 s10, s10, exec_lo
.LBB152_22:                             ;   in Loop: Header=BB152_4 Depth=1
	s_or_b32 exec_lo, exec_lo, s23
.LBB152_23:                             ;   in Loop: Header=BB152_4 Depth=1
	s_wait_alu 0xfffe
	s_and_saveexec_b32 s16, s10
	s_cbranch_execz .LBB152_2
; %bb.24:                               ;   in Loop: Header=BB152_4 Depth=1
	v_add_co_u32 v5, vcc_lo, s14, v0
	s_wait_alu 0xfffd
	v_add_co_ci_u32_e64 v6, null, s15, v1, vcc_lo
	flat_store_b32 v[5:6], v4
	s_branch .LBB152_2
.LBB152_25:
	s_endpgm
	.section	.rodata,"a",@progbits
	.p2align	6, 0x0
	.amdhsa_kernel _ZL36rocblas_hemvn_kernel_lower_block_sumILi64ElfPKPffEviT1_lS3_lT2_lT0_lPT3_i
		.amdhsa_group_segment_fixed_size 0
		.amdhsa_private_segment_fixed_size 0
		.amdhsa_kernarg_size 336
		.amdhsa_user_sgpr_count 2
		.amdhsa_user_sgpr_dispatch_ptr 0
		.amdhsa_user_sgpr_queue_ptr 0
		.amdhsa_user_sgpr_kernarg_segment_ptr 1
		.amdhsa_user_sgpr_dispatch_id 0
		.amdhsa_user_sgpr_private_segment_size 0
		.amdhsa_wavefront_size32 1
		.amdhsa_uses_dynamic_stack 0
		.amdhsa_enable_private_segment 0
		.amdhsa_system_sgpr_workgroup_id_x 1
		.amdhsa_system_sgpr_workgroup_id_y 0
		.amdhsa_system_sgpr_workgroup_id_z 1
		.amdhsa_system_sgpr_workgroup_info 0
		.amdhsa_system_vgpr_workitem_id 0
		.amdhsa_next_free_vgpr 8
		.amdhsa_next_free_sgpr 28
		.amdhsa_reserve_vcc 1
		.amdhsa_float_round_mode_32 0
		.amdhsa_float_round_mode_16_64 0
		.amdhsa_float_denorm_mode_32 3
		.amdhsa_float_denorm_mode_16_64 3
		.amdhsa_fp16_overflow 0
		.amdhsa_workgroup_processor_mode 1
		.amdhsa_memory_ordered 1
		.amdhsa_forward_progress 1
		.amdhsa_inst_pref_size 6
		.amdhsa_round_robin_scheduling 0
		.amdhsa_exception_fp_ieee_invalid_op 0
		.amdhsa_exception_fp_denorm_src 0
		.amdhsa_exception_fp_ieee_div_zero 0
		.amdhsa_exception_fp_ieee_overflow 0
		.amdhsa_exception_fp_ieee_underflow 0
		.amdhsa_exception_fp_ieee_inexact 0
		.amdhsa_exception_int_div_zero 0
	.end_amdhsa_kernel
	.section	.text._ZL36rocblas_hemvn_kernel_lower_block_sumILi64ElfPKPffEviT1_lS3_lT2_lT0_lPT3_i,"axG",@progbits,_ZL36rocblas_hemvn_kernel_lower_block_sumILi64ElfPKPffEviT1_lS3_lT2_lT0_lPT3_i,comdat
.Lfunc_end152:
	.size	_ZL36rocblas_hemvn_kernel_lower_block_sumILi64ElfPKPffEviT1_lS3_lT2_lT0_lPT3_i, .Lfunc_end152-_ZL36rocblas_hemvn_kernel_lower_block_sumILi64ElfPKPffEviT1_lS3_lT2_lT0_lPT3_i
                                        ; -- End function
	.set _ZL36rocblas_hemvn_kernel_lower_block_sumILi64ElfPKPffEviT1_lS3_lT2_lT0_lPT3_i.num_vgpr, 8
	.set _ZL36rocblas_hemvn_kernel_lower_block_sumILi64ElfPKPffEviT1_lS3_lT2_lT0_lPT3_i.num_agpr, 0
	.set _ZL36rocblas_hemvn_kernel_lower_block_sumILi64ElfPKPffEviT1_lS3_lT2_lT0_lPT3_i.numbered_sgpr, 28
	.set _ZL36rocblas_hemvn_kernel_lower_block_sumILi64ElfPKPffEviT1_lS3_lT2_lT0_lPT3_i.num_named_barrier, 0
	.set _ZL36rocblas_hemvn_kernel_lower_block_sumILi64ElfPKPffEviT1_lS3_lT2_lT0_lPT3_i.private_seg_size, 0
	.set _ZL36rocblas_hemvn_kernel_lower_block_sumILi64ElfPKPffEviT1_lS3_lT2_lT0_lPT3_i.uses_vcc, 1
	.set _ZL36rocblas_hemvn_kernel_lower_block_sumILi64ElfPKPffEviT1_lS3_lT2_lT0_lPT3_i.uses_flat_scratch, 0
	.set _ZL36rocblas_hemvn_kernel_lower_block_sumILi64ElfPKPffEviT1_lS3_lT2_lT0_lPT3_i.has_dyn_sized_stack, 0
	.set _ZL36rocblas_hemvn_kernel_lower_block_sumILi64ElfPKPffEviT1_lS3_lT2_lT0_lPT3_i.has_recursion, 0
	.set _ZL36rocblas_hemvn_kernel_lower_block_sumILi64ElfPKPffEviT1_lS3_lT2_lT0_lPT3_i.has_indirect_call, 0
	.section	.AMDGPU.csdata,"",@progbits
; Kernel info:
; codeLenInByte = 740
; TotalNumSgprs: 30
; NumVgprs: 8
; ScratchSize: 0
; MemoryBound: 0
; FloatMode: 240
; IeeeMode: 1
; LDSByteSize: 0 bytes/workgroup (compile time only)
; SGPRBlocks: 0
; VGPRBlocks: 0
; NumSGPRsForWavesPerEU: 30
; NumVGPRsForWavesPerEU: 8
; Occupancy: 16
; WaveLimiterHint : 1
; COMPUTE_PGM_RSRC2:SCRATCH_EN: 0
; COMPUTE_PGM_RSRC2:USER_SGPR: 2
; COMPUTE_PGM_RSRC2:TRAP_HANDLER: 0
; COMPUTE_PGM_RSRC2:TGID_X_EN: 1
; COMPUTE_PGM_RSRC2:TGID_Y_EN: 0
; COMPUTE_PGM_RSRC2:TGID_Z_EN: 1
; COMPUTE_PGM_RSRC2:TIDIG_COMP_CNT: 0
	.section	.text._ZL26rocblas_hemvn_kernel_lowerILb0ELi64ELi4ELi33ELi32ELi16EifPKPKfPfEviT6_lT7_lT5_lS6_lS7_lS5_lT8_i,"axG",@progbits,_ZL26rocblas_hemvn_kernel_lowerILb0ELi64ELi4ELi33ELi32ELi16EifPKPKfPfEviT6_lT7_lT5_lS6_lS7_lS5_lT8_i,comdat
	.globl	_ZL26rocblas_hemvn_kernel_lowerILb0ELi64ELi4ELi33ELi32ELi16EifPKPKfPfEviT6_lT7_lT5_lS6_lS7_lS5_lT8_i ; -- Begin function _ZL26rocblas_hemvn_kernel_lowerILb0ELi64ELi4ELi33ELi32ELi16EifPKPKfPfEviT6_lT7_lT5_lS6_lS7_lS5_lT8_i
	.p2align	8
	.type	_ZL26rocblas_hemvn_kernel_lowerILb0ELi64ELi4ELi33ELi32ELi16EifPKPKfPfEviT6_lT7_lT5_lS6_lS7_lS5_lT8_i,@function
_ZL26rocblas_hemvn_kernel_lowerILb0ELi64ELi4ELi33ELi32ELi16EifPKPKfPfEviT6_lT7_lT5_lS6_lS7_lS5_lT8_i: ; @_ZL26rocblas_hemvn_kernel_lowerILb0ELi64ELi4ELi33ELi32ELi16EifPKPKfPfEviT6_lT7_lT5_lS6_lS7_lS5_lT8_i
; %bb.0:
	s_clause 0x1
	s_load_b64 s[2:3], s[0:1], 0x7c
	s_load_b32 s33, s[0:1], 0x68
	s_lshr_b32 s28, ttmp7, 16
	s_wait_kmcnt 0x0
	s_lshr_b32 s4, s2, 16
	s_and_b32 s2, s2, 0xffff
	s_and_b32 s3, s3, 0xffff
	s_mul_i32 s2, s4, s2
	s_delay_alu instid0(SALU_CYCLE_1) | instskip(NEXT) | instid1(SALU_CYCLE_1)
	s_mul_i32 s2, s2, s3
	s_cmp_lg_u32 s2, 0x100
	s_cselect_b32 s2, -1, 0
	s_cmp_ge_u32 s28, s33
	s_cselect_b32 s3, -1, 0
	s_delay_alu instid0(SALU_CYCLE_1) | instskip(NEXT) | instid1(SALU_CYCLE_1)
	s_or_b32 s2, s2, s3
	s_and_b32 vcc_lo, exec_lo, s2
	s_cbranch_vccnz .LBB153_81
; %bb.1:
	s_clause 0x4
	s_load_b32 s78, s[0:1], 0x20
	s_load_b64 s[6:7], s[0:1], 0x0
	s_load_b128 s[20:23], s[0:1], 0x30
	s_load_b32 s18, s[0:1], 0x40
	s_load_b32 s10, s[0:1], 0x50
	s_add_nc_u64 s[4:5], s[0:1], 0x70
	s_clause 0x1
	s_load_b128 s[24:27], s[0:1], 0x10
	s_load_b64 s[2:3], s[0:1], 0x60
	s_load_b32 s8, s[4:5], 0x0
	v_dual_mov_b32 v17, 0 :: v_dual_and_b32 v34, 0x3ff, v0
	v_bfe_u32 v5, v0, 10, 10
	v_and_b32_e32 v1, 31, v0
	s_mov_b32 s29, 0
	s_delay_alu instid0(VALU_DEP_3)
	v_lshlrev_b32_e32 v35, 2, v34
	s_mov_b32 s9, s29
	v_lshl_add_u32 v16, v5, 6, v34
	v_mul_u32_u24_e32 v21, 33, v1
	v_lshlrev_b32_e32 v24, 2, v1
	v_mad_u32_u24 v45, 0x430, v5, v35
	v_cmp_eq_u32_e64 s0, 0, v5
	s_wait_kmcnt 0x0
	s_ashr_i32 s79, s78, 31
	s_cmp_eq_f32 s7, 0
	v_lshrrev_b32_e32 v10, 5, v16
	s_mul_i32 s4, s6, ttmp9
	v_lshl_or_b32 v38, v1, 7, v24
	s_cselect_b32 s96, -1, 0
	s_cmp_neq_f32 s7, 0
	v_lshlrev_b32_e32 v18, 2, v10
	v_mad_co_u64_u32 v[2:3], null, s78, v10, v[1:2]
	s_cselect_b32 s1, -1, 0
	s_cmp_neq_f32 s10, 1.0
	v_lshl_add_u32 v41, v21, 2, v18
	v_mul_u32_u24_e32 v22, 0x84, v10
	v_add_nc_u32_e32 v11, 8, v10
	s_cselect_b32 s5, -1, 0
	s_ashr_i32 s7, s6, 31
	s_add_co_i32 s11, s8, -1
	s_lshr_b32 s10, s7, 26
	s_lshl_b32 s80, ttmp9, 6
	s_add_co_i32 s10, s6, s10
	s_or_b32 s97, s1, s5
	s_and_not1_b32 s10, s10, 63
	s_mul_i32 s82, s78, s80
	s_sub_co_i32 s1, s6, s10
	s_cmp_eq_u32 ttmp9, s11
	v_add_nc_u32_e32 v4, s80, v34
	s_cselect_b32 s34, s1, 0
	v_add_nc_u32_e32 v12, 16, v10
	v_cmp_gt_i32_e32 vcc_lo, s34, v34
	s_cmp_eq_u32 s34, 0
	v_add_nc_u32_e32 v13, 24, v10
	s_cselect_b32 s1, -1, 0
	s_ashr_i32 s5, s4, 31
	s_ashr_i32 s81, s80, 31
	s_lshl_b64 s[4:5], s[4:5], 2
	s_or_b32 s98, s1, vcc_lo
	s_ashr_i32 s83, s82, 31
	s_cmp_lg_u32 s34, 0
	s_add_nc_u64 s[36:37], s[2:3], s[4:5]
	s_cselect_b32 s17, -1, 0
	v_sub_co_u32 v8, s2, 0, v1
	s_sub_co_i32 s15, s34, 32
	v_sub_co_ci_u32_e64 v9, null, 0, 0, s2
	v_cmp_gt_i32_e64 s2, s34, v10
	v_lshlrev_b32_e32 v14, 4, v10
	v_mul_u32_u24_e32 v25, 0x210, v10
	v_cmp_gt_i32_e64 s12, s15, v10
	v_cmp_eq_u32_e64 s16, 1, v10
	v_mul_i32_i24_e32 v27, -12, v10
	v_mad_u32_u24 v42, v10, 12, v41
	v_mul_lo_u32 v10, v5, s78
	v_or_b32_e32 v19, 2, v18
	v_or_b32_e32 v20, 3, v18
	v_mul_lo_u32 v6, s18, v4
	v_add_nc_u32_e32 v39, v38, v14
	v_add_nc_u32_e32 v40, 0x11c0, v14
	v_or_b32_e32 v14, 32, v1
	v_cmp_le_i32_e32 vcc_lo, s34, v34
	s_mul_i32 s44, s18, s80
	s_mul_u64 s[30:31], s[8:9], s[6:7]
	v_ashrrev_i32_e32 v3, 31, v2
	v_or_b32_e32 v15, 1, v18
	v_cmp_lt_u32_e64 s8, v19, v1
	v_cmp_lt_u32_e64 s9, v20, v1
	v_and_b32_e32 v19, 15, v0
	v_lshl_add_u32 v10, v10, 2, v34
	v_lshrrev_b32_e32 v20, 2, v16
	v_and_b32_e32 v0, 48, v0
	s_ashr_i32 s45, s44, 31
	v_cmp_gt_i32_e64 s4, s34, v12
	v_cmp_gt_i32_e64 s11, s34, v14
	;; [unrolled: 1-line block ×3, first 2 shown]
	s_and_b32 s17, s17, vcc_lo
	s_sub_nc_u64 s[88:89], 0, s[44:45]
	v_sub_co_u32 v12, vcc_lo, 0, v2
	v_sub_co_u32 v14, s44, 0, v34
	v_ashrrev_i32_e32 v7, 31, v6
	v_cmp_gt_i32_e64 s3, s34, v11
	v_cmp_gt_i32_e64 s5, s34, v13
	v_cmp_lt_u32_e64 s7, v15, v1
	v_mul_u32_u24_e32 v26, 0x84, v15
	v_cmp_gt_i32_e64 s13, s15, v11
	v_cmp_gt_i32_e64 s15, s15, v13
	v_sub_co_ci_u32_e64 v13, null, 0, v3, vcc_lo
	v_ashrrev_i32_e32 v11, 31, v10
	v_sub_co_ci_u32_e64 v15, null, 0, 0, s44
	v_lshl_add_u32 v44, v5, 4, 0x10c0
	v_and_b32_e32 v20, 0x1ffc, v20
	v_mul_u32_u24_e32 v30, 0x10c, v19
	v_lshlrev_b32_e32 v0, 2, v0
	v_or_b32_e32 v21, 60, v35
	v_and_b32_e32 v31, 0x7ff0, v16
	v_mad_i32_i24 v49, 0xfffffcdc, v5, v45
	v_ashrrev_i32_e32 v5, 31, v4
	s_lshl_b32 s38, s78, 3
	s_lshl_b32 s40, s78, 4
	s_mul_i32 s42, s78, 24
	s_lshl_b32 s84, s78, 5
	s_ashr_i32 s39, s38, 31
	s_ashr_i32 s41, s40, 31
	;; [unrolled: 1-line block ×5, first 2 shown]
	s_xor_b32 s19, s17, -1
	s_cmp_gt_i32 ttmp9, 0
	v_cmp_lt_u32_e64 s6, v18, v1
	v_mad_u32_u24 v46, 0x10c, v19, v20
	v_mad_u32_u24 v47, 0x10c, v19, v0
	;; [unrolled: 1-line block ×3, first 2 shown]
	v_add_nc_u32_e32 v50, 0x11c0, v18
	v_lshlrev_b64_e32 v[18:19], 2, v[6:7]
	v_lshlrev_b64_e32 v[20:21], 2, v[2:3]
	v_add_nc_u32_e32 v51, v24, v22
	v_lshlrev_b64_e32 v[22:23], 2, v[8:9]
	v_add_nc_u32_e32 v52, v24, v25
	v_add_nc_u32_e32 v53, v24, v26
	;; [unrolled: 1-line block ×3, first 2 shown]
	v_lshlrev_b64_e32 v[24:25], 2, v[12:13]
	v_lshlrev_b64_e32 v[26:27], 2, v[10:11]
	;; [unrolled: 1-line block ×3, first 2 shown]
	v_add_nc_u32_e32 v55, v30, v31
	v_lshlrev_b64_e32 v[30:31], 2, v[4:5]
	v_add_nc_u32_e32 v36, 0x11c0, v35
	v_cndmask_b32_e64 v37, 0, 1, s1
	v_cmp_gt_i32_e64 s1, s34, v1
	v_cmp_gt_u32_e64 s10, 32, v16
	s_cselect_b32 s99, -1, 0
	s_lshl_b32 s100, s18, 6
	v_add_nc_u32_e32 v43, 0x10c0, v35
	v_cmp_gt_u32_e64 s18, 64, v16
	v_lshlrev_b32_e32 v56, 2, v1
	s_sub_nc_u64 s[86:87], 0, s[84:85]
	s_sub_nc_u64 s[90:91], 0, s[82:83]
	s_wait_alu 0xfffe
	s_and_b32 s101, s0, s19
	s_lshl_b64 s[44:45], s[78:79], 5
	s_sub_nc_u64 s[46:47], 0, s[34:35]
	s_lshl_b64 s[48:49], s[78:79], 2
	s_lshl_b64 s[50:51], s[78:79], 3
	;; [unrolled: 1-line block ×3, first 2 shown]
	s_mul_u64 s[54:55], s[78:79], 12
	s_lshl_b64 s[56:57], s[78:79], 6
	s_mul_u64 s[58:59], s[78:79], 0x48
	s_mul_u64 s[60:61], s[78:79], 0x4c
	s_lshl_b64 s[62:63], s[78:79], 7
	s_mul_u64 s[64:65], s[78:79], 0x88
	s_mul_u64 s[66:67], s[78:79], 0x8c
	s_mul_u64 s[68:69], s[78:79], 0xc0
	s_mul_u64 s[70:71], s[78:79], 0xc8
	s_mul_u64 s[72:73], s[78:79], 0xcc
	s_mul_u64 s[74:75], s[78:79], 0xc4
	s_mul_u64 s[76:77], s[78:79], 0x84
	s_mul_u64 s[78:79], s[78:79], 0x44
	s_lshl_b64 s[22:23], s[22:23], 2
	s_lshl_b64 s[26:27], s[26:27], 2
	;; [unrolled: 1-line block ×8, first 2 shown]
	s_branch .LBB153_4
.LBB153_2:                              ;   in Loop: Header=BB153_4 Depth=1
	s_wait_alu 0xfffe
	s_or_b32 exec_lo, exec_lo, s19
.LBB153_3:                              ;   in Loop: Header=BB153_4 Depth=1
	s_add_co_i32 s28, s28, 0x10000
	s_delay_alu instid0(SALU_CYCLE_1)
	s_cmp_lt_u32 s28, s33
	s_cbranch_scc0 .LBB153_81
.LBB153_4:                              ; =>This Loop Header: Depth=1
                                        ;     Child Loop BB153_69 Depth 2
	s_and_not1_b32 vcc_lo, exec_lo, s97
	s_wait_alu 0xfffe
	s_cbranch_vccnz .LBB153_3
; %bb.5:                                ;   in Loop: Header=BB153_4 Depth=1
	s_and_b32 vcc_lo, exec_lo, s96
	s_wait_alu 0xfffe
	s_cbranch_vccz .LBB153_7
; %bb.6:                                ;   in Loop: Header=BB153_4 Depth=1
	s_cbranch_execnz .LBB153_3
	s_branch .LBB153_8
.LBB153_7:                              ;   in Loop: Header=BB153_4 Depth=1
.LBB153_8:                              ;   in Loop: Header=BB153_4 Depth=1
	s_lshl_b64 s[92:93], s[28:29], 3
	s_wait_alu 0xfffe
	s_add_nc_u64 s[94:95], s[20:21], s[92:93]
	s_add_nc_u64 s[92:93], s[24:25], s[92:93]
	s_clause 0x1
	global_load_b64 v[2:3], v17, s[94:95]
	global_load_b64 v[0:1], v17, s[92:93]
	s_wait_loadcnt 0x1
	v_add_co_u32 v2, vcc_lo, v2, s22
	s_wait_alu 0xfffd
	v_add_co_ci_u32_e64 v3, null, s23, v3, vcc_lo
	s_delay_alu instid0(VALU_DEP_2) | instskip(SKIP_1) | instid1(VALU_DEP_2)
	v_add_co_u32 v4, vcc_lo, v2, v18
	s_wait_alu 0xfffd
	v_add_co_ci_u32_e64 v5, null, v3, v19, vcc_lo
	s_and_saveexec_b32 s19, s0
	s_cbranch_execz .LBB153_12
; %bb.9:                                ;   in Loop: Header=BB153_4 Depth=1
	v_mov_b32_e32 v2, 0
	s_and_saveexec_b32 s92, s98
	s_cbranch_execz .LBB153_11
; %bb.10:                               ;   in Loop: Header=BB153_4 Depth=1
	flat_load_b32 v2, v[4:5]
.LBB153_11:                             ;   in Loop: Header=BB153_4 Depth=1
	s_wait_alu 0xfffe
	s_or_b32 exec_lo, exec_lo, s92
	s_wait_loadcnt_dscnt 0x0
	ds_store_b32 v36, v2
.LBB153_12:                             ;   in Loop: Header=BB153_4 Depth=1
	s_wait_alu 0xfffe
	s_or_b32 exec_lo, exec_lo, s19
	s_wait_loadcnt 0x0
	v_add_co_u32 v0, vcc_lo, v0, s26
	s_wait_alu 0xfffd
	v_add_co_ci_u32_e64 v1, null, s27, v1, vcc_lo
	s_delay_alu instid0(VALU_DEP_2) | instskip(SKIP_1) | instid1(VALU_DEP_2)
	v_add_co_u32 v0, vcc_lo, v0, s80
	s_wait_alu 0xfffd
	v_add_co_ci_u32_e64 v1, null, s81, v1, vcc_lo
	s_delay_alu instid0(VALU_DEP_2) | instskip(SKIP_1) | instid1(VALU_DEP_2)
	v_add_co_u32 v0, vcc_lo, v0, v20
	s_wait_alu 0xfffd
	v_add_co_ci_u32_e64 v1, null, v1, v21, vcc_lo
	v_cmp_ne_u32_e32 vcc_lo, 1, v37
	s_delay_alu instid0(VALU_DEP_3) | instskip(SKIP_1) | instid1(VALU_DEP_3)
	v_add_co_u32 v0, s19, v0, s82
	s_wait_alu 0xf1ff
	v_add_co_ci_u32_e64 v1, null, s83, v1, s19
	s_mov_b32 s19, -1
	s_cbranch_vccnz .LBB153_14
; %bb.13:                               ;   in Loop: Header=BB153_4 Depth=1
	s_lshl_b64 s[92:93], s[38:39], 2
	s_mov_b32 s19, 0
	s_wait_alu 0xfffe
	v_add_co_u32 v2, vcc_lo, v0, s92
	s_wait_alu 0xfffd
	v_add_co_ci_u32_e64 v3, null, s93, v1, vcc_lo
	s_delay_alu instid0(VALU_DEP_2) | instskip(SKIP_1) | instid1(VALU_DEP_2)
	v_add_co_u32 v6, vcc_lo, v2, s44
	s_wait_alu 0xfffd
	v_add_co_ci_u32_e64 v7, null, s45, v3, vcc_lo
	s_delay_alu instid0(VALU_DEP_2) | instskip(SKIP_1) | instid1(VALU_DEP_2)
	v_add_co_u32 v8, vcc_lo, v6, s44
	s_wait_alu 0xfffd
	v_add_co_ci_u32_e64 v9, null, s45, v7, vcc_lo
	s_clause 0x3
	flat_load_b32 v10, v[0:1]
	flat_load_b32 v2, v[2:3]
	;; [unrolled: 1-line block ×4, first 2 shown]
	s_wait_loadcnt_dscnt 0x303
	ds_store_b32 v51, v10
	s_wait_loadcnt_dscnt 0x203
	ds_store_b32 v51, v2 offset:1056
	s_wait_loadcnt_dscnt 0x103
	ds_store_b32 v51, v3 offset:2112
	s_wait_loadcnt_dscnt 0x3
	ds_store_b32 v51, v6 offset:3168
.LBB153_14:                             ;   in Loop: Header=BB153_4 Depth=1
	s_wait_alu 0xfffe
	s_and_not1_b32 vcc_lo, exec_lo, s19
	s_wait_alu 0xfffe
	s_cbranch_vccnz .LBB153_24
; %bb.15:                               ;   in Loop: Header=BB153_4 Depth=1
	v_add_co_u32 v2, vcc_lo, v0, v22
	s_wait_alu 0xfffd
	v_add_co_ci_u32_e64 v3, null, v1, v23, vcc_lo
	s_lshl_b64 s[92:93], s[34:35], 2
	v_dual_mov_b32 v7, 0 :: v_dual_mov_b32 v6, 0
	s_wait_alu 0xfffe
	v_add_co_u32 v2, vcc_lo, v2, s92
	s_wait_alu 0xfffd
	v_add_co_ci_u32_e64 v3, null, s93, v3, vcc_lo
	s_delay_alu instid0(VALU_DEP_2) | instskip(SKIP_1) | instid1(VALU_DEP_2)
	v_add_co_u32 v2, vcc_lo, v2, -4
	s_wait_alu 0xfffd
	v_add_co_ci_u32_e64 v3, null, -1, v3, vcc_lo
	s_delay_alu instid0(VALU_DEP_2) | instskip(NEXT) | instid1(VALU_DEP_2)
	v_cndmask_b32_e64 v2, v2, v0, s1
	v_cndmask_b32_e64 v3, v3, v1, s1
	s_and_saveexec_b32 s19, s2
	s_cbranch_execz .LBB153_17
; %bb.16:                               ;   in Loop: Header=BB153_4 Depth=1
	flat_load_b32 v6, v[2:3]
.LBB153_17:                             ;   in Loop: Header=BB153_4 Depth=1
	s_wait_alu 0xfffe
	s_or_b32 exec_lo, exec_lo, s19
	s_wait_loadcnt_dscnt 0x0
	ds_store_b32 v51, v6
	s_and_saveexec_b32 s19, s3
	s_cbranch_execz .LBB153_19
; %bb.18:                               ;   in Loop: Header=BB153_4 Depth=1
	s_lshl_b64 s[92:93], s[38:39], 2
	s_wait_alu 0xfffe
	v_add_co_u32 v6, vcc_lo, v2, s92
	s_wait_alu 0xfffd
	v_add_co_ci_u32_e64 v7, null, s93, v3, vcc_lo
	flat_load_b32 v7, v[6:7]
.LBB153_19:                             ;   in Loop: Header=BB153_4 Depth=1
	s_wait_alu 0xfffe
	s_or_b32 exec_lo, exec_lo, s19
	v_mov_b32_e32 v6, 0
	v_mov_b32_e32 v8, 0
	s_wait_loadcnt_dscnt 0x0
	ds_store_b32 v51, v7 offset:1056
	s_and_saveexec_b32 s19, s4
	s_cbranch_execz .LBB153_21
; %bb.20:                               ;   in Loop: Header=BB153_4 Depth=1
	s_lshl_b64 s[92:93], s[40:41], 2
	s_wait_alu 0xfffe
	v_add_co_u32 v7, vcc_lo, v2, s92
	s_wait_alu 0xfffd
	v_add_co_ci_u32_e64 v8, null, s93, v3, vcc_lo
	flat_load_b32 v8, v[7:8]
.LBB153_21:                             ;   in Loop: Header=BB153_4 Depth=1
	s_wait_alu 0xfffe
	s_or_b32 exec_lo, exec_lo, s19
	s_wait_loadcnt_dscnt 0x0
	ds_store_b32 v51, v8 offset:2112
	s_and_saveexec_b32 s19, s5
	s_cbranch_execz .LBB153_23
; %bb.22:                               ;   in Loop: Header=BB153_4 Depth=1
	s_lshl_b64 s[92:93], s[42:43], 2
	s_wait_alu 0xfffe
	v_add_co_u32 v6, vcc_lo, v2, s92
	s_wait_alu 0xfffd
	v_add_co_ci_u32_e64 v7, null, s93, v3, vcc_lo
	flat_load_b32 v6, v[6:7]
.LBB153_23:                             ;   in Loop: Header=BB153_4 Depth=1
	s_wait_alu 0xfffe
	s_or_b32 exec_lo, exec_lo, s19
	v_add_co_u32 v2, vcc_lo, v2, v56
	s_wait_alu 0xfffd
	v_add_co_ci_u32_e64 v3, null, 0, v3, vcc_lo
	s_lshl_b64 s[92:93], s[46:47], 2
	s_wait_loadcnt_dscnt 0x0
	ds_store_b32 v51, v6 offset:3168
	s_wait_alu 0xfffe
	v_add_co_u32 v2, vcc_lo, v2, s92
	s_wait_alu 0xfffd
	v_add_co_ci_u32_e64 v3, null, s93, v3, vcc_lo
	s_delay_alu instid0(VALU_DEP_2) | instskip(SKIP_1) | instid1(VALU_DEP_2)
	v_add_co_u32 v2, vcc_lo, v2, 4
	s_wait_alu 0xfffd
	v_add_co_ci_u32_e64 v3, null, 0, v3, vcc_lo
	s_delay_alu instid0(VALU_DEP_2) | instskip(NEXT) | instid1(VALU_DEP_2)
	v_cndmask_b32_e64 v0, v2, v0, s1
	v_cndmask_b32_e64 v1, v3, v1, s1
.LBB153_24:                             ;   in Loop: Header=BB153_4 Depth=1
	s_wait_dscnt 0x0
	s_barrier_signal -1
	s_barrier_wait -1
	global_inv scope:SCOPE_SE
	s_and_saveexec_b32 s19, s6
	s_cbranch_execnz .LBB153_75
; %bb.25:                               ;   in Loop: Header=BB153_4 Depth=1
	s_wait_alu 0xfffe
	s_or_b32 exec_lo, exec_lo, s19
	s_and_saveexec_b32 s19, s7
	s_cbranch_execnz .LBB153_76
.LBB153_26:                             ;   in Loop: Header=BB153_4 Depth=1
	s_wait_alu 0xfffe
	s_or_b32 exec_lo, exec_lo, s19
	s_and_saveexec_b32 s19, s8
	s_cbranch_execnz .LBB153_77
.LBB153_27:                             ;   in Loop: Header=BB153_4 Depth=1
	s_wait_alu 0xfffe
	s_or_b32 exec_lo, exec_lo, s19
	s_and_saveexec_b32 s19, s9
	s_cbranch_execz .LBB153_29
.LBB153_28:                             ;   in Loop: Header=BB153_4 Depth=1
	ds_load_b32 v2, v53 offset:264
	s_wait_dscnt 0x0
	ds_store_b32 v39, v2 offset:12
.LBB153_29:                             ;   in Loop: Header=BB153_4 Depth=1
	s_wait_alu 0xfffe
	s_or_b32 exec_lo, exec_lo, s19
	s_wait_loadcnt_dscnt 0x0
	s_barrier_signal -1
	s_barrier_wait -1
	global_inv scope:SCOPE_SE
	ds_load_b32 v10, v52
	ds_load_b32 v11, v53 offset:264
	ds_load_b128 v[6:9], v40
	ds_load_2addr_b32 v[2:3], v53 offset1:33
	s_wait_loadcnt_dscnt 0x0
	s_barrier_signal -1
	s_barrier_wait -1
	global_inv scope:SCOPE_SE
	v_mov_b32_e32 v57, 0
	v_fma_f32 v6, v10, v6, 0
	s_delay_alu instid0(VALU_DEP_1) | instskip(NEXT) | instid1(VALU_DEP_1)
	v_fmac_f32_e32 v6, v2, v7
	v_fmac_f32_e32 v6, v3, v8
	s_delay_alu instid0(VALU_DEP_1)
	v_fmac_f32_e32 v6, v11, v9
	ds_store_b32 v41, v6
	s_wait_loadcnt_dscnt 0x0
	s_barrier_signal -1
	s_barrier_wait -1
	global_inv scope:SCOPE_SE
	s_and_saveexec_b32 s19, s10
	s_cbranch_execz .LBB153_31
; %bb.30:                               ;   in Loop: Header=BB153_4 Depth=1
	ds_load_2addr_b32 v[2:3], v38 offset1:1
	ds_load_2addr_b32 v[6:7], v38 offset0:2 offset1:3
	ds_load_2addr_b32 v[8:9], v38 offset0:4 offset1:5
	;; [unrolled: 1-line block ×3, first 2 shown]
	s_wait_dscnt 0x3
	v_add_f32_e32 v2, v2, v3
	s_wait_dscnt 0x2
	s_delay_alu instid0(VALU_DEP_1) | instskip(NEXT) | instid1(VALU_DEP_1)
	v_add_f32_e32 v2, v2, v6
	v_add_f32_e32 v2, v2, v7
	s_wait_dscnt 0x1
	s_delay_alu instid0(VALU_DEP_1) | instskip(NEXT) | instid1(VALU_DEP_1)
	v_add_f32_e32 v2, v2, v8
	;; [unrolled: 4-line block ×3, first 2 shown]
	v_add_f32_e32 v57, v2, v11
.LBB153_31:                             ;   in Loop: Header=BB153_4 Depth=1
	s_wait_alu 0xfffe
	s_or_b32 exec_lo, exec_lo, s19
	v_cmp_ne_u32_e32 vcc_lo, 1, v37
	v_add_co_u32 v0, s19, v0, s84
	s_wait_alu 0xf1ff
	v_add_co_ci_u32_e64 v1, null, s85, v1, s19
	s_and_b32 vcc_lo, exec_lo, vcc_lo
	s_mov_b32 s19, -1
	s_wait_loadcnt 0x0
	s_barrier_signal -1
	s_barrier_wait -1
	global_inv scope:SCOPE_SE
	s_wait_alu 0xfffe
	s_cbranch_vccnz .LBB153_33
; %bb.32:                               ;   in Loop: Header=BB153_4 Depth=1
	s_lshl_b64 s[92:93], s[38:39], 2
	s_mov_b32 s19, 0
	s_wait_alu 0xfffe
	v_add_co_u32 v2, vcc_lo, v0, s92
	s_wait_alu 0xfffd
	v_add_co_ci_u32_e64 v3, null, s93, v1, vcc_lo
	s_delay_alu instid0(VALU_DEP_2) | instskip(SKIP_1) | instid1(VALU_DEP_2)
	v_add_co_u32 v6, vcc_lo, v2, s44
	s_wait_alu 0xfffd
	v_add_co_ci_u32_e64 v7, null, s45, v3, vcc_lo
	s_delay_alu instid0(VALU_DEP_2) | instskip(SKIP_1) | instid1(VALU_DEP_2)
	v_add_co_u32 v8, vcc_lo, v6, s44
	s_wait_alu 0xfffd
	v_add_co_ci_u32_e64 v9, null, s45, v7, vcc_lo
	s_clause 0x3
	flat_load_b32 v10, v[0:1] offset:128
	flat_load_b32 v2, v[2:3] offset:128
	;; [unrolled: 1-line block ×4, first 2 shown]
	s_wait_loadcnt_dscnt 0x303
	ds_store_b32 v51, v10
	s_wait_loadcnt_dscnt 0x203
	ds_store_b32 v51, v2 offset:1056
	s_wait_loadcnt_dscnt 0x103
	ds_store_b32 v51, v3 offset:2112
	;; [unrolled: 2-line block ×3, first 2 shown]
.LBB153_33:                             ;   in Loop: Header=BB153_4 Depth=1
	v_add_co_u32 v2, vcc_lo, 0x80, v0
	s_wait_alu 0xfffd
	v_add_co_ci_u32_e64 v3, null, 0, v1, vcc_lo
	s_and_not1_b32 vcc_lo, exec_lo, s19
	s_wait_alu 0xfffe
	s_cbranch_vccnz .LBB153_43
; %bb.34:                               ;   in Loop: Header=BB153_4 Depth=1
	v_add_co_u32 v0, vcc_lo, v0, v22
	s_wait_alu 0xfffd
	v_add_co_ci_u32_e64 v1, null, v1, v23, vcc_lo
	s_lshl_b64 s[92:93], s[34:35], 2
	v_dual_mov_b32 v7, 0 :: v_dual_mov_b32 v6, 0
	s_wait_alu 0xfffe
	v_add_co_u32 v0, vcc_lo, v0, s92
	s_wait_alu 0xfffd
	v_add_co_ci_u32_e64 v1, null, s93, v1, vcc_lo
	s_delay_alu instid0(VALU_DEP_2) | instskip(SKIP_1) | instid1(VALU_DEP_2)
	v_add_co_u32 v0, vcc_lo, v0, -4
	s_wait_alu 0xfffd
	v_add_co_ci_u32_e64 v1, null, -1, v1, vcc_lo
	s_delay_alu instid0(VALU_DEP_2) | instskip(NEXT) | instid1(VALU_DEP_2)
	v_cndmask_b32_e64 v0, v0, v2, s11
	v_cndmask_b32_e64 v1, v1, v3, s11
	s_and_saveexec_b32 s19, s12
	s_cbranch_execz .LBB153_36
; %bb.35:                               ;   in Loop: Header=BB153_4 Depth=1
	flat_load_b32 v6, v[0:1]
.LBB153_36:                             ;   in Loop: Header=BB153_4 Depth=1
	s_wait_alu 0xfffe
	s_or_b32 exec_lo, exec_lo, s19
	s_wait_loadcnt_dscnt 0x0
	ds_store_b32 v51, v6
	s_and_saveexec_b32 s19, s13
	s_cbranch_execz .LBB153_38
; %bb.37:                               ;   in Loop: Header=BB153_4 Depth=1
	s_lshl_b64 s[92:93], s[38:39], 2
	s_wait_alu 0xfffe
	v_add_co_u32 v6, vcc_lo, v0, s92
	s_wait_alu 0xfffd
	v_add_co_ci_u32_e64 v7, null, s93, v1, vcc_lo
	flat_load_b32 v7, v[6:7]
.LBB153_38:                             ;   in Loop: Header=BB153_4 Depth=1
	s_wait_alu 0xfffe
	s_or_b32 exec_lo, exec_lo, s19
	v_mov_b32_e32 v6, 0
	v_mov_b32_e32 v8, 0
	s_wait_loadcnt_dscnt 0x0
	ds_store_b32 v51, v7 offset:1056
	s_and_saveexec_b32 s19, s14
	s_cbranch_execz .LBB153_40
; %bb.39:                               ;   in Loop: Header=BB153_4 Depth=1
	s_lshl_b64 s[92:93], s[40:41], 2
	s_wait_alu 0xfffe
	v_add_co_u32 v7, vcc_lo, v0, s92
	s_wait_alu 0xfffd
	v_add_co_ci_u32_e64 v8, null, s93, v1, vcc_lo
	flat_load_b32 v8, v[7:8]
.LBB153_40:                             ;   in Loop: Header=BB153_4 Depth=1
	s_wait_alu 0xfffe
	s_or_b32 exec_lo, exec_lo, s19
	s_wait_loadcnt_dscnt 0x0
	ds_store_b32 v51, v8 offset:2112
	s_and_saveexec_b32 s19, s15
	s_cbranch_execz .LBB153_42
; %bb.41:                               ;   in Loop: Header=BB153_4 Depth=1
	s_lshl_b64 s[92:93], s[42:43], 2
	s_wait_alu 0xfffe
	v_add_co_u32 v6, vcc_lo, v0, s92
	s_wait_alu 0xfffd
	v_add_co_ci_u32_e64 v7, null, s93, v1, vcc_lo
	flat_load_b32 v6, v[6:7]
.LBB153_42:                             ;   in Loop: Header=BB153_4 Depth=1
	s_wait_alu 0xfffe
	s_or_b32 exec_lo, exec_lo, s19
	v_add_co_u32 v0, vcc_lo, v0, v56
	s_wait_alu 0xfffd
	v_add_co_ci_u32_e64 v1, null, 0, v1, vcc_lo
	s_lshl_b64 s[92:93], s[46:47], 2
	s_wait_loadcnt_dscnt 0x0
	ds_store_b32 v51, v6 offset:3168
	s_wait_alu 0xfffe
	v_add_co_u32 v0, vcc_lo, v0, s92
	s_wait_alu 0xfffd
	v_add_co_ci_u32_e64 v1, null, s93, v1, vcc_lo
	s_delay_alu instid0(VALU_DEP_2) | instskip(SKIP_1) | instid1(VALU_DEP_2)
	v_add_co_u32 v0, vcc_lo, 0x84, v0
	s_wait_alu 0xfffd
	v_add_co_ci_u32_e64 v1, null, 0, v1, vcc_lo
	s_delay_alu instid0(VALU_DEP_2) | instskip(NEXT) | instid1(VALU_DEP_2)
	v_cndmask_b32_e64 v2, v0, v2, s11
	v_cndmask_b32_e64 v3, v1, v3, s11
.LBB153_43:                             ;   in Loop: Header=BB153_4 Depth=1
	s_wait_loadcnt_dscnt 0x0
	s_barrier_signal -1
	s_barrier_wait -1
	global_inv scope:SCOPE_SE
	s_and_saveexec_b32 s19, s6
	s_cbranch_execnz .LBB153_78
; %bb.44:                               ;   in Loop: Header=BB153_4 Depth=1
	s_wait_alu 0xfffe
	s_or_b32 exec_lo, exec_lo, s19
	s_and_saveexec_b32 s19, s7
	s_cbranch_execnz .LBB153_79
.LBB153_45:                             ;   in Loop: Header=BB153_4 Depth=1
	s_wait_alu 0xfffe
	s_or_b32 exec_lo, exec_lo, s19
	s_and_saveexec_b32 s19, s8
	s_cbranch_execnz .LBB153_80
.LBB153_46:                             ;   in Loop: Header=BB153_4 Depth=1
	s_wait_alu 0xfffe
	s_or_b32 exec_lo, exec_lo, s19
	s_and_saveexec_b32 s19, s9
	s_cbranch_execz .LBB153_48
.LBB153_47:                             ;   in Loop: Header=BB153_4 Depth=1
	ds_load_b32 v0, v53 offset:264
	s_wait_dscnt 0x0
	ds_store_b32 v39, v0 offset:12
.LBB153_48:                             ;   in Loop: Header=BB153_4 Depth=1
	s_wait_alu 0xfffe
	s_or_b32 exec_lo, exec_lo, s19
	s_wait_loadcnt_dscnt 0x0
	s_barrier_signal -1
	s_barrier_wait -1
	global_inv scope:SCOPE_SE
	ds_load_b32 v10, v52
	ds_load_b32 v11, v53 offset:264
	ds_load_b128 v[6:9], v40 offset:128
	ds_load_2addr_b32 v[0:1], v53 offset1:33
	s_wait_loadcnt_dscnt 0x0
	s_barrier_signal -1
	s_barrier_wait -1
	global_inv scope:SCOPE_SE
	v_fma_f32 v6, v10, v6, 0
	s_delay_alu instid0(VALU_DEP_1) | instskip(NEXT) | instid1(VALU_DEP_1)
	v_fmac_f32_e32 v6, v0, v7
	v_fmac_f32_e32 v6, v1, v8
	s_delay_alu instid0(VALU_DEP_1)
	v_fmac_f32_e32 v6, v11, v9
	ds_store_b32 v41, v6
	s_wait_loadcnt_dscnt 0x0
	s_barrier_signal -1
	s_barrier_wait -1
	global_inv scope:SCOPE_SE
	s_and_saveexec_b32 s19, s16
	s_cbranch_execz .LBB153_50
; %bb.49:                               ;   in Loop: Header=BB153_4 Depth=1
	ds_load_2addr_b32 v[0:1], v38 offset1:1
	ds_load_2addr_b32 v[6:7], v38 offset0:2 offset1:3
	ds_load_2addr_b32 v[8:9], v38 offset0:4 offset1:5
	ds_load_2addr_b32 v[10:11], v38 offset0:6 offset1:7
	s_wait_dscnt 0x3
	v_add_f32_e32 v0, v0, v1
	s_wait_dscnt 0x2
	s_delay_alu instid0(VALU_DEP_1) | instskip(NEXT) | instid1(VALU_DEP_1)
	v_add_f32_e32 v0, v0, v6
	v_add_f32_e32 v0, v0, v7
	s_wait_dscnt 0x1
	s_delay_alu instid0(VALU_DEP_1) | instskip(NEXT) | instid1(VALU_DEP_1)
	v_add_f32_e32 v0, v0, v8
	;; [unrolled: 4-line block ×3, first 2 shown]
	v_add_f32_e32 v57, v0, v11
.LBB153_50:                             ;   in Loop: Header=BB153_4 Depth=1
	s_wait_alu 0xfffe
	s_or_b32 exec_lo, exec_lo, s19
	v_cmp_ne_u32_e32 vcc_lo, 1, v37
	v_add_co_u32 v6, s19, v2, s86
	s_wait_alu 0xf1ff
	v_add_co_ci_u32_e64 v7, null, s87, v3, s19
	s_and_b32 vcc_lo, exec_lo, vcc_lo
	s_mov_b32 s19, -1
	s_wait_loadcnt 0x0
	s_barrier_signal -1
	s_barrier_wait -1
	global_inv scope:SCOPE_SE
	s_wait_alu 0xfffe
	s_cbranch_vccnz .LBB153_52
; %bb.51:                               ;   in Loop: Header=BB153_4 Depth=1
	s_lshl_b64 s[92:93], s[38:39], 2
	s_mov_b32 s19, 0
	s_wait_alu 0xfffe
	v_add_co_u32 v0, vcc_lo, v6, s92
	s_wait_alu 0xfffd
	v_add_co_ci_u32_e64 v1, null, s93, v7, vcc_lo
	s_delay_alu instid0(VALU_DEP_2) | instskip(SKIP_1) | instid1(VALU_DEP_2)
	v_add_co_u32 v2, vcc_lo, v0, s44
	s_wait_alu 0xfffd
	v_add_co_ci_u32_e64 v3, null, s45, v1, vcc_lo
	s_delay_alu instid0(VALU_DEP_2) | instskip(SKIP_1) | instid1(VALU_DEP_2)
	v_add_co_u32 v8, vcc_lo, v2, s44
	s_wait_alu 0xfffd
	v_add_co_ci_u32_e64 v9, null, s45, v3, vcc_lo
	s_clause 0x3
	flat_load_b32 v10, v[6:7]
	flat_load_b32 v0, v[0:1]
	;; [unrolled: 1-line block ×4, first 2 shown]
	s_wait_loadcnt_dscnt 0x303
	ds_store_b32 v51, v10
	s_wait_loadcnt_dscnt 0x203
	ds_store_b32 v51, v0 offset:1056
	s_wait_loadcnt_dscnt 0x103
	ds_store_b32 v51, v1 offset:2112
	;; [unrolled: 2-line block ×3, first 2 shown]
.LBB153_52:                             ;   in Loop: Header=BB153_4 Depth=1
	s_and_not1_b32 vcc_lo, exec_lo, s19
	s_wait_alu 0xfffe
	s_cbranch_vccnz .LBB153_62
; %bb.53:                               ;   in Loop: Header=BB153_4 Depth=1
	v_add_co_u32 v0, vcc_lo, v6, v22
	s_wait_alu 0xfffd
	v_add_co_ci_u32_e64 v1, null, v7, v23, vcc_lo
	s_lshl_b64 s[92:93], s[34:35], 2
	v_dual_mov_b32 v3, 0 :: v_dual_mov_b32 v2, 0
	s_wait_alu 0xfffe
	v_add_co_u32 v0, vcc_lo, v0, s92
	s_wait_alu 0xfffd
	v_add_co_ci_u32_e64 v1, null, s93, v1, vcc_lo
	s_delay_alu instid0(VALU_DEP_2) | instskip(SKIP_1) | instid1(VALU_DEP_2)
	v_add_co_u32 v0, vcc_lo, 0xffffff7c, v0
	s_wait_alu 0xfffd
	v_add_co_ci_u32_e64 v1, null, -1, v1, vcc_lo
	s_delay_alu instid0(VALU_DEP_2) | instskip(NEXT) | instid1(VALU_DEP_2)
	v_cndmask_b32_e64 v0, v0, v6, s11
	v_cndmask_b32_e64 v1, v1, v7, s11
	s_and_saveexec_b32 s19, s2
	s_cbranch_execz .LBB153_55
; %bb.54:                               ;   in Loop: Header=BB153_4 Depth=1
	flat_load_b32 v2, v[0:1]
.LBB153_55:                             ;   in Loop: Header=BB153_4 Depth=1
	s_wait_alu 0xfffe
	s_or_b32 exec_lo, exec_lo, s19
	s_wait_loadcnt_dscnt 0x0
	ds_store_b32 v51, v2
	s_and_saveexec_b32 s19, s3
	s_cbranch_execz .LBB153_57
; %bb.56:                               ;   in Loop: Header=BB153_4 Depth=1
	s_lshl_b64 s[92:93], s[38:39], 2
	s_wait_alu 0xfffe
	v_add_co_u32 v2, vcc_lo, v0, s92
	s_wait_alu 0xfffd
	v_add_co_ci_u32_e64 v3, null, s93, v1, vcc_lo
	flat_load_b32 v3, v[2:3]
.LBB153_57:                             ;   in Loop: Header=BB153_4 Depth=1
	s_wait_alu 0xfffe
	s_or_b32 exec_lo, exec_lo, s19
	v_mov_b32_e32 v2, 0
	v_mov_b32_e32 v8, 0
	s_wait_loadcnt_dscnt 0x0
	ds_store_b32 v51, v3 offset:1056
	s_and_saveexec_b32 s19, s4
	s_cbranch_execz .LBB153_59
; %bb.58:                               ;   in Loop: Header=BB153_4 Depth=1
	s_lshl_b64 s[92:93], s[40:41], 2
	s_wait_alu 0xfffe
	v_add_co_u32 v8, vcc_lo, v0, s92
	s_wait_alu 0xfffd
	v_add_co_ci_u32_e64 v9, null, s93, v1, vcc_lo
	flat_load_b32 v8, v[8:9]
.LBB153_59:                             ;   in Loop: Header=BB153_4 Depth=1
	s_wait_alu 0xfffe
	s_or_b32 exec_lo, exec_lo, s19
	s_wait_loadcnt_dscnt 0x0
	ds_store_b32 v51, v8 offset:2112
	s_and_saveexec_b32 s19, s5
	s_cbranch_execz .LBB153_61
; %bb.60:                               ;   in Loop: Header=BB153_4 Depth=1
	s_lshl_b64 s[92:93], s[42:43], 2
	s_wait_alu 0xfffe
	v_add_co_u32 v2, vcc_lo, v0, s92
	s_wait_alu 0xfffd
	v_add_co_ci_u32_e64 v3, null, s93, v1, vcc_lo
	flat_load_b32 v2, v[2:3]
.LBB153_61:                             ;   in Loop: Header=BB153_4 Depth=1
	s_wait_alu 0xfffe
	s_or_b32 exec_lo, exec_lo, s19
	v_add_co_u32 v0, vcc_lo, v0, v56
	s_wait_alu 0xfffd
	v_add_co_ci_u32_e64 v1, null, 0, v1, vcc_lo
	s_lshl_b64 s[92:93], s[46:47], 2
	s_wait_loadcnt_dscnt 0x0
	ds_store_b32 v51, v2 offset:3168
	s_wait_alu 0xfffe
	v_add_co_u32 v0, vcc_lo, v0, s92
	s_wait_alu 0xfffd
	v_add_co_ci_u32_e64 v1, null, s93, v1, vcc_lo
	s_delay_alu instid0(VALU_DEP_2) | instskip(SKIP_1) | instid1(VALU_DEP_2)
	v_add_co_u32 v0, vcc_lo, 0x84, v0
	s_wait_alu 0xfffd
	v_add_co_ci_u32_e64 v1, null, 0, v1, vcc_lo
	s_delay_alu instid0(VALU_DEP_2) | instskip(NEXT) | instid1(VALU_DEP_2)
	v_cndmask_b32_e64 v6, v0, v6, s11
	v_cndmask_b32_e64 v7, v1, v7, s11
.LBB153_62:                             ;   in Loop: Header=BB153_4 Depth=1
	s_wait_loadcnt_dscnt 0x0
	s_barrier_signal -1
	s_barrier_wait -1
	global_inv scope:SCOPE_SE
	ds_load_b32 v0, v51
	ds_load_b32 v1, v54
	ds_load_2addr_b32 v[12:13], v50 offset0:8 offset1:16
	ds_load_b32 v14, v51 offset:1056
	ds_load_b32 v15, v51 offset:2112
	;; [unrolled: 1-line block ×4, first 2 shown]
	s_wait_dscnt 0x5
	v_fma_f32 v33, v0, v1, 0
	ds_load_2addr_b32 v[10:11], v42 offset1:1
	ds_load_b128 v[0:3], v40 offset:128
	ds_load_2addr_b32 v[8:9], v42 offset0:2 offset1:3
	s_wait_loadcnt_dscnt 0x0
	s_barrier_signal -1
	s_barrier_wait -1
	v_fmac_f32_e32 v33, v14, v12
	global_inv scope:SCOPE_SE
	v_fmac_f32_e32 v33, v15, v13
	s_delay_alu instid0(VALU_DEP_1)
	v_fmac_f32_e32 v33, v16, v32
	ds_store_b32 v41, v33
	s_wait_loadcnt_dscnt 0x0
	s_barrier_signal -1
	s_barrier_wait -1
	global_inv scope:SCOPE_SE
	s_and_saveexec_b32 s19, s16
	s_cbranch_execz .LBB153_64
; %bb.63:                               ;   in Loop: Header=BB153_4 Depth=1
	ds_load_2addr_b32 v[12:13], v38 offset1:1
	ds_load_2addr_b32 v[14:15], v38 offset0:2 offset1:3
	ds_load_2addr_b32 v[32:33], v38 offset0:4 offset1:5
	ds_load_2addr_b32 v[58:59], v38 offset0:6 offset1:7
	s_wait_dscnt 0x3
	v_add_f32_e32 v12, v57, v12
	s_delay_alu instid0(VALU_DEP_1) | instskip(SKIP_1) | instid1(VALU_DEP_1)
	v_add_f32_e32 v12, v12, v13
	s_wait_dscnt 0x2
	v_add_f32_e32 v12, v12, v14
	s_delay_alu instid0(VALU_DEP_1) | instskip(SKIP_1) | instid1(VALU_DEP_1)
	v_add_f32_e32 v12, v12, v15
	;; [unrolled: 4-line block ×3, first 2 shown]
	s_wait_dscnt 0x0
	v_add_f32_e32 v12, v12, v58
	s_delay_alu instid0(VALU_DEP_1)
	v_add_f32_e32 v57, v12, v59
.LBB153_64:                             ;   in Loop: Header=BB153_4 Depth=1
	s_wait_alu 0xfffe
	s_or_b32 exec_lo, exec_lo, s19
	v_fma_f32 v0, v10, v0, 0
	s_wait_loadcnt 0x0
	s_barrier_signal -1
	s_barrier_wait -1
	global_inv scope:SCOPE_SE
	v_fmac_f32_e32 v0, v11, v1
	s_delay_alu instid0(VALU_DEP_1) | instskip(NEXT) | instid1(VALU_DEP_1)
	v_fmac_f32_e32 v0, v8, v2
	v_fmac_f32_e32 v0, v9, v3
	ds_store_b32 v41, v0
	s_wait_loadcnt_dscnt 0x0
	s_barrier_signal -1
	s_barrier_wait -1
	global_inv scope:SCOPE_SE
	s_and_saveexec_b32 s19, s10
	s_cbranch_execz .LBB153_66
; %bb.65:                               ;   in Loop: Header=BB153_4 Depth=1
	ds_load_2addr_b32 v[0:1], v38 offset1:1
	ds_load_2addr_b32 v[2:3], v38 offset0:2 offset1:3
	ds_load_2addr_b32 v[8:9], v38 offset0:4 offset1:5
	;; [unrolled: 1-line block ×3, first 2 shown]
	s_wait_dscnt 0x3
	v_add_f32_e32 v0, v57, v0
	s_delay_alu instid0(VALU_DEP_1) | instskip(SKIP_1) | instid1(VALU_DEP_1)
	v_add_f32_e32 v0, v0, v1
	s_wait_dscnt 0x2
	v_add_f32_e32 v0, v0, v2
	s_delay_alu instid0(VALU_DEP_1) | instskip(SKIP_1) | instid1(VALU_DEP_1)
	v_add_f32_e32 v0, v0, v3
	;; [unrolled: 4-line block ×3, first 2 shown]
	s_wait_dscnt 0x0
	v_add_f32_e32 v0, v0, v10
	s_delay_alu instid0(VALU_DEP_1)
	v_add_f32_e32 v57, v0, v11
.LBB153_66:                             ;   in Loop: Header=BB153_4 Depth=1
	s_wait_alu 0xfffe
	s_or_b32 exec_lo, exec_lo, s19
	s_mul_u64 s[92:93], s[30:31], s[28:29]
	s_and_not1_b32 vcc_lo, exec_lo, s99
	s_wait_alu 0xfffe
	s_lshl_b64 s[92:93], s[92:93], 2
	s_wait_loadcnt 0x0
	s_wait_alu 0xfffe
	s_add_nc_u64 s[92:93], s[36:37], s[92:93]
	s_barrier_signal -1
	s_barrier_wait -1
	global_inv scope:SCOPE_SE
	s_cbranch_vccnz .LBB153_73
; %bb.67:                               ;   in Loop: Header=BB153_4 Depth=1
	v_add_co_u32 v0, vcc_lo, v6, s90
	s_wait_alu 0xfffd
	v_add_co_ci_u32_e64 v1, null, s91, v7, vcc_lo
	s_lshl_b64 s[94:95], s[34:35], 2
	v_add_co_u32 v0, vcc_lo, v0, v24
	s_wait_alu 0xfffd
	v_add_co_ci_u32_e64 v1, null, v1, v25, vcc_lo
	v_mov_b32_e32 v16, v34
	s_delay_alu instid0(VALU_DEP_3) | instskip(SKIP_1) | instid1(VALU_DEP_3)
	v_add_co_u32 v0, vcc_lo, v0, v26
	s_wait_alu 0xfffd
	v_add_co_ci_u32_e64 v1, null, v1, v27, vcc_lo
	s_mov_b32 s19, ttmp9
	v_add_co_u32 v2, vcc_lo, v0, v28
	s_wait_alu 0xfffd
	v_add_co_ci_u32_e64 v3, null, v1, v29, vcc_lo
	s_wait_alu 0xfffe
	s_delay_alu instid0(VALU_DEP_2) | instskip(SKIP_1) | instid1(VALU_DEP_2)
	v_add_co_u32 v2, vcc_lo, v2, s94
	s_wait_alu 0xfffd
	v_add_co_ci_u32_e64 v3, null, s95, v3, vcc_lo
	v_add_co_u32 v0, vcc_lo, 0xffffff80, v0
	s_wait_alu 0xfffd
	v_add_co_ci_u32_e64 v1, null, -1, v1, vcc_lo
	v_add_co_u32 v2, vcc_lo, 0xffffff7c, v2
	s_wait_alu 0xfffd
	v_add_co_ci_u32_e64 v3, null, -1, v3, vcc_lo
	v_add_co_u32 v58, vcc_lo, v4, s88
	s_wait_alu 0xfffd
	v_add_co_ci_u32_e64 v59, null, s89, v5, vcc_lo
	s_delay_alu instid0(VALU_DEP_3)
	v_cndmask_b32_e64 v33, v1, v3, s17
	v_cndmask_b32_e64 v32, v0, v2, s17
	s_mov_b32 s94, 0
	s_branch .LBB153_69
.LBB153_68:                             ;   in Loop: Header=BB153_69 Depth=2
	s_wait_alu 0xfffe
	s_or_b32 exec_lo, exec_lo, s95
	v_fmac_f32_e32 v57, v63, v0
	v_add_co_u32 v32, vcc_lo, v32, s52
	s_wait_alu 0xfffd
	v_add_co_ci_u32_e64 v33, null, s53, v33, vcc_lo
	s_delay_alu instid0(VALU_DEP_3)
	v_dual_fmac_f32 v57, v61, v1 :: v_dual_add_nc_u32 v16, 64, v16
	s_add_co_i32 s19, s19, -1
	s_add_co_i32 s94, s94, s100
	s_wait_alu 0xfffe
	s_cmp_eq_u32 s19, 0
	v_fmac_f32_e32 v57, v60, v2
	s_wait_loadcnt 0x0
	s_wait_storecnt 0x0
	s_barrier_signal -1
	s_barrier_wait -1
	global_inv scope:SCOPE_SE
	v_fmac_f32_e32 v57, v62, v3
	s_delay_alu instid0(VALU_DEP_1) | instskip(NEXT) | instid1(VALU_DEP_1)
	v_fmac_f32_e32 v57, v67, v4
	v_fmac_f32_e32 v57, v65, v5
	s_delay_alu instid0(VALU_DEP_1) | instskip(NEXT) | instid1(VALU_DEP_1)
	v_fmac_f32_e32 v57, v64, v6
	;; [unrolled: 3-line block ×6, first 2 shown]
	v_fmac_f32_e32 v57, v72, v15
	s_cbranch_scc1 .LBB153_73
.LBB153_69:                             ;   Parent Loop BB153_4 Depth=1
                                        ; =>  This Inner Loop Header: Depth=2
	s_and_saveexec_b32 s102, s0
	s_cbranch_execz .LBB153_71
; %bb.70:                               ;   in Loop: Header=BB153_69 Depth=2
	s_wait_alu 0xfffe
	s_ashr_i32 s95, s94, 31
	s_wait_alu 0xfffe
	s_lshl_b64 vcc, s[94:95], 2
	s_wait_alu 0xfffe
	v_add_co_u32 v0, vcc_lo, v58, vcc_lo
	s_wait_alu 0xfffd
	v_add_co_ci_u32_e64 v1, null, vcc_hi, v59, vcc_lo
	flat_load_b32 v0, v[0:1]
	s_wait_loadcnt_dscnt 0x0
	ds_store_b32 v43, v0
.LBB153_71:                             ;   in Loop: Header=BB153_69 Depth=2
	s_or_b32 exec_lo, exec_lo, s102
	v_add_co_u32 v0, vcc_lo, v32, s48
	s_wait_alu 0xfffd
	v_add_co_ci_u32_e64 v1, null, s49, v33, vcc_lo
	v_add_co_u32 v2, vcc_lo, v32, s50
	s_wait_alu 0xfffd
	v_add_co_ci_u32_e64 v3, null, s51, v33, vcc_lo
	;; [unrolled: 3-line block ×3, first 2 shown]
	s_wait_loadcnt_dscnt 0x0
	s_barrier_signal -1
	s_barrier_wait -1
	global_inv scope:SCOPE_SE
	s_clause 0x3
	flat_load_b32 v63, v[32:33]
	flat_load_b32 v61, v[0:1]
	;; [unrolled: 1-line block ×4, first 2 shown]
	ds_load_b32 v10, v36
	ds_load_b128 v[0:3], v44
	v_add_co_u32 v4, vcc_lo, v32, s56
	s_wait_alu 0xfffd
	v_add_co_ci_u32_e64 v5, null, s57, v33, vcc_lo
	v_add_co_u32 v6, vcc_lo, v32, s78
	s_wait_alu 0xfffd
	v_add_co_ci_u32_e64 v7, null, s79, v33, vcc_lo
	v_add_co_u32 v8, vcc_lo, v32, s58
	s_wait_alu 0xfffd
	v_add_co_ci_u32_e64 v9, null, s59, v33, vcc_lo
	s_wait_loadcnt_dscnt 0x301
	v_mul_f32_e32 v12, v63, v10
	s_wait_loadcnt 0x2
	v_mul_f32_e32 v13, v61, v10
	s_wait_loadcnt 0x1
	v_mul_f32_e32 v14, v60, v10
	s_wait_loadcnt 0x0
	v_mul_f32_e32 v15, v62, v10
	v_add_co_u32 v10, vcc_lo, v32, s60
	s_wait_alu 0xfffd
	v_add_co_ci_u32_e64 v11, null, s61, v33, vcc_lo
	ds_store_2addr_b32 v45, v12, v13 offset1:67
	ds_store_2addr_b32 v45, v14, v15 offset0:134 offset1:201
	s_wait_dscnt 0x0
	s_barrier_signal -1
	s_barrier_wait -1
	global_inv scope:SCOPE_SE
	ds_load_2addr_b32 v[76:77], v55 offset1:1
	ds_load_2addr_b32 v[78:79], v55 offset0:2 offset1:3
	s_wait_loadcnt_dscnt 0x0
	s_barrier_signal -1
	s_barrier_wait -1
	global_inv scope:SCOPE_SE
	s_clause 0x3
	flat_load_b32 v67, v[4:5]
	flat_load_b32 v65, v[6:7]
	flat_load_b32 v64, v[8:9]
	flat_load_b32 v66, v[10:11]
	ds_load_b32 v14, v36
	ds_load_b128 v[4:7], v44 offset:64
	v_add_co_u32 v8, vcc_lo, v32, s62
	s_wait_alu 0xfffd
	v_add_co_ci_u32_e64 v9, null, s63, v33, vcc_lo
	v_add_co_u32 v10, vcc_lo, v32, s76
	s_wait_alu 0xfffd
	v_add_co_ci_u32_e64 v11, null, s77, v33, vcc_lo
	;; [unrolled: 3-line block ×3, first 2 shown]
	v_add_f32_e32 v76, 0, v76
	s_wait_loadcnt_dscnt 0x301
	v_mul_f32_e32 v68, v67, v14
	s_wait_loadcnt 0x2
	v_mul_f32_e32 v69, v65, v14
	s_wait_loadcnt 0x1
	;; [unrolled: 2-line block ×3, first 2 shown]
	v_mul_f32_e32 v71, v66, v14
	v_add_co_u32 v14, vcc_lo, v32, s66
	s_wait_alu 0xfffd
	v_add_co_ci_u32_e64 v15, null, s67, v33, vcc_lo
	ds_store_2addr_b32 v45, v68, v69 offset1:67
	ds_store_2addr_b32 v45, v70, v71 offset0:134 offset1:201
	s_wait_dscnt 0x0
	s_barrier_signal -1
	s_barrier_wait -1
	global_inv scope:SCOPE_SE
	ds_load_2addr_b32 v[80:81], v55 offset1:1
	ds_load_2addr_b32 v[82:83], v55 offset0:2 offset1:3
	s_wait_loadcnt_dscnt 0x0
	s_barrier_signal -1
	s_barrier_wait -1
	global_inv scope:SCOPE_SE
	s_clause 0x3
	flat_load_b32 v71, v[8:9]
	flat_load_b32 v69, v[10:11]
	;; [unrolled: 1-line block ×4, first 2 shown]
	ds_load_b32 v74, v36
	ds_load_b128 v[8:11], v44 offset:128
	v_add_co_u32 v12, vcc_lo, v32, s68
	s_wait_alu 0xfffd
	v_add_co_ci_u32_e64 v13, null, s69, v33, vcc_lo
	v_add_co_u32 v14, vcc_lo, v32, s74
	s_wait_alu 0xfffd
	v_add_co_ci_u32_e64 v15, null, s75, v33, vcc_lo
	;; [unrolled: 3-line block ×4, first 2 shown]
	v_add_f32_e32 v80, 0, v80
	v_add_f32_e32 v76, v76, v77
	s_delay_alu instid0(VALU_DEP_2) | instskip(NEXT) | instid1(VALU_DEP_1)
	v_add_f32_e32 v77, v80, v81
	v_add_f32_e32 v77, v77, v82
	s_delay_alu instid0(VALU_DEP_1) | instskip(SKIP_1) | instid1(VALU_DEP_1)
	v_dual_add_f32 v76, v76, v78 :: v_dual_add_f32 v77, v77, v83
	s_wait_loadcnt_dscnt 0x301
	v_dual_add_f32 v76, v76, v79 :: v_dual_mul_f32 v75, v71, v74
	s_wait_loadcnt 0x2
	v_mul_f32_e32 v86, v69, v74
	s_wait_loadcnt 0x1
	v_mul_f32_e32 v87, v68, v74
	;; [unrolled: 2-line block ×3, first 2 shown]
	ds_store_2addr_b32 v45, v75, v86 offset1:67
	ds_store_2addr_b32 v45, v87, v74 offset0:134 offset1:201
	s_wait_dscnt 0x0
	s_barrier_signal -1
	s_barrier_wait -1
	global_inv scope:SCOPE_SE
	ds_load_2addr_b32 v[86:87], v55 offset1:1
	ds_load_2addr_b32 v[88:89], v55 offset0:2 offset1:3
	s_wait_loadcnt_dscnt 0x0
	s_barrier_signal -1
	s_barrier_wait -1
	global_inv scope:SCOPE_SE
	s_clause 0x3
	flat_load_b32 v75, v[12:13]
	flat_load_b32 v74, v[14:15]
	;; [unrolled: 1-line block ×4, first 2 shown]
	ds_load_b32 v84, v36
	ds_load_b128 v[12:15], v44 offset:192
	v_add_f32_e32 v86, 0, v86
	s_delay_alu instid0(VALU_DEP_1) | instskip(NEXT) | instid1(VALU_DEP_1)
	v_add_f32_e32 v80, v86, v87
	v_add_f32_e32 v78, v80, v88
	s_wait_loadcnt_dscnt 0x301
	s_delay_alu instid0(VALU_DEP_1)
	v_dual_add_f32 v78, v78, v89 :: v_dual_mul_f32 v85, v75, v84
	s_wait_loadcnt 0x2
	v_mul_f32_e32 v90, v74, v84
	s_wait_loadcnt 0x1
	v_mul_f32_e32 v91, v73, v84
	;; [unrolled: 2-line block ×3, first 2 shown]
	ds_store_2addr_b32 v45, v85, v90 offset1:67
	ds_store_2addr_b32 v45, v91, v84 offset0:134 offset1:201
	s_wait_dscnt 0x0
	s_barrier_signal -1
	s_barrier_wait -1
	global_inv scope:SCOPE_SE
	ds_load_2addr_b32 v[84:85], v55 offset1:1
	ds_load_2addr_b32 v[90:91], v55 offset0:2 offset1:3
	s_wait_loadcnt_dscnt 0x0
	s_barrier_signal -1
	s_barrier_wait -1
	global_inv scope:SCOPE_SE
	v_add_f32_e32 v84, 0, v84
	s_delay_alu instid0(VALU_DEP_1) | instskip(NEXT) | instid1(VALU_DEP_1)
	v_add_f32_e32 v81, v84, v85
	v_add_f32_e32 v80, v81, v90
	s_delay_alu instid0(VALU_DEP_1)
	v_add_f32_e32 v79, v80, v91
	ds_store_2addr_b32 v46, v76, v77 offset1:16
	ds_store_2addr_b32 v46, v78, v79 offset0:32 offset1:48
	s_wait_loadcnt_dscnt 0x0
	s_barrier_signal -1
	s_barrier_wait -1
	global_inv scope:SCOPE_SE
	s_and_saveexec_b32 s95, s18
	s_cbranch_execz .LBB153_68
; %bb.72:                               ;   in Loop: Header=BB153_69 Depth=2
	ds_load_2addr_b32 v[76:77], v47 offset1:1
	ds_load_2addr_b32 v[78:79], v47 offset0:2 offset1:3
	ds_load_2addr_b32 v[80:81], v47 offset0:4 offset1:5
	;; [unrolled: 1-line block ×3, first 2 shown]
	s_wait_dscnt 0x3
	v_add_f32_e32 v76, v76, v77
	s_wait_dscnt 0x2
	s_delay_alu instid0(VALU_DEP_1) | instskip(NEXT) | instid1(VALU_DEP_1)
	v_add_f32_e32 v76, v76, v78
	v_add_f32_e32 v78, v76, v79
	ds_load_2addr_b32 v[76:77], v47 offset0:8 offset1:9
	s_wait_dscnt 0x2
	v_add_f32_e32 v78, v78, v80
	s_delay_alu instid0(VALU_DEP_1) | instskip(SKIP_3) | instid1(VALU_DEP_1)
	v_add_f32_e32 v80, v78, v81
	ds_load_2addr_b32 v[78:79], v47 offset0:10 offset1:11
	s_wait_dscnt 0x2
	v_add_f32_e32 v80, v80, v82
	v_add_f32_e32 v82, v80, v83
	ds_load_2addr_b32 v[80:81], v47 offset0:12 offset1:13
	ds_load_b32 v83, v47 offset:56
	s_wait_dscnt 0x3
	v_add_f32_e32 v76, v82, v76
	s_delay_alu instid0(VALU_DEP_1) | instskip(SKIP_1) | instid1(VALU_DEP_1)
	v_add_f32_e32 v76, v76, v77
	s_wait_dscnt 0x2
	v_add_f32_e32 v76, v76, v78
	ds_load_b32 v78, v48
	v_add_f32_e32 v76, v76, v79
	s_wait_dscnt 0x2
	s_delay_alu instid0(VALU_DEP_1) | instskip(NEXT) | instid1(VALU_DEP_1)
	v_add_f32_e32 v76, v76, v80
	v_add_f32_e32 v76, v76, v81
	s_wait_dscnt 0x1
	s_delay_alu instid0(VALU_DEP_1) | instskip(SKIP_2) | instid1(VALU_DEP_2)
	v_add_f32_e32 v79, v76, v83
	v_lshlrev_b64_e32 v[76:77], 2, v[16:17]
	s_wait_dscnt 0x0
	v_add_f32_e32 v78, v79, v78
	s_wait_alu 0xfffe
	s_delay_alu instid0(VALU_DEP_2)
	v_add_co_u32 v76, vcc_lo, s92, v76
	s_wait_alu 0xfffd
	v_add_co_ci_u32_e64 v77, null, s93, v77, vcc_lo
	global_store_b32 v[76:77], v78, off
	s_branch .LBB153_68
.LBB153_73:                             ;   in Loop: Header=BB153_4 Depth=1
	ds_store_b32 v49, v57
	s_wait_loadcnt_dscnt 0x0
	s_barrier_signal -1
	s_barrier_wait -1
	global_inv scope:SCOPE_SE
	s_and_saveexec_b32 s19, s101
	s_cbranch_execz .LBB153_2
; %bb.74:                               ;   in Loop: Header=BB153_4 Depth=1
	ds_load_2addr_b32 v[0:1], v35 offset1:67
	ds_load_2addr_b32 v[2:3], v35 offset0:134 offset1:201
	s_wait_dscnt 0x1
	v_add_f32_e32 v0, v0, v1
	s_wait_dscnt 0x0
	s_delay_alu instid0(VALU_DEP_1) | instskip(NEXT) | instid1(VALU_DEP_1)
	v_add_f32_e32 v0, v0, v2
	v_add_f32_e32 v2, v0, v3
	s_wait_alu 0xfffe
	v_add_co_u32 v0, vcc_lo, s92, v30
	s_wait_alu 0xfffd
	v_add_co_ci_u32_e64 v1, null, s93, v31, vcc_lo
	global_store_b32 v[0:1], v2, off
	s_branch .LBB153_2
.LBB153_75:                             ;   in Loop: Header=BB153_4 Depth=1
	ds_load_b32 v2, v52
	s_wait_dscnt 0x0
	ds_store_b32 v39, v2
	s_wait_alu 0xfffe
	s_or_b32 exec_lo, exec_lo, s19
	s_and_saveexec_b32 s19, s7
	s_cbranch_execz .LBB153_26
.LBB153_76:                             ;   in Loop: Header=BB153_4 Depth=1
	ds_load_b32 v2, v53
	s_wait_dscnt 0x0
	ds_store_b32 v39, v2 offset:4
	s_wait_alu 0xfffe
	s_or_b32 exec_lo, exec_lo, s19
	s_and_saveexec_b32 s19, s8
	s_cbranch_execz .LBB153_27
.LBB153_77:                             ;   in Loop: Header=BB153_4 Depth=1
	ds_load_b32 v2, v53 offset:132
	s_wait_dscnt 0x0
	ds_store_b32 v39, v2 offset:8
	s_wait_alu 0xfffe
	s_or_b32 exec_lo, exec_lo, s19
	s_and_saveexec_b32 s19, s9
	s_cbranch_execnz .LBB153_28
	s_branch .LBB153_29
.LBB153_78:                             ;   in Loop: Header=BB153_4 Depth=1
	ds_load_b32 v0, v52
	s_wait_dscnt 0x0
	ds_store_b32 v39, v0
	s_wait_alu 0xfffe
	s_or_b32 exec_lo, exec_lo, s19
	s_and_saveexec_b32 s19, s7
	s_cbranch_execz .LBB153_45
.LBB153_79:                             ;   in Loop: Header=BB153_4 Depth=1
	ds_load_b32 v0, v53
	s_wait_dscnt 0x0
	ds_store_b32 v39, v0 offset:4
	s_wait_alu 0xfffe
	s_or_b32 exec_lo, exec_lo, s19
	s_and_saveexec_b32 s19, s8
	s_cbranch_execz .LBB153_46
.LBB153_80:                             ;   in Loop: Header=BB153_4 Depth=1
	ds_load_b32 v0, v53 offset:132
	s_wait_dscnt 0x0
	ds_store_b32 v39, v0 offset:8
	s_wait_alu 0xfffe
	s_or_b32 exec_lo, exec_lo, s19
	s_and_saveexec_b32 s19, s9
	s_cbranch_execnz .LBB153_47
	s_branch .LBB153_48
.LBB153_81:
	s_endpgm
	.section	.rodata,"a",@progbits
	.p2align	6, 0x0
	.amdhsa_kernel _ZL26rocblas_hemvn_kernel_lowerILb0ELi64ELi4ELi33ELi32ELi16EifPKPKfPfEviT6_lT7_lT5_lS6_lS7_lS5_lT8_i
		.amdhsa_group_segment_fixed_size 4800
		.amdhsa_private_segment_fixed_size 0
		.amdhsa_kernarg_size 368
		.amdhsa_user_sgpr_count 2
		.amdhsa_user_sgpr_dispatch_ptr 0
		.amdhsa_user_sgpr_queue_ptr 0
		.amdhsa_user_sgpr_kernarg_segment_ptr 1
		.amdhsa_user_sgpr_dispatch_id 0
		.amdhsa_user_sgpr_private_segment_size 0
		.amdhsa_wavefront_size32 1
		.amdhsa_uses_dynamic_stack 0
		.amdhsa_enable_private_segment 0
		.amdhsa_system_sgpr_workgroup_id_x 1
		.amdhsa_system_sgpr_workgroup_id_y 0
		.amdhsa_system_sgpr_workgroup_id_z 1
		.amdhsa_system_sgpr_workgroup_info 0
		.amdhsa_system_vgpr_workitem_id 1
		.amdhsa_next_free_vgpr 92
		.amdhsa_next_free_sgpr 103
		.amdhsa_reserve_vcc 1
		.amdhsa_float_round_mode_32 0
		.amdhsa_float_round_mode_16_64 0
		.amdhsa_float_denorm_mode_32 3
		.amdhsa_float_denorm_mode_16_64 3
		.amdhsa_fp16_overflow 0
		.amdhsa_workgroup_processor_mode 1
		.amdhsa_memory_ordered 1
		.amdhsa_forward_progress 1
		.amdhsa_inst_pref_size 55
		.amdhsa_round_robin_scheduling 0
		.amdhsa_exception_fp_ieee_invalid_op 0
		.amdhsa_exception_fp_denorm_src 0
		.amdhsa_exception_fp_ieee_div_zero 0
		.amdhsa_exception_fp_ieee_overflow 0
		.amdhsa_exception_fp_ieee_underflow 0
		.amdhsa_exception_fp_ieee_inexact 0
		.amdhsa_exception_int_div_zero 0
	.end_amdhsa_kernel
	.section	.text._ZL26rocblas_hemvn_kernel_lowerILb0ELi64ELi4ELi33ELi32ELi16EifPKPKfPfEviT6_lT7_lT5_lS6_lS7_lS5_lT8_i,"axG",@progbits,_ZL26rocblas_hemvn_kernel_lowerILb0ELi64ELi4ELi33ELi32ELi16EifPKPKfPfEviT6_lT7_lT5_lS6_lS7_lS5_lT8_i,comdat
.Lfunc_end153:
	.size	_ZL26rocblas_hemvn_kernel_lowerILb0ELi64ELi4ELi33ELi32ELi16EifPKPKfPfEviT6_lT7_lT5_lS6_lS7_lS5_lT8_i, .Lfunc_end153-_ZL26rocblas_hemvn_kernel_lowerILb0ELi64ELi4ELi33ELi32ELi16EifPKPKfPfEviT6_lT7_lT5_lS6_lS7_lS5_lT8_i
                                        ; -- End function
	.set _ZL26rocblas_hemvn_kernel_lowerILb0ELi64ELi4ELi33ELi32ELi16EifPKPKfPfEviT6_lT7_lT5_lS6_lS7_lS5_lT8_i.num_vgpr, 92
	.set _ZL26rocblas_hemvn_kernel_lowerILb0ELi64ELi4ELi33ELi32ELi16EifPKPKfPfEviT6_lT7_lT5_lS6_lS7_lS5_lT8_i.num_agpr, 0
	.set _ZL26rocblas_hemvn_kernel_lowerILb0ELi64ELi4ELi33ELi32ELi16EifPKPKfPfEviT6_lT7_lT5_lS6_lS7_lS5_lT8_i.numbered_sgpr, 103
	.set _ZL26rocblas_hemvn_kernel_lowerILb0ELi64ELi4ELi33ELi32ELi16EifPKPKfPfEviT6_lT7_lT5_lS6_lS7_lS5_lT8_i.num_named_barrier, 0
	.set _ZL26rocblas_hemvn_kernel_lowerILb0ELi64ELi4ELi33ELi32ELi16EifPKPKfPfEviT6_lT7_lT5_lS6_lS7_lS5_lT8_i.private_seg_size, 0
	.set _ZL26rocblas_hemvn_kernel_lowerILb0ELi64ELi4ELi33ELi32ELi16EifPKPKfPfEviT6_lT7_lT5_lS6_lS7_lS5_lT8_i.uses_vcc, 1
	.set _ZL26rocblas_hemvn_kernel_lowerILb0ELi64ELi4ELi33ELi32ELi16EifPKPKfPfEviT6_lT7_lT5_lS6_lS7_lS5_lT8_i.uses_flat_scratch, 1
	.set _ZL26rocblas_hemvn_kernel_lowerILb0ELi64ELi4ELi33ELi32ELi16EifPKPKfPfEviT6_lT7_lT5_lS6_lS7_lS5_lT8_i.has_dyn_sized_stack, 0
	.set _ZL26rocblas_hemvn_kernel_lowerILb0ELi64ELi4ELi33ELi32ELi16EifPKPKfPfEviT6_lT7_lT5_lS6_lS7_lS5_lT8_i.has_recursion, 0
	.set _ZL26rocblas_hemvn_kernel_lowerILb0ELi64ELi4ELi33ELi32ELi16EifPKPKfPfEviT6_lT7_lT5_lS6_lS7_lS5_lT8_i.has_indirect_call, 0
	.section	.AMDGPU.csdata,"",@progbits
; Kernel info:
; codeLenInByte = 7028
; TotalNumSgprs: 105
; NumVgprs: 92
; ScratchSize: 0
; MemoryBound: 0
; FloatMode: 240
; IeeeMode: 1
; LDSByteSize: 4800 bytes/workgroup (compile time only)
; SGPRBlocks: 0
; VGPRBlocks: 11
; NumSGPRsForWavesPerEU: 105
; NumVGPRsForWavesPerEU: 92
; Occupancy: 16
; WaveLimiterHint : 1
; COMPUTE_PGM_RSRC2:SCRATCH_EN: 0
; COMPUTE_PGM_RSRC2:USER_SGPR: 2
; COMPUTE_PGM_RSRC2:TRAP_HANDLER: 0
; COMPUTE_PGM_RSRC2:TGID_X_EN: 1
; COMPUTE_PGM_RSRC2:TGID_Y_EN: 0
; COMPUTE_PGM_RSRC2:TGID_Z_EN: 1
; COMPUTE_PGM_RSRC2:TIDIG_COMP_CNT: 1
	.section	.text._ZL36rocblas_hemvn_kernel_lower_block_sumILi64EifPKPffEviT1_lS3_lT2_lT0_lPT3_i,"axG",@progbits,_ZL36rocblas_hemvn_kernel_lower_block_sumILi64EifPKPffEviT1_lS3_lT2_lT0_lPT3_i,comdat
	.globl	_ZL36rocblas_hemvn_kernel_lower_block_sumILi64EifPKPffEviT1_lS3_lT2_lT0_lPT3_i ; -- Begin function _ZL36rocblas_hemvn_kernel_lower_block_sumILi64EifPKPffEviT1_lS3_lT2_lT0_lPT3_i
	.p2align	8
	.type	_ZL36rocblas_hemvn_kernel_lower_block_sumILi64EifPKPffEviT1_lS3_lT2_lT0_lPT3_i,@function
_ZL36rocblas_hemvn_kernel_lower_block_sumILi64EifPKPffEviT1_lS3_lT2_lT0_lPT3_i: ; @_ZL36rocblas_hemvn_kernel_lower_block_sumILi64EifPKPffEviT1_lS3_lT2_lT0_lPT3_i
; %bb.0:
	s_load_b32 s3, s[0:1], 0x48
	s_lshr_b32 s8, ttmp7, 16
	s_wait_kmcnt 0x0
	s_cmp_ge_u32 s8, s3
	s_cbranch_scc1 .LBB154_25
; %bb.1:
	s_clause 0x2
	s_load_b64 s[10:11], s[0:1], 0x0
	s_load_b32 s2, s[0:1], 0x30
	s_load_b32 s18, s[0:1], 0x10
	v_lshl_or_b32 v0, ttmp9, 6, v0
	s_clause 0x1
	s_load_b64 s[12:13], s[0:1], 0x40
	s_load_b128 s[4:7], s[0:1], 0x20
	s_mov_b32 s9, 0
	s_add_nc_u64 s[0:1], s[0:1], 0x50
	s_wait_kmcnt 0x0
	s_cmp_eq_f32 s11, 0
	v_mul_lo_u32 v1, s2, v0
	v_cmp_gt_i32_e64 s2, s10, v0
	s_mov_b32 s14, s10
	s_cselect_b32 s19, -1, 0
	s_cmp_neq_f32 s11, 0
	s_cselect_b32 s15, -1, 0
	s_wait_alu 0xfffe
	v_mad_co_u64_u32 v[3:4], null, s10, ttmp9, v[0:1]
	s_cmp_neq_f32 s18, 1.0
	v_ashrrev_i32_e32 v2, 31, v1
	s_cselect_b32 s16, -1, 0
	v_ashrrev_i32_e32 v4, 31, v3
	s_or_b32 s20, s15, s16
	s_cmp_neq_f32 s18, 0
	v_lshlrev_b64_e32 v[0:1], 2, v[1:2]
	s_delay_alu instid0(VALU_DEP_2) | instskip(SKIP_3) | instid1(VALU_DEP_1)
	v_lshlrev_b64_e32 v[3:4], 2, v[3:4]
	s_cselect_b32 s21, -1, 0
	s_cmp_eq_f32 s18, 0
	s_cselect_b32 s22, -1, 0
	v_add_co_u32 v2, vcc_lo, s12, v3
	s_delay_alu instid0(VALU_DEP_1)
	v_add_co_ci_u32_e64 v3, null, s13, v4, vcc_lo
	s_ashr_i32 s15, s10, 31
	s_lshl_b64 s[6:7], s[6:7], 2
	s_lshl_b64 s[12:13], s[14:15], 2
	s_branch .LBB154_4
.LBB154_2:                              ;   in Loop: Header=BB154_4 Depth=1
	s_or_b32 exec_lo, exec_lo, s16
.LBB154_3:                              ;   in Loop: Header=BB154_4 Depth=1
	s_add_co_i32 s8, s8, 0x10000
	s_wait_alu 0xfffe
	s_cmp_lt_u32 s8, s3
	s_cbranch_scc0 .LBB154_25
.LBB154_4:                              ; =>This Loop Header: Depth=1
                                        ;     Child Loop BB154_16 Depth 2
	s_and_not1_b32 vcc_lo, exec_lo, s20
	s_wait_alu 0xfffe
	s_cbranch_vccnz .LBB154_3
; %bb.5:                                ;   in Loop: Header=BB154_4 Depth=1
	s_lshl_b64 s[14:15], s[8:9], 3
	s_and_not1_b32 vcc_lo, exec_lo, s19
	s_wait_alu 0xfffe
	s_add_nc_u64 s[14:15], s[4:5], s[14:15]
	s_load_b64 s[14:15], s[14:15], 0x0
	s_wait_kmcnt 0x0
	s_add_nc_u64 s[14:15], s[14:15], s[6:7]
	s_cbranch_vccnz .LBB154_9
; %bb.6:                                ;   in Loop: Header=BB154_4 Depth=1
	s_mov_b32 s16, 0
	s_mov_b32 s10, 0
                                        ; implicit-def: $vgpr4
	s_and_saveexec_b32 s17, s2
	s_cbranch_execz .LBB154_10
; %bb.7:                                ;   in Loop: Header=BB154_4 Depth=1
	s_and_not1_b32 vcc_lo, exec_lo, s21
	s_wait_alu 0xfffe
	s_cbranch_vccnz .LBB154_11
; %bb.8:                                ;   in Loop: Header=BB154_4 Depth=1
	v_add_co_u32 v4, vcc_lo, s14, v0
	s_wait_alu 0xfffd
	v_add_co_ci_u32_e64 v5, null, s15, v1, vcc_lo
	flat_load_b32 v4, v[4:5]
	s_wait_loadcnt_dscnt 0x0
	v_mul_f32_e32 v4, s18, v4
	s_branch .LBB154_12
.LBB154_9:                              ;   in Loop: Header=BB154_4 Depth=1
	s_mov_b32 s10, 0
                                        ; implicit-def: $vgpr4
	s_cbranch_execnz .LBB154_13
	s_branch .LBB154_23
.LBB154_10:                             ;   in Loop: Header=BB154_4 Depth=1
	s_or_b32 exec_lo, exec_lo, s17
	s_delay_alu instid0(SALU_CYCLE_1)
	s_and_b32 vcc_lo, exec_lo, s16
	s_wait_alu 0xfffe
	s_cbranch_vccnz .LBB154_13
	s_branch .LBB154_23
.LBB154_11:                             ;   in Loop: Header=BB154_4 Depth=1
	v_mov_b32_e32 v4, 0
.LBB154_12:                             ;   in Loop: Header=BB154_4 Depth=1
	s_mov_b32 s10, exec_lo
	s_or_b32 exec_lo, exec_lo, s17
	s_delay_alu instid0(SALU_CYCLE_1)
	s_and_b32 vcc_lo, exec_lo, s16
	s_wait_alu 0xfffe
	s_cbranch_vccz .LBB154_23
.LBB154_13:                             ;   in Loop: Header=BB154_4 Depth=1
                                        ; implicit-def: $vgpr4
	s_and_saveexec_b32 s23, s2
	s_cbranch_execz .LBB154_22
; %bb.14:                               ;   in Loop: Header=BB154_4 Depth=1
	s_load_b32 s16, s[0:1], 0x0
	v_mov_b32_e32 v6, 0
	s_wait_kmcnt 0x0
	s_cmp_ge_i32 ttmp9, s16
	s_cbranch_scc1 .LBB154_17
; %bb.15:                               ;   in Loop: Header=BB154_4 Depth=1
	s_mov_b32 s17, s9
	s_mov_b32 s24, ttmp9
	s_mul_u64 s[26:27], s[12:13], s[16:17]
	s_wait_alu 0xfffe
	v_mad_co_u64_u32 v[4:5], null, s26, s8, v[2:3]
	s_delay_alu instid0(VALU_DEP_1)
	v_mad_co_u64_u32 v[5:6], null, s27, s8, v[5:6]
	v_mov_b32_e32 v6, 0
.LBB154_16:                             ;   Parent Loop BB154_4 Depth=1
                                        ; =>  This Inner Loop Header: Depth=2
	global_load_b32 v7, v[4:5], off
	v_add_co_u32 v4, vcc_lo, v4, s12
	s_wait_alu 0xfffd
	v_add_co_ci_u32_e64 v5, null, s13, v5, vcc_lo
	s_add_co_i32 s24, s24, 1
	s_delay_alu instid0(SALU_CYCLE_1)
	s_cmp_ge_i32 s24, s16
	s_wait_loadcnt 0x0
	v_add_f32_e32 v6, v6, v7
	s_cbranch_scc0 .LBB154_16
.LBB154_17:                             ;   in Loop: Header=BB154_4 Depth=1
	s_and_b32 vcc_lo, exec_lo, s22
	s_mov_b32 s16, -1
                                        ; implicit-def: $vgpr4
	s_wait_alu 0xfffe
	s_cbranch_vccz .LBB154_19
; %bb.18:                               ;   in Loop: Header=BB154_4 Depth=1
	v_mul_f32_e32 v4, s11, v6
	s_mov_b32 s16, 0
.LBB154_19:                             ;   in Loop: Header=BB154_4 Depth=1
	s_delay_alu instid0(SALU_CYCLE_1)
	s_and_not1_b32 vcc_lo, exec_lo, s16
	s_wait_alu 0xfffe
	s_cbranch_vccnz .LBB154_21
; %bb.20:                               ;   in Loop: Header=BB154_4 Depth=1
	v_add_co_u32 v4, vcc_lo, s14, v0
	s_wait_alu 0xfffd
	v_add_co_ci_u32_e64 v5, null, s15, v1, vcc_lo
	flat_load_b32 v4, v[4:5]
	s_wait_loadcnt_dscnt 0x0
	v_mul_f32_e32 v4, s18, v4
	s_delay_alu instid0(VALU_DEP_1)
	v_fmac_f32_e32 v4, s11, v6
.LBB154_21:                             ;   in Loop: Header=BB154_4 Depth=1
	s_or_b32 s10, s10, exec_lo
.LBB154_22:                             ;   in Loop: Header=BB154_4 Depth=1
	s_or_b32 exec_lo, exec_lo, s23
.LBB154_23:                             ;   in Loop: Header=BB154_4 Depth=1
	s_wait_alu 0xfffe
	s_and_saveexec_b32 s16, s10
	s_cbranch_execz .LBB154_2
; %bb.24:                               ;   in Loop: Header=BB154_4 Depth=1
	v_add_co_u32 v5, vcc_lo, s14, v0
	s_wait_alu 0xfffd
	v_add_co_ci_u32_e64 v6, null, s15, v1, vcc_lo
	flat_store_b32 v[5:6], v4
	s_branch .LBB154_2
.LBB154_25:
	s_endpgm
	.section	.rodata,"a",@progbits
	.p2align	6, 0x0
	.amdhsa_kernel _ZL36rocblas_hemvn_kernel_lower_block_sumILi64EifPKPffEviT1_lS3_lT2_lT0_lPT3_i
		.amdhsa_group_segment_fixed_size 0
		.amdhsa_private_segment_fixed_size 0
		.amdhsa_kernarg_size 336
		.amdhsa_user_sgpr_count 2
		.amdhsa_user_sgpr_dispatch_ptr 0
		.amdhsa_user_sgpr_queue_ptr 0
		.amdhsa_user_sgpr_kernarg_segment_ptr 1
		.amdhsa_user_sgpr_dispatch_id 0
		.amdhsa_user_sgpr_private_segment_size 0
		.amdhsa_wavefront_size32 1
		.amdhsa_uses_dynamic_stack 0
		.amdhsa_enable_private_segment 0
		.amdhsa_system_sgpr_workgroup_id_x 1
		.amdhsa_system_sgpr_workgroup_id_y 0
		.amdhsa_system_sgpr_workgroup_id_z 1
		.amdhsa_system_sgpr_workgroup_info 0
		.amdhsa_system_vgpr_workitem_id 0
		.amdhsa_next_free_vgpr 8
		.amdhsa_next_free_sgpr 28
		.amdhsa_reserve_vcc 1
		.amdhsa_float_round_mode_32 0
		.amdhsa_float_round_mode_16_64 0
		.amdhsa_float_denorm_mode_32 3
		.amdhsa_float_denorm_mode_16_64 3
		.amdhsa_fp16_overflow 0
		.amdhsa_workgroup_processor_mode 1
		.amdhsa_memory_ordered 1
		.amdhsa_forward_progress 1
		.amdhsa_inst_pref_size 6
		.amdhsa_round_robin_scheduling 0
		.amdhsa_exception_fp_ieee_invalid_op 0
		.amdhsa_exception_fp_denorm_src 0
		.amdhsa_exception_fp_ieee_div_zero 0
		.amdhsa_exception_fp_ieee_overflow 0
		.amdhsa_exception_fp_ieee_underflow 0
		.amdhsa_exception_fp_ieee_inexact 0
		.amdhsa_exception_int_div_zero 0
	.end_amdhsa_kernel
	.section	.text._ZL36rocblas_hemvn_kernel_lower_block_sumILi64EifPKPffEviT1_lS3_lT2_lT0_lPT3_i,"axG",@progbits,_ZL36rocblas_hemvn_kernel_lower_block_sumILi64EifPKPffEviT1_lS3_lT2_lT0_lPT3_i,comdat
.Lfunc_end154:
	.size	_ZL36rocblas_hemvn_kernel_lower_block_sumILi64EifPKPffEviT1_lS3_lT2_lT0_lPT3_i, .Lfunc_end154-_ZL36rocblas_hemvn_kernel_lower_block_sumILi64EifPKPffEviT1_lS3_lT2_lT0_lPT3_i
                                        ; -- End function
	.set _ZL36rocblas_hemvn_kernel_lower_block_sumILi64EifPKPffEviT1_lS3_lT2_lT0_lPT3_i.num_vgpr, 8
	.set _ZL36rocblas_hemvn_kernel_lower_block_sumILi64EifPKPffEviT1_lS3_lT2_lT0_lPT3_i.num_agpr, 0
	.set _ZL36rocblas_hemvn_kernel_lower_block_sumILi64EifPKPffEviT1_lS3_lT2_lT0_lPT3_i.numbered_sgpr, 28
	.set _ZL36rocblas_hemvn_kernel_lower_block_sumILi64EifPKPffEviT1_lS3_lT2_lT0_lPT3_i.num_named_barrier, 0
	.set _ZL36rocblas_hemvn_kernel_lower_block_sumILi64EifPKPffEviT1_lS3_lT2_lT0_lPT3_i.private_seg_size, 0
	.set _ZL36rocblas_hemvn_kernel_lower_block_sumILi64EifPKPffEviT1_lS3_lT2_lT0_lPT3_i.uses_vcc, 1
	.set _ZL36rocblas_hemvn_kernel_lower_block_sumILi64EifPKPffEviT1_lS3_lT2_lT0_lPT3_i.uses_flat_scratch, 0
	.set _ZL36rocblas_hemvn_kernel_lower_block_sumILi64EifPKPffEviT1_lS3_lT2_lT0_lPT3_i.has_dyn_sized_stack, 0
	.set _ZL36rocblas_hemvn_kernel_lower_block_sumILi64EifPKPffEviT1_lS3_lT2_lT0_lPT3_i.has_recursion, 0
	.set _ZL36rocblas_hemvn_kernel_lower_block_sumILi64EifPKPffEviT1_lS3_lT2_lT0_lPT3_i.has_indirect_call, 0
	.section	.AMDGPU.csdata,"",@progbits
; Kernel info:
; codeLenInByte = 712
; TotalNumSgprs: 30
; NumVgprs: 8
; ScratchSize: 0
; MemoryBound: 0
; FloatMode: 240
; IeeeMode: 1
; LDSByteSize: 0 bytes/workgroup (compile time only)
; SGPRBlocks: 0
; VGPRBlocks: 0
; NumSGPRsForWavesPerEU: 30
; NumVGPRsForWavesPerEU: 8
; Occupancy: 16
; WaveLimiterHint : 1
; COMPUTE_PGM_RSRC2:SCRATCH_EN: 0
; COMPUTE_PGM_RSRC2:USER_SGPR: 2
; COMPUTE_PGM_RSRC2:TRAP_HANDLER: 0
; COMPUTE_PGM_RSRC2:TGID_X_EN: 1
; COMPUTE_PGM_RSRC2:TGID_Y_EN: 0
; COMPUTE_PGM_RSRC2:TGID_Z_EN: 1
; COMPUTE_PGM_RSRC2:TIDIG_COMP_CNT: 0
	.section	.text._ZL50rocblas_symv_kernel_upper_double_buffered_diagonalILi32ELi4E24rocblas_internal_val_ptrIdEPKPKdPKPdEvbiT1_lT2_lllSA_lllS9_lT3_llli,"axG",@progbits,_ZL50rocblas_symv_kernel_upper_double_buffered_diagonalILi32ELi4E24rocblas_internal_val_ptrIdEPKPKdPKPdEvbiT1_lT2_lllSA_lllS9_lT3_llli,comdat
	.globl	_ZL50rocblas_symv_kernel_upper_double_buffered_diagonalILi32ELi4E24rocblas_internal_val_ptrIdEPKPKdPKPdEvbiT1_lT2_lllSA_lllS9_lT3_llli ; -- Begin function _ZL50rocblas_symv_kernel_upper_double_buffered_diagonalILi32ELi4E24rocblas_internal_val_ptrIdEPKPKdPKPdEvbiT1_lT2_lllSA_lllS9_lT3_llli
	.p2align	8
	.type	_ZL50rocblas_symv_kernel_upper_double_buffered_diagonalILi32ELi4E24rocblas_internal_val_ptrIdEPKPKdPKPdEvbiT1_lT2_lllSA_lllS9_lT3_llli,@function
_ZL50rocblas_symv_kernel_upper_double_buffered_diagonalILi32ELi4E24rocblas_internal_val_ptrIdEPKPKdPKPdEvbiT1_lT2_lllSA_lllS9_lT3_llli: ; @_ZL50rocblas_symv_kernel_upper_double_buffered_diagonalILi32ELi4E24rocblas_internal_val_ptrIdEPKPKdPKPdEvbiT1_lT2_lllSA_lllS9_lT3_llli
; %bb.0:
	s_clause 0x2
	s_load_b256 s[12:19], s[0:1], 0x8
	s_load_b128 s[20:23], s[0:1], 0x58
	s_load_b32 s11, s[0:1], 0x88
	s_wait_kmcnt 0x0
	v_dual_mov_b32 v1, s12 :: v_dual_mov_b32 v2, s13
	v_dual_mov_b32 v3, s20 :: v_dual_mov_b32 v4, s21
	s_lshr_b32 s12, ttmp7, 16
	s_clause 0x1
	scratch_store_b64 off, v[1:2], off
	scratch_store_b64 off, v[3:4], off offset:8
	s_wait_alu 0xfffe
	s_cmp_ge_u32 s12, s11
	s_cbranch_scc1 .LBB155_48
; %bb.1:
	s_clause 0x3
	s_load_b128 s[28:31], s[0:1], 0x70
	s_load_b64 s[34:35], s[0:1], 0x28
	s_load_b64 s[2:3], s[0:1], 0x48
	s_load_b32 s4, s[0:1], 0x0
	v_and_b32_e32 v10, 0x3ff, v0
	v_bfe_u32 v11, v0, 10, 10
	s_clause 0x1
	s_load_b64 s[20:21], s[0:1], 0x68
	s_load_b128 s[24:27], s[0:1], 0x38
	s_mov_b32 s13, 0
	v_cmp_eq_u32_e64 s0, 0, v11
	s_wait_kmcnt 0x0
	v_mad_co_u64_u32 v[0:1], null, s30, v10, 0
	v_mad_co_u64_u32 v[2:3], null, s2, v10, 0
	;; [unrolled: 1-line block ×3, first 2 shown]
	s_bitcmp1_b32 s4, 0
	s_add_nc_u64 s[4:5], s[34:35], 1
	s_cselect_b32 s1, -1, 0
	s_lshl_b32 s6, ttmp9, 5
	v_mad_co_u64_u32 v[6:7], null, s31, v10, v[1:2]
	s_ashr_i32 s7, s6, 31
	s_xor_b32 s33, s1, -1
	s_mul_u64 s[36:37], s[30:31], s[6:7]
	s_mul_u64 s[40:41], s[4:5], s[6:7]
	;; [unrolled: 1-line block ×3, first 2 shown]
	s_lshl_b64 s[42:43], s[34:35], 2
	v_mad_co_u64_u32 v[7:8], null, s35, v11, v[5:6]
	v_mov_b32_e32 v1, v6
	v_sub_co_u32 v14, s8, v10, v11
	v_mad_co_u64_u32 v[8:9], null, s3, v10, v[3:4]
	v_dual_mov_b32 v16, 0 :: v_dual_lshlrev_b32 v13, 3, v10
	v_dual_mov_b32 v5, v7 :: v_dual_lshlrev_b32 v6, 8, v11
	s_delay_alu instid0(VALU_DEP_4) | instskip(SKIP_2) | instid1(VALU_DEP_4)
	v_sub_nc_u32_e32 v7, 0, v14
	v_lshl_add_u32 v12, v11, 5, v10
	v_lshlrev_b32_e32 v11, 3, v11
	v_dual_mov_b32 v3, v8 :: v_dual_add_nc_u32 v8, 0x1000, v6
	s_delay_alu instid0(VALU_DEP_4)
	v_max_i32_e32 v7, v14, v7
	v_mul_u32_u24_e32 v14, 0xf8, v10
	v_add_nc_u32_e32 v9, 0x1400, v6
	v_add_nc_u32_e32 v15, 0x1800, v6
	;; [unrolled: 1-line block ×4, first 2 shown]
	v_add3_u32 v18, v13, v14, v11
	v_add_nc_u32_e32 v14, 0x400, v6
	v_add_nc_u32_e32 v29, 0x800, v6
	;; [unrolled: 1-line block ×3, first 2 shown]
	v_lshlrev_b64_e32 v[0:1], 3, v[0:1]
	v_lshlrev_b64_e32 v[2:3], 3, v[2:3]
	v_lshlrev_b64_e32 v[4:5], 3, v[4:5]
	v_add_nc_u32_e32 v17, 0x2800, v13
	v_cmp_gt_u32_e64 s1, 16, v10
	s_xor_b32 s44, s8, -1
	v_cmp_lt_u32_e64 s2, 16, v7
	v_cmp_lt_u32_e64 s3, 20, v7
	;; [unrolled: 1-line block ×7, first 2 shown]
	v_add_nc_u32_e32 v20, 0x2800, v11
	v_lshl_add_u32 v21, v12, 3, 0x2000
	v_or_b32_e32 v22, 0x2000, v13
	v_lshlrev_b32_e32 v23, 3, v10
	v_add_nc_u32_e32 v24, v13, v8
	v_add_nc_u32_e32 v25, v13, v9
	;; [unrolled: 1-line block ×7, first 2 shown]
	s_lshl_b64 s[30:31], s[34:35], 7
	s_lshl_b64 s[34:35], s[34:35], 5
	;; [unrolled: 1-line block ×9, first 2 shown]
	s_branch .LBB155_4
.LBB155_2:                              ;   in Loop: Header=BB155_4 Depth=1
	s_wait_alu 0xfffe
	s_or_b32 exec_lo, exec_lo, s9
.LBB155_3:                              ;   in Loop: Header=BB155_4 Depth=1
	s_delay_alu instid0(SALU_CYCLE_1)
	s_or_b32 exec_lo, exec_lo, s45
	s_add_co_i32 s12, s12, 0x10000
	s_wait_alu 0xfffe
	s_cmp_lt_u32 s12, s11
	s_cbranch_scc0 .LBB155_48
.LBB155_4:                              ; =>This Inner Loop Header: Depth=1
	s_and_b32 vcc_lo, exec_lo, s33
	s_mov_b32 s9, -1
                                        ; implicit-def: $vgpr6_vgpr7
	s_wait_alu 0xfffe
	s_cbranch_vccnz .LBB155_38
; %bb.5:                                ;   in Loop: Header=BB155_4 Depth=1
	s_and_not1_b32 vcc_lo, exec_lo, s9
	s_wait_alu 0xfffe
	s_cbranch_vccz .LBB155_39
.LBB155_6:                              ;   in Loop: Header=BB155_4 Depth=1
	s_and_b32 vcc_lo, exec_lo, s33
	s_mov_b32 s9, -1
                                        ; implicit-def: $vgpr8_vgpr9
	s_wait_alu 0xfffe
	s_cbranch_vccnz .LBB155_40
.LBB155_7:                              ;   in Loop: Header=BB155_4 Depth=1
	s_and_not1_b32 vcc_lo, exec_lo, s9
	s_wait_alu 0xfffe
	s_cbranch_vccnz .LBB155_9
.LBB155_8:                              ;   in Loop: Header=BB155_4 Depth=1
	s_wait_loadcnt_dscnt 0x0
	scratch_load_b64 v[8:9], off, off offset:8
.LBB155_9:                              ;   in Loop: Header=BB155_4 Depth=1
	s_wait_loadcnt_dscnt 0x0
	v_cmp_neq_f64_e32 vcc_lo, 0, v[6:7]
	v_cmp_neq_f64_e64 s9, 1.0, v[8:9]
	s_or_b32 s9, vcc_lo, s9
	s_wait_alu 0xfffe
	s_and_saveexec_b32 s45, s9
	s_cbranch_execz .LBB155_3
; %bb.10:                               ;   in Loop: Header=BB155_4 Depth=1
	v_cmp_neq_f64_e64 s9, 0, v[6:7]
	v_cmp_eq_f64_e32 vcc_lo, 0, v[6:7]
	v_dual_mov_b32 v10, s12 :: v_dual_mov_b32 v11, s13
	s_and_saveexec_b32 s10, vcc_lo
	s_wait_alu 0xfffe
	s_xor_b32 s10, exec_lo, s10
; %bb.11:                               ;   in Loop: Header=BB155_4 Depth=1
	v_dual_mov_b32 v10, s12 :: v_dual_mov_b32 v11, s13
; %bb.12:                               ;   in Loop: Header=BB155_4 Depth=1
	s_wait_alu 0xfffe
	s_or_saveexec_b32 s46, s10
	v_mov_b32_e32 v14, 0
	v_dual_mov_b32 v15, 0 :: v_dual_mov_b32 v12, 0
	v_mov_b32_e32 v13, 0
	s_wait_alu 0xfffe
	s_xor_b32 exec_lo, exec_lo, s46
	s_cbranch_execz .LBB155_14
; %bb.13:                               ;   in Loop: Header=BB155_4 Depth=1
	s_lshl_b64 s[48:49], s[12:13], 3
	s_delay_alu instid0(SALU_CYCLE_1)
	s_add_nc_u64 s[48:49], s[16:17], s[48:49]
	global_load_b64 v[12:13], v16, s[48:49]
	s_wait_loadcnt 0x0
	v_add_co_u32 v12, s10, v12, s18
	s_wait_alu 0xf1ff
	v_add_co_ci_u32_e64 v13, null, s19, v13, s10
.LBB155_14:                             ;   in Loop: Header=BB155_4 Depth=1
	s_or_b32 exec_lo, exec_lo, s46
	v_lshlrev_b64_e32 v[10:11], 3, v[10:11]
	s_and_saveexec_b32 s10, s9
	s_cbranch_execz .LBB155_16
; %bb.15:                               ;   in Loop: Header=BB155_4 Depth=1
	s_delay_alu instid0(VALU_DEP_1) | instskip(SKIP_1) | instid1(VALU_DEP_2)
	v_add_co_u32 v14, s9, s24, v10
	s_wait_alu 0xf1ff
	v_add_co_ci_u32_e64 v15, null, s25, v11, s9
	global_load_b64 v[14:15], v[14:15], off
	s_wait_loadcnt 0x0
	v_add_co_u32 v14, s9, v14, s26
	s_wait_alu 0xf1ff
	v_add_co_ci_u32_e64 v15, null, s27, v15, s9
.LBB155_16:                             ;   in Loop: Header=BB155_4 Depth=1
	s_wait_alu 0xfffe
	s_or_b32 exec_lo, exec_lo, s10
	s_delay_alu instid0(VALU_DEP_1)
	v_add_co_u32 v10, s9, s20, v10
	s_wait_alu 0xf1ff
	v_add_co_ci_u32_e64 v11, null, s21, v11, s9
	global_load_b64 v[10:11], v[10:11], off
	s_wait_loadcnt 0x0
	v_add_co_u32 v10, s9, v10, s28
	s_wait_alu 0xf1ff
	v_add_co_ci_u32_e64 v11, null, s29, v11, s9
	s_delay_alu instid0(VALU_DEP_2) | instskip(SKIP_1) | instid1(VALU_DEP_2)
	v_add_co_u32 v31, s9, v10, s36
	s_wait_alu 0xf1ff
	v_add_co_ci_u32_e64 v32, null, s37, v11, s9
	s_and_saveexec_b32 s9, vcc_lo
	s_wait_alu 0xfffe
	s_xor_b32 s9, exec_lo, s9
	s_cbranch_execz .LBB155_20
; %bb.17:                               ;   in Loop: Header=BB155_4 Depth=1
	s_and_saveexec_b32 s10, s0
	s_cbranch_execz .LBB155_19
; %bb.18:                               ;   in Loop: Header=BB155_4 Depth=1
	v_add_co_u32 v6, vcc_lo, v31, v0
	s_wait_alu 0xfffd
	v_add_co_ci_u32_e64 v7, null, v32, v1, vcc_lo
	flat_load_b64 v[10:11], v[6:7]
	s_wait_loadcnt_dscnt 0x0
	v_mul_f64_e32 v[8:9], v[8:9], v[10:11]
	flat_store_b64 v[6:7], v[8:9]
.LBB155_19:                             ;   in Loop: Header=BB155_4 Depth=1
	s_wait_alu 0xfffe
	s_or_b32 exec_lo, exec_lo, s10
                                        ; implicit-def: $vgpr6_vgpr7
                                        ; implicit-def: $vgpr8_vgpr9
                                        ; implicit-def: $vgpr31
                                        ; implicit-def: $vgpr32
                                        ; implicit-def: $vgpr12_vgpr13
                                        ; implicit-def: $vgpr14_vgpr15
.LBB155_20:                             ;   in Loop: Header=BB155_4 Depth=1
	s_wait_alu 0xfffe
	s_and_not1_saveexec_b32 s9, s9
	s_cbranch_execz .LBB155_3
; %bb.21:                               ;   in Loop: Header=BB155_4 Depth=1
	v_mov_b32_e32 v10, 0
	v_mov_b32_e32 v11, 0
	s_and_saveexec_b32 s9, s0
	s_cbranch_execz .LBB155_25
; %bb.22:                               ;   in Loop: Header=BB155_4 Depth=1
	v_mov_b32_e32 v10, 0
	v_mov_b32_e32 v11, 0
	s_mov_b32 s10, exec_lo
	v_cmpx_neq_f64_e32 0, v[8:9]
	s_cbranch_execz .LBB155_24
; %bb.23:                               ;   in Loop: Header=BB155_4 Depth=1
	v_add_co_u32 v10, vcc_lo, v31, v0
	s_wait_alu 0xfffd
	v_add_co_ci_u32_e64 v11, null, v32, v1, vcc_lo
	flat_load_b64 v[10:11], v[10:11]
	s_wait_loadcnt_dscnt 0x0
	v_mul_f64_e32 v[10:11], v[8:9], v[10:11]
.LBB155_24:                             ;   in Loop: Header=BB155_4 Depth=1
	s_wait_alu 0xfffe
	s_or_b32 exec_lo, exec_lo, s10
	v_add_co_u32 v14, vcc_lo, v14, s38
	s_wait_alu 0xfffd
	v_add_co_ci_u32_e64 v15, null, s39, v15, vcc_lo
	s_delay_alu instid0(VALU_DEP_2) | instskip(SKIP_1) | instid1(VALU_DEP_2)
	v_add_co_u32 v14, vcc_lo, v14, v2
	s_wait_alu 0xfffd
	v_add_co_ci_u32_e64 v15, null, v15, v3, vcc_lo
	flat_load_b64 v[14:15], v[14:15]
	s_wait_loadcnt_dscnt 0x0
	ds_store_b64 v17, v[14:15]
.LBB155_25:                             ;   in Loop: Header=BB155_4 Depth=1
	s_wait_alu 0xfffe
	s_or_b32 exec_lo, exec_lo, s9
	v_add_co_u32 v12, vcc_lo, v12, s40
	s_wait_alu 0xfffd
	v_add_co_ci_u32_e64 v13, null, s41, v13, vcc_lo
	s_delay_alu instid0(VALU_DEP_2) | instskip(SKIP_1) | instid1(VALU_DEP_2)
	v_add_co_u32 v12, vcc_lo, v12, v4
	s_wait_alu 0xfffd
	v_add_co_ci_u32_e64 v13, null, v13, v5, vcc_lo
	s_delay_alu instid0(VALU_DEP_2) | instskip(SKIP_1) | instid1(VALU_DEP_2)
	v_add_co_u32 v12, vcc_lo, v12, v23
	s_wait_alu 0xfffd
	v_add_co_ci_u32_e64 v13, null, 0, v13, vcc_lo
	s_and_saveexec_b32 s9, s1
	s_cbranch_execz .LBB155_27
; %bb.26:                               ;   in Loop: Header=BB155_4 Depth=1
	v_add_co_u32 v14, vcc_lo, v12, s42
	s_wait_alu 0xfffd
	v_add_co_ci_u32_e64 v15, null, s43, v13, vcc_lo
	s_delay_alu instid0(VALU_DEP_2) | instskip(SKIP_1) | instid1(VALU_DEP_2)
	v_add_co_u32 v33, vcc_lo, v14, s34
	s_wait_alu 0xfffd
	v_add_co_ci_u32_e64 v34, null, s35, v15, vcc_lo
	s_delay_alu instid0(VALU_DEP_2) | instskip(SKIP_1) | instid1(VALU_DEP_2)
	v_add_co_u32 v35, vcc_lo, v33, s34
	s_wait_alu 0xfffd
	v_add_co_ci_u32_e64 v36, null, s35, v34, vcc_lo
	s_clause 0x3
	flat_load_b64 v[37:38], v[12:13]
	flat_load_b64 v[14:15], v[14:15]
	;; [unrolled: 1-line block ×4, first 2 shown]
	s_wait_loadcnt_dscnt 0x202
	ds_store_2addr_stride64_b64 v19, v[37:38], v[14:15] offset1:2
	s_wait_loadcnt_dscnt 0x1
	ds_store_2addr_stride64_b64 v19, v[33:34], v[35:36] offset0:4 offset1:6
.LBB155_27:                             ;   in Loop: Header=BB155_4 Depth=1
	s_wait_alu 0xfffe
	s_or_b32 exec_lo, exec_lo, s9
	v_add_co_u32 v12, vcc_lo, v12, s30
	s_wait_alu 0xfffd
	v_add_co_ci_u32_e64 v13, null, s31, v13, vcc_lo
	s_delay_alu instid0(VALU_DEP_2) | instskip(SKIP_1) | instid1(VALU_DEP_2)
	v_add_co_u32 v14, vcc_lo, v12, s42
	s_wait_alu 0xfffd
	v_add_co_ci_u32_e64 v15, null, s43, v13, vcc_lo
	s_delay_alu instid0(VALU_DEP_2) | instskip(SKIP_1) | instid1(VALU_DEP_2)
	;; [unrolled: 4-line block ×3, first 2 shown]
	v_add_co_u32 v35, vcc_lo, v33, s34
	s_wait_alu 0xfffd
	v_add_co_ci_u32_e64 v36, null, s35, v34, vcc_lo
	s_clause 0x3
	flat_load_b64 v[12:13], v[12:13]
	flat_load_b64 v[14:15], v[14:15]
	;; [unrolled: 1-line block ×4, first 2 shown]
	s_wait_loadcnt_dscnt 0x303
	ds_store_b64 v24, v[12:13]
	s_wait_loadcnt_dscnt 0x203
	ds_store_b64 v25, v[14:15]
	;; [unrolled: 2-line block ×4, first 2 shown]
	s_wait_storecnt_dscnt 0x0
	s_barrier_signal -1
	s_barrier_wait -1
	global_inv scope:SCOPE_SE
	s_and_saveexec_b32 s9, s2
	s_cbranch_execnz .LBB155_41
; %bb.28:                               ;   in Loop: Header=BB155_4 Depth=1
	s_wait_alu 0xfffe
	s_or_b32 exec_lo, exec_lo, s9
	s_and_saveexec_b32 s9, s3
	s_cbranch_execnz .LBB155_42
.LBB155_29:                             ;   in Loop: Header=BB155_4 Depth=1
	s_wait_alu 0xfffe
	s_or_b32 exec_lo, exec_lo, s9
	s_and_saveexec_b32 s9, s4
	s_cbranch_execnz .LBB155_43
.LBB155_30:                             ;   in Loop: Header=BB155_4 Depth=1
	s_wait_alu 0xfffe
	s_or_b32 exec_lo, exec_lo, s9
	s_and_saveexec_b32 s9, s5
	s_cbranch_execnz .LBB155_44
.LBB155_31:                             ;   in Loop: Header=BB155_4 Depth=1
	s_wait_alu 0xfffe
	s_or_b32 exec_lo, exec_lo, s9
	s_and_saveexec_b32 s9, s44
	s_cbranch_execnz .LBB155_45
.LBB155_32:                             ;   in Loop: Header=BB155_4 Depth=1
	s_wait_alu 0xfffe
	s_or_b32 exec_lo, exec_lo, s9
	s_and_saveexec_b32 s9, s6
	s_cbranch_execnz .LBB155_46
.LBB155_33:                             ;   in Loop: Header=BB155_4 Depth=1
	s_wait_alu 0xfffe
	s_or_b32 exec_lo, exec_lo, s9
	s_and_saveexec_b32 s9, s7
	s_cbranch_execnz .LBB155_47
.LBB155_34:                             ;   in Loop: Header=BB155_4 Depth=1
	s_wait_alu 0xfffe
	s_or_b32 exec_lo, exec_lo, s9
	s_and_saveexec_b32 s9, s8
	s_cbranch_execz .LBB155_36
.LBB155_35:                             ;   in Loop: Header=BB155_4 Depth=1
	ds_load_b64 v[12:13], v18 offset:96
	s_wait_dscnt 0x0
	ds_store_b64 v30, v[12:13]
.LBB155_36:                             ;   in Loop: Header=BB155_4 Depth=1
	s_wait_alu 0xfffe
	s_or_b32 exec_lo, exec_lo, s9
	s_wait_loadcnt_dscnt 0x0
	s_barrier_signal -1
	s_barrier_wait -1
	global_inv scope:SCOPE_SE
	ds_load_2addr_b64 v[12:15], v20 offset1:4
	ds_load_b64 v[33:34], v19
	ds_load_b64 v[35:36], v24
	ds_load_b64 v[37:38], v25
	ds_load_b64 v[39:40], v26
	s_wait_dscnt 0x3
	v_fma_f64 v[12:13], v[33:34], v[12:13], 0
	ds_load_b64 v[33:34], v28
	ds_load_b64 v[41:42], v29
	;; [unrolled: 1-line block ×4, first 2 shown]
	s_wait_dscnt 0x3
	v_fma_f64 v[33:34], v[33:34], v[14:15], v[12:13]
	ds_load_2addr_b64 v[12:15], v20 offset0:8 offset1:12
	s_wait_dscnt 0x0
	v_fma_f64 v[12:13], v[41:42], v[12:13], v[33:34]
	s_delay_alu instid0(VALU_DEP_1) | instskip(SKIP_3) | instid1(VALU_DEP_1)
	v_fma_f64 v[33:34], v[43:44], v[14:15], v[12:13]
	ds_load_2addr_b64 v[12:15], v20 offset0:16 offset1:20
	s_wait_dscnt 0x0
	v_fma_f64 v[12:13], v[35:36], v[12:13], v[33:34]
	v_fma_f64 v[33:34], v[37:38], v[14:15], v[12:13]
	ds_load_2addr_b64 v[12:15], v20 offset0:24 offset1:28
	s_wait_dscnt 0x0
	v_fma_f64 v[12:13], v[39:40], v[12:13], v[33:34]
	s_delay_alu instid0(VALU_DEP_1)
	v_fma_f64 v[12:13], v[45:46], v[14:15], v[12:13]
	ds_store_b64 v21, v[12:13]
	s_wait_loadcnt_dscnt 0x0
	s_barrier_signal -1
	s_barrier_wait -1
	global_inv scope:SCOPE_SE
	s_and_saveexec_b32 s9, s0
	s_cbranch_execz .LBB155_2
; %bb.37:                               ;   in Loop: Header=BB155_4 Depth=1
	ds_load_2addr_b64 v[12:15], v22 offset1:32
	v_cmp_neq_f64_e32 vcc_lo, 0, v[8:9]
	s_wait_dscnt 0x0
	v_add_f64_e32 v[12:13], 0, v[12:13]
	s_delay_alu instid0(VALU_DEP_1) | instskip(SKIP_3) | instid1(VALU_DEP_1)
	v_add_f64_e32 v[33:34], v[12:13], v[14:15]
	ds_load_2addr_b64 v[12:15], v22 offset0:64 offset1:96
	s_wait_dscnt 0x0
	v_add_f64_e32 v[12:13], v[33:34], v[12:13]
	v_add_f64_e32 v[12:13], v[12:13], v[14:15]
	s_delay_alu instid0(VALU_DEP_1) | instskip(SKIP_2) | instid1(VALU_DEP_1)
	v_mul_f64_e32 v[14:15], v[6:7], v[12:13]
	v_fma_f64 v[6:7], v[6:7], v[12:13], v[10:11]
	s_wait_alu 0xfffd
	v_dual_cndmask_b32 v7, v15, v7 :: v_dual_cndmask_b32 v6, v14, v6
	v_add_co_u32 v8, vcc_lo, v31, v0
	s_wait_alu 0xfffd
	v_add_co_ci_u32_e64 v9, null, v32, v1, vcc_lo
	flat_store_b64 v[8:9], v[6:7]
	s_branch .LBB155_2
.LBB155_38:                             ;   in Loop: Header=BB155_4 Depth=1
	scratch_load_b64 v[6:7], off, off
	s_mul_u64 s[46:47], s[14:15], s[12:13]
	s_wait_alu 0xfffe
	s_lshl_b64 s[46:47], s[46:47], 3
	s_wait_loadcnt 0x0
	s_wait_alu 0xfffe
	v_add_co_u32 v6, vcc_lo, v6, s46
	s_wait_alu 0xfffd
	v_add_co_ci_u32_e64 v7, null, s47, v7, vcc_lo
	flat_load_b64 v[6:7], v[6:7]
	s_cbranch_execnz .LBB155_6
.LBB155_39:                             ;   in Loop: Header=BB155_4 Depth=1
	s_wait_loadcnt_dscnt 0x0
	scratch_load_b64 v[6:7], off, off
	s_and_b32 vcc_lo, exec_lo, s33
	s_mov_b32 s9, -1
                                        ; implicit-def: $vgpr8_vgpr9
	s_wait_alu 0xfffe
	s_cbranch_vccz .LBB155_7
.LBB155_40:                             ;   in Loop: Header=BB155_4 Depth=1
	scratch_load_b64 v[8:9], off, off offset:8
	s_wait_alu 0xfffe
	s_mul_u64 s[46:47], s[22:23], s[12:13]
	s_wait_alu 0xfffe
	s_lshl_b64 s[46:47], s[46:47], 3
	s_wait_loadcnt 0x0
	s_wait_alu 0xfffe
	v_add_co_u32 v8, vcc_lo, v8, s46
	s_wait_alu 0xfffd
	v_add_co_ci_u32_e64 v9, null, s47, v9, vcc_lo
	flat_load_b64 v[8:9], v[8:9]
	s_cbranch_execz .LBB155_8
	s_branch .LBB155_9
.LBB155_41:                             ;   in Loop: Header=BB155_4 Depth=1
	ds_load_b64 v[12:13], v18 offset:128
	s_wait_dscnt 0x0
	ds_store_b64 v24, v[12:13]
	s_wait_alu 0xfffe
	s_or_b32 exec_lo, exec_lo, s9
	s_and_saveexec_b32 s9, s3
	s_cbranch_execz .LBB155_29
.LBB155_42:                             ;   in Loop: Header=BB155_4 Depth=1
	ds_load_b64 v[12:13], v18 offset:160
	s_wait_dscnt 0x0
	ds_store_b64 v25, v[12:13]
	s_wait_alu 0xfffe
	s_or_b32 exec_lo, exec_lo, s9
	s_and_saveexec_b32 s9, s4
	s_cbranch_execz .LBB155_30
.LBB155_43:                             ;   in Loop: Header=BB155_4 Depth=1
	ds_load_b64 v[12:13], v18 offset:192
	s_wait_dscnt 0x0
	ds_store_b64 v26, v[12:13]
	s_wait_alu 0xfffe
	s_or_b32 exec_lo, exec_lo, s9
	s_and_saveexec_b32 s9, s5
	s_cbranch_execz .LBB155_31
.LBB155_44:                             ;   in Loop: Header=BB155_4 Depth=1
	ds_load_b64 v[12:13], v18 offset:224
	s_wait_dscnt 0x0
	ds_store_b64 v27, v[12:13]
	s_wait_alu 0xfffe
	s_or_b32 exec_lo, exec_lo, s9
	s_and_saveexec_b32 s9, s44
	s_cbranch_execz .LBB155_32
.LBB155_45:                             ;   in Loop: Header=BB155_4 Depth=1
	ds_load_b64 v[12:13], v18
	s_wait_dscnt 0x0
	ds_store_b64 v19, v[12:13]
	s_wait_alu 0xfffe
	s_or_b32 exec_lo, exec_lo, s9
	s_and_saveexec_b32 s9, s6
	s_cbranch_execz .LBB155_33
.LBB155_46:                             ;   in Loop: Header=BB155_4 Depth=1
	ds_load_b64 v[12:13], v18 offset:32
	s_wait_dscnt 0x0
	ds_store_b64 v28, v[12:13]
	s_wait_alu 0xfffe
	s_or_b32 exec_lo, exec_lo, s9
	s_and_saveexec_b32 s9, s7
	s_cbranch_execz .LBB155_34
.LBB155_47:                             ;   in Loop: Header=BB155_4 Depth=1
	ds_load_b64 v[12:13], v18 offset:64
	s_wait_dscnt 0x0
	ds_store_b64 v29, v[12:13]
	s_wait_alu 0xfffe
	s_or_b32 exec_lo, exec_lo, s9
	s_and_saveexec_b32 s9, s8
	s_cbranch_execnz .LBB155_35
	s_branch .LBB155_36
.LBB155_48:
	s_endpgm
	.section	.rodata,"a",@progbits
	.p2align	6, 0x0
	.amdhsa_kernel _ZL50rocblas_symv_kernel_upper_double_buffered_diagonalILi32ELi4E24rocblas_internal_val_ptrIdEPKPKdPKPdEvbiT1_lT2_lllSA_lllS9_lT3_llli
		.amdhsa_group_segment_fixed_size 10496
		.amdhsa_private_segment_fixed_size 24
		.amdhsa_kernarg_size 140
		.amdhsa_user_sgpr_count 2
		.amdhsa_user_sgpr_dispatch_ptr 0
		.amdhsa_user_sgpr_queue_ptr 0
		.amdhsa_user_sgpr_kernarg_segment_ptr 1
		.amdhsa_user_sgpr_dispatch_id 0
		.amdhsa_user_sgpr_private_segment_size 0
		.amdhsa_wavefront_size32 1
		.amdhsa_uses_dynamic_stack 0
		.amdhsa_enable_private_segment 1
		.amdhsa_system_sgpr_workgroup_id_x 1
		.amdhsa_system_sgpr_workgroup_id_y 0
		.amdhsa_system_sgpr_workgroup_id_z 1
		.amdhsa_system_sgpr_workgroup_info 0
		.amdhsa_system_vgpr_workitem_id 1
		.amdhsa_next_free_vgpr 97
		.amdhsa_next_free_sgpr 50
		.amdhsa_reserve_vcc 1
		.amdhsa_float_round_mode_32 0
		.amdhsa_float_round_mode_16_64 0
		.amdhsa_float_denorm_mode_32 3
		.amdhsa_float_denorm_mode_16_64 3
		.amdhsa_fp16_overflow 0
		.amdhsa_workgroup_processor_mode 1
		.amdhsa_memory_ordered 1
		.amdhsa_forward_progress 1
		.amdhsa_inst_pref_size 21
		.amdhsa_round_robin_scheduling 0
		.amdhsa_exception_fp_ieee_invalid_op 0
		.amdhsa_exception_fp_denorm_src 0
		.amdhsa_exception_fp_ieee_div_zero 0
		.amdhsa_exception_fp_ieee_overflow 0
		.amdhsa_exception_fp_ieee_underflow 0
		.amdhsa_exception_fp_ieee_inexact 0
		.amdhsa_exception_int_div_zero 0
	.end_amdhsa_kernel
	.section	.text._ZL50rocblas_symv_kernel_upper_double_buffered_diagonalILi32ELi4E24rocblas_internal_val_ptrIdEPKPKdPKPdEvbiT1_lT2_lllSA_lllS9_lT3_llli,"axG",@progbits,_ZL50rocblas_symv_kernel_upper_double_buffered_diagonalILi32ELi4E24rocblas_internal_val_ptrIdEPKPKdPKPdEvbiT1_lT2_lllSA_lllS9_lT3_llli,comdat
.Lfunc_end155:
	.size	_ZL50rocblas_symv_kernel_upper_double_buffered_diagonalILi32ELi4E24rocblas_internal_val_ptrIdEPKPKdPKPdEvbiT1_lT2_lllSA_lllS9_lT3_llli, .Lfunc_end155-_ZL50rocblas_symv_kernel_upper_double_buffered_diagonalILi32ELi4E24rocblas_internal_val_ptrIdEPKPKdPKPdEvbiT1_lT2_lllSA_lllS9_lT3_llli
                                        ; -- End function
	.set _ZL50rocblas_symv_kernel_upper_double_buffered_diagonalILi32ELi4E24rocblas_internal_val_ptrIdEPKPKdPKPdEvbiT1_lT2_lllSA_lllS9_lT3_llli.num_vgpr, 47
	.set _ZL50rocblas_symv_kernel_upper_double_buffered_diagonalILi32ELi4E24rocblas_internal_val_ptrIdEPKPKdPKPdEvbiT1_lT2_lllSA_lllS9_lT3_llli.num_agpr, 0
	.set _ZL50rocblas_symv_kernel_upper_double_buffered_diagonalILi32ELi4E24rocblas_internal_val_ptrIdEPKPKdPKPdEvbiT1_lT2_lllSA_lllS9_lT3_llli.numbered_sgpr, 50
	.set _ZL50rocblas_symv_kernel_upper_double_buffered_diagonalILi32ELi4E24rocblas_internal_val_ptrIdEPKPKdPKPdEvbiT1_lT2_lllSA_lllS9_lT3_llli.num_named_barrier, 0
	.set _ZL50rocblas_symv_kernel_upper_double_buffered_diagonalILi32ELi4E24rocblas_internal_val_ptrIdEPKPKdPKPdEvbiT1_lT2_lllSA_lllS9_lT3_llli.private_seg_size, 24
	.set _ZL50rocblas_symv_kernel_upper_double_buffered_diagonalILi32ELi4E24rocblas_internal_val_ptrIdEPKPKdPKPdEvbiT1_lT2_lllSA_lllS9_lT3_llli.uses_vcc, 1
	.set _ZL50rocblas_symv_kernel_upper_double_buffered_diagonalILi32ELi4E24rocblas_internal_val_ptrIdEPKPKdPKPdEvbiT1_lT2_lllSA_lllS9_lT3_llli.uses_flat_scratch, 1
	.set _ZL50rocblas_symv_kernel_upper_double_buffered_diagonalILi32ELi4E24rocblas_internal_val_ptrIdEPKPKdPKPdEvbiT1_lT2_lllSA_lllS9_lT3_llli.has_dyn_sized_stack, 0
	.set _ZL50rocblas_symv_kernel_upper_double_buffered_diagonalILi32ELi4E24rocblas_internal_val_ptrIdEPKPKdPKPdEvbiT1_lT2_lllSA_lllS9_lT3_llli.has_recursion, 0
	.set _ZL50rocblas_symv_kernel_upper_double_buffered_diagonalILi32ELi4E24rocblas_internal_val_ptrIdEPKPKdPKPdEvbiT1_lT2_lllSA_lllS9_lT3_llli.has_indirect_call, 0
	.section	.AMDGPU.csdata,"",@progbits
; Kernel info:
; codeLenInByte = 2672
; TotalNumSgprs: 52
; NumVgprs: 47
; ScratchSize: 24
; MemoryBound: 0
; FloatMode: 240
; IeeeMode: 1
; LDSByteSize: 10496 bytes/workgroup (compile time only)
; SGPRBlocks: 0
; VGPRBlocks: 12
; NumSGPRsForWavesPerEU: 52
; NumVGPRsForWavesPerEU: 97
; Occupancy: 12
; WaveLimiterHint : 1
; COMPUTE_PGM_RSRC2:SCRATCH_EN: 1
; COMPUTE_PGM_RSRC2:USER_SGPR: 2
; COMPUTE_PGM_RSRC2:TRAP_HANDLER: 0
; COMPUTE_PGM_RSRC2:TGID_X_EN: 1
; COMPUTE_PGM_RSRC2:TGID_Y_EN: 0
; COMPUTE_PGM_RSRC2:TGID_Z_EN: 1
; COMPUTE_PGM_RSRC2:TIDIG_COMP_CNT: 1
	.section	.text._ZL54rocblas_symv_kernel_upper_double_buffered_non_diagonalILi32ELi4ELi4E24rocblas_internal_val_ptrIdEPKPKdPKPdEvbiT2_lT3_lllSA_lllT4_llli,"axG",@progbits,_ZL54rocblas_symv_kernel_upper_double_buffered_non_diagonalILi32ELi4ELi4E24rocblas_internal_val_ptrIdEPKPKdPKPdEvbiT2_lT3_lllSA_lllT4_llli,comdat
	.globl	_ZL54rocblas_symv_kernel_upper_double_buffered_non_diagonalILi32ELi4ELi4E24rocblas_internal_val_ptrIdEPKPKdPKPdEvbiT2_lT3_lllSA_lllT4_llli ; -- Begin function _ZL54rocblas_symv_kernel_upper_double_buffered_non_diagonalILi32ELi4ELi4E24rocblas_internal_val_ptrIdEPKPKdPKPdEvbiT2_lT3_lllSA_lllT4_llli
	.p2align	8
	.type	_ZL54rocblas_symv_kernel_upper_double_buffered_non_diagonalILi32ELi4ELi4E24rocblas_internal_val_ptrIdEPKPKdPKPdEvbiT2_lT3_lllSA_lllT4_llli,@function
_ZL54rocblas_symv_kernel_upper_double_buffered_non_diagonalILi32ELi4ELi4E24rocblas_internal_val_ptrIdEPKPKdPKPdEvbiT2_lT3_lllSA_lllT4_llli: ; @_ZL54rocblas_symv_kernel_upper_double_buffered_non_diagonalILi32ELi4ELi4E24rocblas_internal_val_ptrIdEPKPKdPKPdEvbiT2_lT3_lllSA_lllT4_llli
; %bb.0:
	s_load_b64 s[12:13], s[0:1], 0x4
	s_clause 0x1
	s_load_b256 s[4:11], s[2:3], 0x8
	s_load_b32 s1, s[2:3], 0x78
	v_bfe_u32 v2, v0, 10, 10
	v_and_b32_e32 v1, 0x3ff, v0
	v_bfe_u32 v0, v0, 20, 10
	s_wait_kmcnt 0x0
	s_delay_alu instid0(VALU_DEP_3)
	v_mul_u32_u24_e32 v3, s13, v2
	s_lshr_b32 s0, s12, 16
	v_mov_b32_e32 v4, s5
	s_mul_i32 s0, s0, s13
	s_delay_alu instid0(VALU_DEP_2) | instid1(SALU_CYCLE_1)
	v_mad_u32_u24 v5, s0, v1, v3
	v_mov_b32_e32 v3, s4
	s_lshr_b32 s4, ttmp7, 16
	s_wait_alu 0xfffe
	s_cmp_ge_u32 s4, s1
	v_add_lshl_u32 v0, v5, v0, 3
	ds_store_b64 v0, v[3:4] offset:6400
	s_cbranch_scc1 .LBB156_32
; %bb.1:
	s_clause 0x3
	s_load_b64 s[22:23], s[2:3], 0x48
	s_load_b32 s5, s[2:3], 0x0
	s_load_b64 s[34:35], s[2:3], 0x28
	s_load_b128 s[12:15], s[2:3], 0x38
	v_dual_mov_b32 v4, 0 :: v_dual_add_nc_u32 v61, 0x1900, v0
	v_lshl_add_u32 v0, v2, 5, v1
	s_clause 0x1
	s_load_b64 s[24:25], s[2:3], 0x58
	s_load_b128 s[16:19], s[2:3], 0x60
	v_cmp_eq_u32_e64 s0, 0, v2
	v_add_nc_u32_e32 v22, 5, v1
	s_mov_b32 s27, 0
	v_lshrrev_b32_e32 v20, 4, v0
	s_mov_b32 s20, ttmp9
	s_add_nc_u64 s[2:3], s[2:3], 0x80
	s_mov_b32 s21, s27
	v_add_nc_u32_e32 v21, 4, v1
	v_lshlrev_b32_e32 v15, 2, v20
	v_lshl_add_u32 v63, v20, 5, 0x1800
	s_wait_kmcnt 0x0
	v_mad_co_u64_u32 v[5:6], null, s22, v1, 0
	v_and_b32_e32 v3, 15, v1
	s_bitcmp1_b32 s5, 0
	v_and_b32_e32 v21, 15, v21
	s_cselect_b32 s5, -1, 0
	s_and_b32 s33, ttmp7, 0xffff
	s_lshl_b32 s28, ttmp9, 5
	s_delay_alu instid0(VALU_DEP_3) | instskip(SKIP_3) | instid1(VALU_DEP_4)
	v_mov_b32_e32 v0, v6
	v_or_b32_e32 v18, 16, v3
	v_mad_co_u64_u32 v[7:8], null, s34, v15, v[3:4]
	v_mad_co_u64_u32 v[9:10], null, s22, v3, 0
	;; [unrolled: 1-line block ×3, first 2 shown]
	s_delay_alu instid0(VALU_DEP_4) | instskip(NEXT) | instid1(VALU_DEP_4)
	v_mad_co_u64_u32 v[11:12], null, s22, v18, 0
	v_dual_mov_b32 v0, v8 :: v_dual_lshlrev_b32 v19, 3, v1
	s_delay_alu instid0(VALU_DEP_4) | instskip(SKIP_2) | instid1(VALU_DEP_4)
	v_mov_b32_e32 v2, v10
	s_wait_alu 0xfffe
	s_xor_b32 s48, s5, -1
	v_mov_b32_e32 v6, v13
	v_mad_co_u64_u32 v[13:14], null, s18, v1, 0
	v_mov_b32_e32 v8, v12
	v_mad_co_u64_u32 v[15:16], null, s35, v15, v[0:1]
	v_mad_co_u64_u32 v[16:17], null, s23, v3, v[2:3]
	s_delay_alu instid0(VALU_DEP_3)
	v_mad_co_u64_u32 v[17:18], null, s23, v18, v[8:9]
	v_mov_b32_e32 v0, v14
	v_add_nc_u32_e32 v18, 1, v1
	v_add_nc_u32_e32 v62, 0x1800, v19
	v_mov_b32_e32 v8, v15
	v_add_nc_u32_e32 v64, 0x1000, v19
	v_add_nc_u32_e32 v19, 2, v1
	v_mad_co_u64_u32 v[14:15], null, s19, v1, v[0:1]
	v_mov_b32_e32 v10, v16
	v_dual_mov_b32 v12, v17 :: v_dual_lshlrev_b32 v15, 8, v20
	v_lshlrev_b32_e32 v16, 7, v1
	v_lshlrev_b32_e32 v17, 9, v20
	v_add_nc_u32_e32 v20, 3, v1
	v_and_b32_e32 v18, 15, v18
	v_and_b32_e32 v19, 15, v19
	v_lshlrev_b32_e32 v2, 3, v3
	v_xor_b32_e32 v3, 8, v3
	v_and_b32_e32 v20, 15, v20
	v_lshl_or_b32 v66, v18, 3, v16
	v_and_b32_e32 v18, 15, v22
	v_lshl_or_b32 v67, v19, 3, v16
	v_add_nc_u32_e32 v19, 6, v1
	v_lshl_or_b32 v68, v20, 3, v16
	v_add_nc_u32_e32 v20, 7, v1
	;; [unrolled: 2-line block ×3, first 2 shown]
	v_and_b32_e32 v19, 15, v19
	v_lshl_or_b32 v69, v21, 3, v16
	v_and_b32_e32 v20, 15, v20
	v_add_nc_u32_e32 v21, 10, v1
	v_and_b32_e32 v18, 15, v18
	v_lshl_or_b32 v71, v19, 3, v16
	v_lshl_or_b32 v73, v3, 3, v16
	;; [unrolled: 1-line block ×3, first 2 shown]
	v_add_nc_u32_e32 v3, 11, v1
	v_lshl_or_b32 v74, v18, 3, v16
	v_add_nc_u32_e32 v18, 12, v1
	v_add_nc_u32_e32 v19, 13, v1
	;; [unrolled: 1-line block ×3, first 2 shown]
	v_add_nc_u32_e32 v1, -1, v1
	v_or_b32_e32 v0, 0x1000, v2
	v_and_b32_e32 v21, 15, v21
	v_and_b32_e32 v3, 15, v3
	;; [unrolled: 1-line block ×6, first 2 shown]
	s_ashr_i32 s29, s28, 31
	s_lshl_b32 s49, s33, 5
	s_cmp_lg_u32 ttmp9, 0
	v_lshlrev_b64_e32 v[5:6], 3, v[5:6]
	v_lshlrev_b64_e32 v[7:8], 3, v[7:8]
	;; [unrolled: 1-line block ×5, first 2 shown]
	v_or_b32_e32 v65, v16, v2
	v_lshl_or_b32 v75, v21, 3, v16
	v_lshl_or_b32 v76, v3, 3, v16
	;; [unrolled: 1-line block ×6, first 2 shown]
	v_add_nc_u32_e32 v81, v0, v15
	v_add_nc_u32_e32 v82, v2, v17
	s_mul_u64 s[40:41], s[34:35], s[28:29]
	s_mul_u64 s[38:39], s[22:23], s[28:29]
	s_cselect_b32 s50, -1, 0
	s_mul_u64 s[42:43], s[18:19], s[28:29]
	s_lshl_b64 s[36:37], s[34:35], 4
	s_lshl_b64 s[28:29], s[22:23], 8
	s_lshl_b64 s[30:31], s[18:19], 8
	s_lshl_b64 s[34:35], s[34:35], 3
	s_sub_nc_u64 s[36:37], 0, s[36:37]
	s_lshl_b64 s[14:15], s[14:15], 3
	s_lshl_b64 s[38:39], s[38:39], 3
	;; [unrolled: 1-line block ×6, first 2 shown]
	s_branch .LBB156_3
.LBB156_2:                              ;   in Loop: Header=BB156_3 Depth=1
	s_or_b32 exec_lo, exec_lo, s51
	s_add_co_i32 s4, s4, 0x10000
	s_wait_alu 0xfffe
	s_cmp_lt_u32 s4, s1
	s_cbranch_scc0 .LBB156_32
.LBB156_3:                              ; =>This Loop Header: Depth=1
                                        ;     Child Loop BB156_17 Depth 2
                                        ;       Child Loop BB156_19 Depth 3
                                        ;     Child Loop BB156_27 Depth 2
                                        ;     Child Loop BB156_31 Depth 2
	s_and_b32 vcc_lo, exec_lo, s48
	s_mov_b32 s5, -1
                                        ; implicit-def: $vgpr15_vgpr16
	s_wait_alu 0xfffe
	s_cbranch_vccz .LBB156_5
; %bb.4:                                ;   in Loop: Header=BB156_3 Depth=1
	s_wait_loadcnt 0x0
	ds_load_b64 v[0:1], v61
	s_mov_b32 s5, s27
	s_wait_alu 0xfffe
	s_mul_u64 s[44:45], s[6:7], s[4:5]
	s_mov_b32 s5, 0
	s_wait_alu 0xfffe
	s_lshl_b64 s[44:45], s[44:45], 3
	s_wait_dscnt 0x0
	s_wait_alu 0xfffe
	v_add_co_u32 v0, vcc_lo, v0, s44
	s_wait_alu 0xfffd
	v_add_co_ci_u32_e64 v1, null, s45, v1, vcc_lo
	flat_load_b64 v[15:16], v[0:1]
.LBB156_5:                              ;   in Loop: Header=BB156_3 Depth=1
	s_wait_alu 0xfffe
	s_and_not1_b32 vcc_lo, exec_lo, s5
	s_wait_alu 0xfffe
	s_cbranch_vccnz .LBB156_7
; %bb.6:                                ;   in Loop: Header=BB156_3 Depth=1
	s_wait_loadcnt_dscnt 0x0
	ds_load_b64 v[15:16], v61
.LBB156_7:                              ;   in Loop: Header=BB156_3 Depth=1
	s_mov_b32 s51, exec_lo
	s_wait_loadcnt_dscnt 0x0
	v_cmpx_neq_f64_e32 0, v[15:16]
	s_cbranch_execz .LBB156_2
; %bb.8:                                ;   in Loop: Header=BB156_3 Depth=1
	s_and_not1_b32 vcc_lo, exec_lo, s50
	s_wait_alu 0xfffe
	s_cbranch_vccnz .LBB156_2
; %bb.9:                                ;   in Loop: Header=BB156_3 Depth=1
	s_mov_b32 s5, s27
	s_wait_alu 0xfffe
	s_lshl_b64 s[44:45], s[4:5], 3
	s_wait_alu 0xfffe
	s_add_nc_u64 s[46:47], s[12:13], s[44:45]
	global_load_b64 v[2:3], v4, s[46:47]
	s_add_nc_u64 s[46:47], s[8:9], s[44:45]
	global_load_b64 v[0:1], v4, s[46:47]
	s_wait_loadcnt 0x1
	v_add_co_u32 v2, vcc_lo, v2, s14
	s_wait_alu 0xfffd
	v_add_co_ci_u32_e64 v3, null, s15, v3, vcc_lo
	s_and_saveexec_b32 s5, s0
	s_cbranch_execz .LBB156_11
; %bb.10:                               ;   in Loop: Header=BB156_3 Depth=1
	v_add_co_u32 v17, vcc_lo, v2, s38
	s_wait_alu 0xfffd
	v_add_co_ci_u32_e64 v18, null, s39, v3, vcc_lo
	s_delay_alu instid0(VALU_DEP_2) | instskip(SKIP_1) | instid1(VALU_DEP_2)
	v_add_co_u32 v17, vcc_lo, v17, v5
	s_wait_alu 0xfffd
	v_add_co_ci_u32_e64 v18, null, v18, v6, vcc_lo
	flat_load_b64 v[17:18], v[17:18]
	s_wait_loadcnt_dscnt 0x0
	ds_store_b64 v62, v[17:18]
.LBB156_11:                             ;   in Loop: Header=BB156_3 Depth=1
	s_wait_alu 0xfffe
	s_or_b32 exec_lo, exec_lo, s5
	s_load_b32 s46, s[2:3], 0x4
	s_add_nc_u64 s[44:45], s[24:25], s[44:45]
	s_load_b64 s[44:45], s[44:45], 0x0
	s_wait_kmcnt 0x0
	s_cvt_f32_u32 s5, s46
	s_sub_co_i32 s26, 0, s46
	s_wait_alu 0xfffe
	s_delay_alu instid0(SALU_CYCLE_1) | instskip(NEXT) | instid1(TRANS32_DEP_1)
	v_rcp_iflag_f32_e32 v17, s5
	v_readfirstlane_b32 s5, v17
	s_mul_f32 s5, s5, 0x4f7ffffe
	s_wait_alu 0xfffe
	s_delay_alu instid0(SALU_CYCLE_2) | instskip(SKIP_1) | instid1(SALU_CYCLE_2)
	s_cvt_u32_f32 s5, s5
	s_wait_alu 0xfffe
	s_mul_i32 s26, s26, s5
	s_delay_alu instid0(SALU_CYCLE_1) | instskip(NEXT) | instid1(SALU_CYCLE_1)
	s_mul_hi_u32 s26, s5, s26
	s_add_co_i32 s26, s5, s26
	s_delay_alu instid0(SALU_CYCLE_1)
	s_mul_u64 s[52:53], s[20:21], s[26:27]
	s_wait_alu 0xfffe
	s_mul_i32 s5, s53, s46
	s_add_co_i32 s26, s53, 1
	s_wait_alu 0xfffe
	s_sub_co_i32 s5, s20, s5
	s_wait_alu 0xfffe
	s_sub_co_i32 s47, s5, s46
	s_cmp_ge_u32 s5, s46
	s_cselect_b32 s26, s26, s53
	s_wait_alu 0xfffe
	s_cselect_b32 s5, s47, s5
	s_add_co_i32 s47, s26, 1
	s_wait_alu 0xfffe
	s_cmp_ge_u32 s5, s46
	s_cselect_b32 s26, s47, s26
	s_add_co_i32 s5, s46, -1
	s_wait_alu 0xfffe
	s_cmp_lg_u32 s33, s5
	s_mov_b32 s5, s26
	s_cbranch_scc1 .LBB156_13
; %bb.12:                               ;   in Loop: Header=BB156_3 Depth=1
	s_mul_i32 s5, s26, s46
	s_wait_alu 0xfffe
	s_sub_co_i32 s5, s20, s5
	s_wait_alu 0xfffe
	s_add_co_i32 s5, s5, s26
.LBB156_13:                             ;   in Loop: Header=BB156_3 Depth=1
	s_wait_alu 0xfffe
	s_cmp_eq_u32 s5, 0
	s_cbranch_scc1 .LBB156_2
; %bb.14:                               ;   in Loop: Header=BB156_3 Depth=1
	s_add_nc_u64 s[44:45], s[44:45], s[16:17]
	s_cmp_lt_i32 s5, 1
	s_wait_loadcnt_dscnt 0x0
	s_barrier_signal -1
	s_barrier_wait -1
	global_inv scope:SCOPE_SE
	s_cbranch_scc1 .LBB156_23
; %bb.15:                               ;   in Loop: Header=BB156_3 Depth=1
	v_add_co_u32 v0, vcc_lo, v0, s10
	s_wait_alu 0xfffd
	v_add_co_ci_u32_e64 v1, null, s11, v1, vcc_lo
	s_mul_i32 s46, s49, s26
	v_add_co_u32 v0, vcc_lo, v0, s40
	s_wait_alu 0xfffe
	s_ashr_i32 s47, s46, 31
	s_wait_alu 0xfffd
	v_add_co_ci_u32_e64 v1, null, s41, v1, vcc_lo
	s_wait_alu 0xfffe
	s_lshl_b64 s[52:53], s[46:47], 3
	s_wait_alu 0xfffe
	v_add_co_u32 v83, vcc_lo, v0, s52
	s_wait_alu 0xfffd
	v_add_co_ci_u32_e64 v84, null, s53, v1, vcc_lo
	s_mul_u64 s[52:53], s[22:23], s[46:47]
	v_add_co_u32 v0, vcc_lo, v83, v7
	s_wait_alu 0xfffd
	v_add_co_ci_u32_e64 v1, null, v84, v8, vcc_lo
	s_wait_alu 0xfffe
	s_lshl_b64 s[52:53], s[52:53], 3
	v_add_co_u32 v17, vcc_lo, v0, s34
	s_wait_alu 0xfffd
	v_add_co_ci_u32_e64 v18, null, s35, v1, vcc_lo
	s_mul_u64 s[46:47], s[18:19], s[46:47]
	v_add_co_u32 v19, vcc_lo, v17, s34
	s_wait_alu 0xfffd
	v_add_co_ci_u32_e64 v20, null, s35, v18, vcc_lo
	s_wait_alu 0xfffe
	v_add_co_u32 v85, vcc_lo, v2, s52
	s_wait_alu 0xfffd
	v_add_co_ci_u32_e64 v86, null, s53, v3, vcc_lo
	v_add_co_u32 v2, vcc_lo, v19, s34
	s_wait_alu 0xfffd
	v_add_co_ci_u32_e64 v3, null, s35, v20, vcc_lo
	;; [unrolled: 3-line block ×3, first 2 shown]
	s_clause 0x3
	flat_load_b64 v[39:40], v[0:1]
	flat_load_b64 v[41:42], v[17:18]
	;; [unrolled: 1-line block ×5, first 2 shown]
	v_mov_b32_e32 v17, 0
	v_mov_b32_e32 v18, 0
	s_lshl_b64 s[46:47], s[46:47], 3
	s_cmp_eq_u32 s5, 1
	s_wait_alu 0xfffe
	s_add_nc_u64 s[46:47], s[44:45], s[46:47]
	s_cbranch_scc1 .LBB156_24
; %bb.16:                               ;   in Loop: Header=BB156_3 Depth=1
	v_mov_b32_e32 v19, 0
	v_dual_mov_b32 v21, 0 :: v_dual_mov_b32 v20, 0
	v_dual_mov_b32 v23, 0 :: v_dual_mov_b32 v22, 0
	;; [unrolled: 1-line block ×3, first 2 shown]
	s_wait_alu 0xfffe
	v_dual_mov_b32 v18, 0 :: v_dual_mov_b32 v25, s46
	v_mov_b32_e32 v26, s47
	s_add_co_i32 s5, s5, -2
	s_mov_b32 s26, 0
.LBB156_17:                             ;   Parent Loop BB156_3 Depth=1
                                        ; =>  This Loop Header: Depth=2
                                        ;       Child Loop BB156_19 Depth 3
	v_add_co_u32 v0, vcc_lo, v83, v7
	s_wait_alu 0xfffd
	v_add_co_ci_u32_e64 v1, null, v84, v8, vcc_lo
	s_delay_alu instid0(VALU_DEP_2)
	v_add_co_u32 v2, vcc_lo, v0, s34
	flat_load_b64 v[47:48], v[0:1] offset:128
	s_wait_alu 0xfffd
	v_add_co_ci_u32_e64 v3, null, s35, v1, vcc_lo
	flat_load_b64 v[49:50], v[2:3] offset:128
	v_add_co_u32 v2, vcc_lo, v2, s34
	s_wait_alu 0xfffd
	v_add_co_ci_u32_e64 v3, null, s35, v3, vcc_lo
	flat_load_b64 v[51:52], v[2:3] offset:128
	v_add_co_u32 v2, vcc_lo, v2, s34
	s_wait_alu 0xfffd
	v_add_co_ci_u32_e64 v3, null, s35, v3, vcc_lo
	v_add_co_u32 v27, vcc_lo, v85, v11
	s_wait_alu 0xfffd
	v_add_co_ci_u32_e64 v28, null, v86, v12, vcc_lo
	flat_load_b64 v[53:54], v[2:3] offset:128
	v_add_co_u32 v85, vcc_lo, v85, s28
	s_wait_alu 0xfffd
	v_add_co_ci_u32_e64 v86, null, s29, v86, vcc_lo
	v_add_co_u32 v2, vcc_lo, v2, s36
	s_wait_alu 0xfffd
	v_add_co_ci_u32_e64 v3, null, s37, v3, vcc_lo
	flat_load_b64 v[55:56], v[27:28]
	v_add_co_u32 v27, vcc_lo, v2, s34
	s_wait_alu 0xfffd
	v_add_co_ci_u32_e64 v28, null, s35, v3, vcc_lo
	v_add_co_u32 v29, vcc_lo, v85, v9
	s_wait_alu 0xfffd
	v_add_co_ci_u32_e64 v30, null, v86, v10, vcc_lo
	;; [unrolled: 3-line block ×3, first 2 shown]
	flat_load_b64 v[35:36], v[29:30]
	s_clause 0x3
	flat_load_b64 v[33:34], v[0:1] offset:256
	flat_load_b64 v[31:32], v[2:3] offset:256
	;; [unrolled: 1-line block ×4, first 2 shown]
	ds_load_b128 v[0:3], v63
	ds_load_b128 v[57:60], v63 offset:16
	s_wait_loadcnt_dscnt 0x0
	s_barrier_signal -1
	s_barrier_wait -1
	global_inv scope:SCOPE_SE
	v_fma_f64 v[87:88], v[39:40], v[0:1], 0
	s_delay_alu instid0(VALU_DEP_1) | instskip(SKIP_1) | instid1(VALU_DEP_1)
	v_fma_f64 v[87:88], v[41:42], v[2:3], v[87:88]
	v_fma_f64 v[0:1], v[47:48], v[0:1], 0
	;; [unrolled: 1-line block ×3, first 2 shown]
	s_delay_alu instid0(VALU_DEP_3) | instskip(NEXT) | instid1(VALU_DEP_2)
	v_fma_f64 v[2:3], v[43:44], v[57:58], v[87:88]
	v_fma_f64 v[0:1], v[51:52], v[57:58], v[0:1]
	s_delay_alu instid0(VALU_DEP_2) | instskip(NEXT) | instid1(VALU_DEP_2)
	v_fma_f64 v[2:3], v[45:46], v[59:60], v[2:3]
	v_fma_f64 v[0:1], v[53:54], v[59:60], v[0:1]
	ds_store_2addr_b64 v81, v[2:3], v[0:1] offset1:16
	s_wait_loadcnt_dscnt 0x0
	s_barrier_signal -1
	s_barrier_wait -1
	global_inv scope:SCOPE_SE
	s_and_saveexec_b32 s46, s0
	s_cbranch_execz .LBB156_21
; %bb.18:                               ;   in Loop: Header=BB156_17 Depth=2
	ds_load_2addr_b64 v[57:60], v64 offset1:32
	ds_load_2addr_b64 v[87:90], v64 offset0:64 offset1:96
	s_mov_b32 s47, 0
	s_wait_dscnt 0x1
	v_add_f64_e32 v[0:1], 0, v[57:58]
	v_add_co_u32 v57, vcc_lo, v25, v13
	s_wait_alu 0xfffd
	v_add_co_ci_u32_e64 v58, null, v26, v14, vcc_lo
	flat_load_b64 v[2:3], v[57:58]
	v_add_f64_e32 v[0:1], v[0:1], v[59:60]
	s_wait_dscnt 0x1
	s_delay_alu instid0(VALU_DEP_1) | instskip(NEXT) | instid1(VALU_DEP_1)
	v_add_f64_e32 v[0:1], v[0:1], v[87:88]
	v_add_f64_e32 v[0:1], v[0:1], v[89:90]
	ds_load_2addr_b64 v[87:90], v64 offset0:128 offset1:160
	s_wait_dscnt 0x0
	v_add_f64_e32 v[0:1], v[0:1], v[87:88]
	s_delay_alu instid0(VALU_DEP_1) | instskip(SKIP_3) | instid1(VALU_DEP_1)
	v_add_f64_e32 v[0:1], v[0:1], v[89:90]
	ds_load_2addr_b64 v[87:90], v64 offset0:192 offset1:224
	s_wait_dscnt 0x0
	v_add_f64_e32 v[0:1], v[0:1], v[87:88]
	v_add_f64_e32 v[0:1], v[0:1], v[89:90]
	s_delay_alu instid0(VALU_DEP_1)
	v_mul_f64_e32 v[59:60], v[15:16], v[0:1]
.LBB156_19:                             ;   Parent Loop BB156_3 Depth=1
                                        ;     Parent Loop BB156_17 Depth=2
                                        ; =>    This Inner Loop Header: Depth=3
	s_wait_loadcnt 0x0
	s_delay_alu instid0(VALU_DEP_1)
	v_add_f64_e32 v[0:1], v[2:3], v[59:60]
	flat_atomic_cmpswap_b64 v[0:1], v[57:58], v[0:3] th:TH_ATOMIC_RETURN scope:SCOPE_DEV
	s_wait_loadcnt_dscnt 0x0
	v_cmp_eq_u64_e32 vcc_lo, v[0:1], v[2:3]
	v_dual_mov_b32 v3, v1 :: v_dual_mov_b32 v2, v0
	s_wait_alu 0xfffe
	s_or_b32 s47, vcc_lo, s47
	s_wait_alu 0xfffe
	s_and_not1_b32 exec_lo, exec_lo, s47
	s_cbranch_execnz .LBB156_19
; %bb.20:                               ;   in Loop: Header=BB156_17 Depth=2
	s_or_b32 exec_lo, exec_lo, s47
	v_add_co_u32 v25, vcc_lo, v25, s30
	s_wait_alu 0xfffd
	v_add_co_ci_u32_e64 v26, null, s31, v26, vcc_lo
.LBB156_21:                             ;   in Loop: Header=BB156_17 Depth=2
	s_wait_alu 0xfffe
	s_or_b32 exec_lo, exec_lo, s46
	v_fma_f64 v[0:1], v[37:38], v[39:40], v[19:20]
	v_fma_f64 v[2:3], v[37:38], v[41:42], v[23:24]
	;; [unrolled: 1-line block ×4, first 2 shown]
	v_add_co_u32 v83, vcc_lo, 0x100, v83
	s_wait_alu 0xfffd
	v_add_co_ci_u32_e64 v84, null, 0, v84, vcc_lo
	s_add_co_i32 s46, s26, 1
	s_cmp_eq_u32 s26, s5
	v_fma_f64 v[19:20], v[55:56], v[47:48], v[0:1]
	v_fma_f64 v[23:24], v[55:56], v[49:50], v[2:3]
	;; [unrolled: 1-line block ×4, first 2 shown]
	s_cbranch_scc1 .LBB156_25
; %bb.22:                               ;   in Loop: Header=BB156_17 Depth=2
	v_dual_mov_b32 v38, v36 :: v_dual_mov_b32 v37, v35
	v_dual_mov_b32 v40, v34 :: v_dual_mov_b32 v39, v33
	v_dual_mov_b32 v42, v32 :: v_dual_mov_b32 v41, v31
	v_dual_mov_b32 v44, v30 :: v_dual_mov_b32 v43, v29
	v_dual_mov_b32 v46, v28 :: v_dual_mov_b32 v45, v27
	s_wait_alu 0xfffe
	s_mov_b32 s26, s46
	s_branch .LBB156_17
.LBB156_23:                             ;   in Loop: Header=BB156_3 Depth=1
	v_dual_mov_b32 v0, 0 :: v_dual_mov_b32 v17, 0
	v_dual_mov_b32 v1, 0 :: v_dual_mov_b32 v2, 0
	;; [unrolled: 1-line block ×4, first 2 shown]
	s_branch .LBB156_29
.LBB156_24:                             ;   in Loop: Header=BB156_3 Depth=1
	v_mov_b32_e32 v21, 0
	v_dual_mov_b32 v19, 0 :: v_dual_mov_b32 v22, 0
	v_dual_mov_b32 v23, 0 :: v_dual_mov_b32 v20, 0
	s_wait_loadcnt_dscnt 0x0
	v_mov_b32_e32 v35, v37
	s_wait_alu 0xfffe
	v_dual_mov_b32 v25, s46 :: v_dual_mov_b32 v26, s47
	v_dual_mov_b32 v27, v45 :: v_dual_mov_b32 v28, v46
	;; [unrolled: 1-line block ×5, first 2 shown]
	v_mov_b32_e32 v24, 0
	v_mov_b32_e32 v36, v38
.LBB156_25:                             ;   in Loop: Header=BB156_3 Depth=1
	v_add_co_u32 v0, vcc_lo, v83, v7
	s_wait_alu 0xfffd
	v_add_co_ci_u32_e64 v1, null, v84, v8, vcc_lo
	flat_load_b64 v[37:38], v[0:1] offset:128
	v_add_co_u32 v0, vcc_lo, v0, s34
	s_wait_alu 0xfffd
	v_add_co_ci_u32_e64 v1, null, s35, v1, vcc_lo
	flat_load_b64 v[39:40], v[0:1] offset:128
	;; [unrolled: 4-line block ×4, first 2 shown]
	v_add_co_u32 v0, vcc_lo, v85, v11
	s_wait_alu 0xfffd
	v_add_co_ci_u32_e64 v1, null, v86, v12, vcc_lo
	flat_load_b64 v[45:46], v[0:1]
	ds_load_b128 v[0:3], v63
	ds_load_b128 v[47:50], v63 offset:16
	s_wait_loadcnt_dscnt 0x0
	s_barrier_signal -1
	s_barrier_wait -1
	global_inv scope:SCOPE_SE
	v_fma_f64 v[51:52], v[33:34], v[0:1], 0
	s_delay_alu instid0(VALU_DEP_1) | instskip(SKIP_1) | instid1(VALU_DEP_1)
	v_fma_f64 v[51:52], v[31:32], v[2:3], v[51:52]
	v_fma_f64 v[0:1], v[37:38], v[0:1], 0
	v_fma_f64 v[0:1], v[39:40], v[2:3], v[0:1]
	s_delay_alu instid0(VALU_DEP_3) | instskip(NEXT) | instid1(VALU_DEP_2)
	v_fma_f64 v[2:3], v[29:30], v[47:48], v[51:52]
	v_fma_f64 v[0:1], v[41:42], v[47:48], v[0:1]
	s_delay_alu instid0(VALU_DEP_2) | instskip(NEXT) | instid1(VALU_DEP_2)
	v_fma_f64 v[2:3], v[27:28], v[49:50], v[2:3]
	v_fma_f64 v[0:1], v[43:44], v[49:50], v[0:1]
	ds_store_2addr_b64 v81, v[2:3], v[0:1] offset1:16
	s_wait_loadcnt_dscnt 0x0
	s_barrier_signal -1
	s_barrier_wait -1
	global_inv scope:SCOPE_SE
	s_and_saveexec_b32 s5, s0
	s_cbranch_execz .LBB156_28
; %bb.26:                               ;   in Loop: Header=BB156_3 Depth=1
	ds_load_2addr_b64 v[47:50], v64 offset1:32
	v_add_co_u32 v25, vcc_lo, v25, v13
	s_wait_alu 0xfffd
	v_add_co_ci_u32_e64 v26, null, v26, v14, vcc_lo
	s_mov_b32 s26, 0
	flat_load_b64 v[2:3], v[25:26]
	s_wait_dscnt 0x1
	v_add_f64_e32 v[0:1], 0, v[47:48]
	s_delay_alu instid0(VALU_DEP_1) | instskip(SKIP_3) | instid1(VALU_DEP_1)
	v_add_f64_e32 v[0:1], v[0:1], v[49:50]
	ds_load_2addr_b64 v[47:50], v64 offset0:64 offset1:96
	s_wait_dscnt 0x0
	v_add_f64_e32 v[0:1], v[0:1], v[47:48]
	v_add_f64_e32 v[0:1], v[0:1], v[49:50]
	ds_load_2addr_b64 v[47:50], v64 offset0:128 offset1:160
	s_wait_dscnt 0x0
	v_add_f64_e32 v[0:1], v[0:1], v[47:48]
	s_delay_alu instid0(VALU_DEP_1) | instskip(SKIP_3) | instid1(VALU_DEP_1)
	v_add_f64_e32 v[0:1], v[0:1], v[49:50]
	ds_load_2addr_b64 v[47:50], v64 offset0:192 offset1:224
	s_wait_dscnt 0x0
	v_add_f64_e32 v[0:1], v[0:1], v[47:48]
	v_add_f64_e32 v[0:1], v[0:1], v[49:50]
	s_delay_alu instid0(VALU_DEP_1)
	v_mul_f64_e32 v[47:48], v[15:16], v[0:1]
.LBB156_27:                             ;   Parent Loop BB156_3 Depth=1
                                        ; =>  This Inner Loop Header: Depth=2
	s_wait_loadcnt 0x0
	s_delay_alu instid0(VALU_DEP_1)
	v_add_f64_e32 v[0:1], v[2:3], v[47:48]
	flat_atomic_cmpswap_b64 v[0:1], v[25:26], v[0:3] th:TH_ATOMIC_RETURN scope:SCOPE_DEV
	s_wait_loadcnt_dscnt 0x0
	v_cmp_eq_u64_e32 vcc_lo, v[0:1], v[2:3]
	v_dual_mov_b32 v3, v1 :: v_dual_mov_b32 v2, v0
	s_or_b32 s26, vcc_lo, s26
	s_delay_alu instid0(SALU_CYCLE_1)
	s_and_not1_b32 exec_lo, exec_lo, s26
	s_cbranch_execnz .LBB156_27
.LBB156_28:                             ;   in Loop: Header=BB156_3 Depth=1
	s_wait_alu 0xfffe
	s_or_b32 exec_lo, exec_lo, s5
	v_fma_f64 v[0:1], v[35:36], v[33:34], v[19:20]
	v_fma_f64 v[2:3], v[35:36], v[31:32], v[23:24]
	;; [unrolled: 1-line block ×4, first 2 shown]
	s_delay_alu instid0(VALU_DEP_4) | instskip(NEXT) | instid1(VALU_DEP_4)
	v_fma_f64 v[19:20], v[45:46], v[37:38], v[0:1]
	v_fma_f64 v[17:18], v[45:46], v[39:40], v[2:3]
	s_delay_alu instid0(VALU_DEP_4) | instskip(NEXT) | instid1(VALU_DEP_4)
	v_fma_f64 v[2:3], v[45:46], v[41:42], v[21:22]
	v_fma_f64 v[0:1], v[45:46], v[43:44], v[23:24]
.LBB156_29:                             ;   in Loop: Header=BB156_3 Depth=1
	ds_store_2addr_b64 v82, v[19:20], v[17:18] offset1:16
	ds_store_2addr_b64 v82, v[2:3], v[0:1] offset0:32 offset1:48
	s_wait_loadcnt_dscnt 0x0
	s_barrier_signal -1
	s_barrier_wait -1
	global_inv scope:SCOPE_SE
	s_and_b32 exec_lo, exec_lo, s0
	s_cbranch_execz .LBB156_2
; %bb.30:                               ;   in Loop: Header=BB156_3 Depth=1
	ds_load_b64 v[0:1], v65
	ds_load_b64 v[2:3], v66
	;; [unrolled: 1-line block ×4, first 2 shown]
	s_wait_alu 0xfffe
	s_add_nc_u64 s[44:45], s[44:45], s[42:43]
	s_mov_b32 s5, 0
	s_wait_dscnt 0x3
	v_add_f64_e32 v[0:1], 0, v[0:1]
	s_wait_dscnt 0x2
	s_delay_alu instid0(VALU_DEP_1) | instskip(SKIP_1) | instid1(VALU_DEP_1)
	v_add_f64_e32 v[0:1], v[0:1], v[2:3]
	s_wait_dscnt 0x1
	v_add_f64_e32 v[0:1], v[0:1], v[17:18]
	s_wait_dscnt 0x0
	s_delay_alu instid0(VALU_DEP_1)
	v_add_f64_e32 v[0:1], v[0:1], v[19:20]
	ds_load_b64 v[2:3], v69
	ds_load_b64 v[17:18], v70
	;; [unrolled: 1-line block ×4, first 2 shown]
	s_wait_dscnt 0x3
	v_add_f64_e32 v[0:1], v[0:1], v[2:3]
	s_wait_dscnt 0x2
	s_delay_alu instid0(VALU_DEP_1)
	v_add_f64_e32 v[0:1], v[0:1], v[17:18]
	s_wait_alu 0xfffe
	v_add_co_u32 v17, vcc_lo, s44, v13
	s_wait_alu 0xfffd
	v_add_co_ci_u32_e64 v18, null, s45, v14, vcc_lo
	s_wait_dscnt 0x1
	s_delay_alu instid0(VALU_DEP_3) | instskip(SKIP_1) | instid1(VALU_DEP_1)
	v_add_f64_e32 v[0:1], v[0:1], v[19:20]
	s_wait_dscnt 0x0
	v_add_f64_e32 v[0:1], v[0:1], v[21:22]
	ds_load_b64 v[2:3], v73
	ds_load_b64 v[19:20], v74
	;; [unrolled: 1-line block ×4, first 2 shown]
	s_wait_dscnt 0x3
	v_add_f64_e32 v[0:1], v[0:1], v[2:3]
	flat_load_b64 v[2:3], v[17:18]
	s_wait_dscnt 0x3
	v_add_f64_e32 v[0:1], v[0:1], v[19:20]
	s_wait_dscnt 0x2
	s_delay_alu instid0(VALU_DEP_1) | instskip(SKIP_1) | instid1(VALU_DEP_1)
	v_add_f64_e32 v[0:1], v[0:1], v[21:22]
	s_wait_dscnt 0x1
	v_add_f64_e32 v[0:1], v[0:1], v[23:24]
	ds_load_b64 v[19:20], v77
	ds_load_b64 v[21:22], v78
	ds_load_b64 v[23:24], v79
	ds_load_b64 v[25:26], v80
	s_wait_dscnt 0x3
	v_add_f64_e32 v[0:1], v[0:1], v[19:20]
	s_wait_dscnt 0x2
	s_delay_alu instid0(VALU_DEP_1) | instskip(SKIP_1) | instid1(VALU_DEP_1)
	v_add_f64_e32 v[0:1], v[0:1], v[21:22]
	s_wait_dscnt 0x1
	v_add_f64_e32 v[0:1], v[0:1], v[23:24]
	s_wait_dscnt 0x0
	s_delay_alu instid0(VALU_DEP_1) | instskip(NEXT) | instid1(VALU_DEP_1)
	v_add_f64_e32 v[0:1], v[0:1], v[25:26]
	v_mul_f64_e32 v[15:16], v[15:16], v[0:1]
.LBB156_31:                             ;   Parent Loop BB156_3 Depth=1
                                        ; =>  This Inner Loop Header: Depth=2
	s_wait_loadcnt 0x0
	s_delay_alu instid0(VALU_DEP_1)
	v_add_f64_e32 v[0:1], v[2:3], v[15:16]
	flat_atomic_cmpswap_b64 v[0:1], v[17:18], v[0:3] th:TH_ATOMIC_RETURN scope:SCOPE_DEV
	s_wait_loadcnt_dscnt 0x0
	v_cmp_eq_u64_e32 vcc_lo, v[0:1], v[2:3]
	v_dual_mov_b32 v3, v1 :: v_dual_mov_b32 v2, v0
	s_or_b32 s5, vcc_lo, s5
	s_wait_alu 0xfffe
	s_and_not1_b32 exec_lo, exec_lo, s5
	s_cbranch_execnz .LBB156_31
	s_branch .LBB156_2
.LBB156_32:
	s_endpgm
	.section	.rodata,"a",@progbits
	.p2align	6, 0x0
	.amdhsa_kernel _ZL54rocblas_symv_kernel_upper_double_buffered_non_diagonalILi32ELi4ELi4E24rocblas_internal_val_ptrIdEPKPKdPKPdEvbiT2_lT3_lllSA_lllT4_llli
		.amdhsa_group_segment_fixed_size 7424
		.amdhsa_private_segment_fixed_size 0
		.amdhsa_kernarg_size 384
		.amdhsa_user_sgpr_count 4
		.amdhsa_user_sgpr_dispatch_ptr 1
		.amdhsa_user_sgpr_queue_ptr 0
		.amdhsa_user_sgpr_kernarg_segment_ptr 1
		.amdhsa_user_sgpr_dispatch_id 0
		.amdhsa_user_sgpr_private_segment_size 0
		.amdhsa_wavefront_size32 1
		.amdhsa_uses_dynamic_stack 0
		.amdhsa_enable_private_segment 0
		.amdhsa_system_sgpr_workgroup_id_x 1
		.amdhsa_system_sgpr_workgroup_id_y 1
		.amdhsa_system_sgpr_workgroup_id_z 1
		.amdhsa_system_sgpr_workgroup_info 0
		.amdhsa_system_vgpr_workitem_id 2
		.amdhsa_next_free_vgpr 91
		.amdhsa_next_free_sgpr 54
		.amdhsa_reserve_vcc 1
		.amdhsa_float_round_mode_32 0
		.amdhsa_float_round_mode_16_64 0
		.amdhsa_float_denorm_mode_32 3
		.amdhsa_float_denorm_mode_16_64 3
		.amdhsa_fp16_overflow 0
		.amdhsa_workgroup_processor_mode 1
		.amdhsa_memory_ordered 1
		.amdhsa_forward_progress 1
		.amdhsa_inst_pref_size 30
		.amdhsa_round_robin_scheduling 0
		.amdhsa_exception_fp_ieee_invalid_op 0
		.amdhsa_exception_fp_denorm_src 0
		.amdhsa_exception_fp_ieee_div_zero 0
		.amdhsa_exception_fp_ieee_overflow 0
		.amdhsa_exception_fp_ieee_underflow 0
		.amdhsa_exception_fp_ieee_inexact 0
		.amdhsa_exception_int_div_zero 0
	.end_amdhsa_kernel
	.section	.text._ZL54rocblas_symv_kernel_upper_double_buffered_non_diagonalILi32ELi4ELi4E24rocblas_internal_val_ptrIdEPKPKdPKPdEvbiT2_lT3_lllSA_lllT4_llli,"axG",@progbits,_ZL54rocblas_symv_kernel_upper_double_buffered_non_diagonalILi32ELi4ELi4E24rocblas_internal_val_ptrIdEPKPKdPKPdEvbiT2_lT3_lllSA_lllT4_llli,comdat
.Lfunc_end156:
	.size	_ZL54rocblas_symv_kernel_upper_double_buffered_non_diagonalILi32ELi4ELi4E24rocblas_internal_val_ptrIdEPKPKdPKPdEvbiT2_lT3_lllSA_lllT4_llli, .Lfunc_end156-_ZL54rocblas_symv_kernel_upper_double_buffered_non_diagonalILi32ELi4ELi4E24rocblas_internal_val_ptrIdEPKPKdPKPdEvbiT2_lT3_lllSA_lllT4_llli
                                        ; -- End function
	.set _ZL54rocblas_symv_kernel_upper_double_buffered_non_diagonalILi32ELi4ELi4E24rocblas_internal_val_ptrIdEPKPKdPKPdEvbiT2_lT3_lllSA_lllT4_llli.num_vgpr, 91
	.set _ZL54rocblas_symv_kernel_upper_double_buffered_non_diagonalILi32ELi4ELi4E24rocblas_internal_val_ptrIdEPKPKdPKPdEvbiT2_lT3_lllSA_lllT4_llli.num_agpr, 0
	.set _ZL54rocblas_symv_kernel_upper_double_buffered_non_diagonalILi32ELi4ELi4E24rocblas_internal_val_ptrIdEPKPKdPKPdEvbiT2_lT3_lllSA_lllT4_llli.numbered_sgpr, 54
	.set _ZL54rocblas_symv_kernel_upper_double_buffered_non_diagonalILi32ELi4ELi4E24rocblas_internal_val_ptrIdEPKPKdPKPdEvbiT2_lT3_lllSA_lllT4_llli.num_named_barrier, 0
	.set _ZL54rocblas_symv_kernel_upper_double_buffered_non_diagonalILi32ELi4ELi4E24rocblas_internal_val_ptrIdEPKPKdPKPdEvbiT2_lT3_lllSA_lllT4_llli.private_seg_size, 0
	.set _ZL54rocblas_symv_kernel_upper_double_buffered_non_diagonalILi32ELi4ELi4E24rocblas_internal_val_ptrIdEPKPKdPKPdEvbiT2_lT3_lllSA_lllT4_llli.uses_vcc, 1
	.set _ZL54rocblas_symv_kernel_upper_double_buffered_non_diagonalILi32ELi4ELi4E24rocblas_internal_val_ptrIdEPKPKdPKPdEvbiT2_lT3_lllSA_lllT4_llli.uses_flat_scratch, 1
	.set _ZL54rocblas_symv_kernel_upper_double_buffered_non_diagonalILi32ELi4ELi4E24rocblas_internal_val_ptrIdEPKPKdPKPdEvbiT2_lT3_lllSA_lllT4_llli.has_dyn_sized_stack, 0
	.set _ZL54rocblas_symv_kernel_upper_double_buffered_non_diagonalILi32ELi4ELi4E24rocblas_internal_val_ptrIdEPKPKdPKPdEvbiT2_lT3_lllSA_lllT4_llli.has_recursion, 0
	.set _ZL54rocblas_symv_kernel_upper_double_buffered_non_diagonalILi32ELi4ELi4E24rocblas_internal_val_ptrIdEPKPKdPKPdEvbiT2_lT3_lllSA_lllT4_llli.has_indirect_call, 0
	.section	.AMDGPU.csdata,"",@progbits
; Kernel info:
; codeLenInByte = 3756
; TotalNumSgprs: 56
; NumVgprs: 91
; ScratchSize: 0
; MemoryBound: 0
; FloatMode: 240
; IeeeMode: 1
; LDSByteSize: 7424 bytes/workgroup (compile time only)
; SGPRBlocks: 0
; VGPRBlocks: 11
; NumSGPRsForWavesPerEU: 56
; NumVGPRsForWavesPerEU: 91
; Occupancy: 16
; WaveLimiterHint : 1
; COMPUTE_PGM_RSRC2:SCRATCH_EN: 0
; COMPUTE_PGM_RSRC2:USER_SGPR: 4
; COMPUTE_PGM_RSRC2:TRAP_HANDLER: 0
; COMPUTE_PGM_RSRC2:TGID_X_EN: 1
; COMPUTE_PGM_RSRC2:TGID_Y_EN: 1
; COMPUTE_PGM_RSRC2:TGID_Z_EN: 1
; COMPUTE_PGM_RSRC2:TIDIG_COMP_CNT: 2
	.section	.text._ZL58rocblas_symv_kernel_upper_double_buffered_diagonal_genericILi32ELi8E24rocblas_internal_val_ptrIdEPKPKdPKPdEvbiT1_lT2_lllSA_lllS9_lT3_lllii,"axG",@progbits,_ZL58rocblas_symv_kernel_upper_double_buffered_diagonal_genericILi32ELi8E24rocblas_internal_val_ptrIdEPKPKdPKPdEvbiT1_lT2_lllSA_lllS9_lT3_lllii,comdat
	.globl	_ZL58rocblas_symv_kernel_upper_double_buffered_diagonal_genericILi32ELi8E24rocblas_internal_val_ptrIdEPKPKdPKPdEvbiT1_lT2_lllSA_lllS9_lT3_lllii ; -- Begin function _ZL58rocblas_symv_kernel_upper_double_buffered_diagonal_genericILi32ELi8E24rocblas_internal_val_ptrIdEPKPKdPKPdEvbiT1_lT2_lllSA_lllS9_lT3_lllii
	.p2align	8
	.type	_ZL58rocblas_symv_kernel_upper_double_buffered_diagonal_genericILi32ELi8E24rocblas_internal_val_ptrIdEPKPKdPKPdEvbiT1_lT2_lllSA_lllS9_lT3_lllii,@function
_ZL58rocblas_symv_kernel_upper_double_buffered_diagonal_genericILi32ELi8E24rocblas_internal_val_ptrIdEPKPKdPKPdEvbiT1_lT2_lllSA_lllS9_lT3_lllii: ; @_ZL58rocblas_symv_kernel_upper_double_buffered_diagonal_genericILi32ELi8E24rocblas_internal_val_ptrIdEPKPKdPKPdEvbiT1_lT2_lllSA_lllS9_lT3_lllii
; %bb.0:
	s_load_b64 s[0:1], s[0:1], 0x4
	s_clause 0x1
	s_load_b256 s[8:15], s[2:3], 0x8
	s_load_b128 s[16:19], s[2:3], 0x58
	v_and_b32_e32 v1, 0x3ff, v0
	s_load_b64 s[28:29], s[2:3], 0x88
	v_bfe_u32 v2, v0, 10, 10
	v_bfe_u32 v0, v0, 20, 10
	s_wait_kmcnt 0x0
	s_lshr_b32 s0, s0, 16
	v_mov_b32_e32 v4, s9
	s_mul_i32 s0, s0, s1
	v_mov_b32_e32 v5, s16
	v_mul_lo_u32 v3, s0, v1
	s_lshr_b32 s16, ttmp7, 16
	s_wait_alu 0xfffe
	s_cmp_ge_u32 s16, s29
	s_delay_alu instid0(VALU_DEP_1) | instskip(SKIP_1) | instid1(VALU_DEP_2)
	v_mad_u32_u24 v6, v2, s1, v3
	v_mov_b32_e32 v3, s8
	v_add_lshl_u32 v0, v6, v0, 3
	v_mov_b32_e32 v6, s17
	ds_store_b64 v0, v[3:4] offset:12544
	scratch_store_b64 off, v[5:6], off
	s_cbranch_scc1 .LBB157_57
; %bb.1:
	s_clause 0x5
	s_load_b128 s[24:27], s[2:3], 0x70
	s_load_b64 s[30:31], s[2:3], 0x28
	s_load_b64 s[4:5], s[2:3], 0x48
	s_load_b32 s6, s[2:3], 0x0
	s_load_b64 s[34:35], s[2:3], 0x68
	s_load_b128 s[20:23], s[2:3], 0x38
	s_add_nc_u64 s[36:37], s[2:3], 0x90
	v_cmp_gt_i32_e64 s9, s28, v1
	v_cmp_ne_u32_e64 s2, 0, v2
	v_lshl_add_u32 v13, v2, 5, v1
	v_cmp_eq_u32_e64 s0, 0, v2
	v_cmp_le_i32_e64 s1, s28, v1
	v_lshlrev_b32_e32 v27, 3, v1
	s_mov_b32 s17, 0
	v_lshl_add_u32 v23, v13, 3, 0x2000
	s_wait_kmcnt 0x0
	v_mad_co_u64_u32 v[4:5], null, s26, v1, 0
	v_mad_co_u64_u32 v[6:7], null, s30, v2, 0
	;; [unrolled: 1-line block ×3, first 2 shown]
	v_add_nc_u32_e32 v18, 0x3100, v0
	s_delay_alu instid0(VALU_DEP_4) | instskip(NEXT) | instid1(VALU_DEP_4)
	v_dual_mov_b32 v0, 0 :: v_dual_mov_b32 v3, v5
	v_dual_mov_b32 v5, v7 :: v_dual_lshlrev_b32 v14, 3, v1
	s_bitcmp1_b32 s6, 0
	s_delay_alu instid0(VALU_DEP_4) | instskip(NEXT) | instid1(VALU_DEP_3)
	v_mov_b32_e32 v7, v9
	v_mad_co_u64_u32 v[9:10], null, s27, v1, v[3:4]
	s_cselect_b32 s3, -1, 0
	s_lshl_b32 s38, ttmp9, 5
	v_mad_co_u64_u32 v[10:11], null, s31, v2, v[5:6]
	v_mad_co_u64_u32 v[11:12], null, s5, v1, v[7:8]
	s_ashr_i32 s39, s38, 31
	v_dual_mov_b32 v5, v9 :: v_dual_lshlrev_b32 v12, 3, v2
	s_mul_u64 s[48:49], s[4:5], s[38:39]
	v_sub_co_u32 v3, s4, v1, v2
	v_mov_b32_e32 v9, v11
	v_lshlrev_b32_e32 v11, 8, v2
	v_mov_b32_e32 v7, v10
	s_delay_alu instid0(VALU_DEP_4)
	v_sub_nc_u32_e32 v10, 0, v3
	s_xor_b32 s33, s3, -1
	s_mul_u64 s[40:41], s[26:27], s[38:39]
	s_lshl_b64 s[26:27], s[30:31], 6
	s_nor_b32 s44, s2, s9
	s_lshr_b32 s45, s28, 3
	v_max_i32_e32 v3, v3, v10
	v_mul_u32_u24_e32 v10, 0xf8, v1
	s_cmp_gt_u32 s28, 7
	s_add_nc_u64 s[6:7], s[30:31], 1
	s_cselect_b32 s46, -1, 0
	s_and_b32 s3, s28, 7
	s_mul_u64 s[42:43], s[6:7], s[38:39]
	v_cmp_gt_u32_e64 s3, s3, v2
	s_xor_b32 s28, s4, -1
	v_cmp_lt_u32_e64 s4, 16, v3
	v_add3_u32 v21, v14, v10, v12
	v_cmp_lt_u32_e64 s5, 24, v3
	v_cmp_lt_u32_e64 s6, 8, v3
	v_add_nc_u32_e32 v10, 0x800, v11
	v_lshlrev_b64_e32 v[2:3], 3, v[6:7]
	s_lshl_b64 s[38:39], s[42:43], 3
	v_add_nc_u32_e32 v20, v14, v11
	v_add_nc_u32_e32 v22, 0x3000, v12
	;; [unrolled: 1-line block ×4, first 2 shown]
	v_add_co_u32 v6, vcc_lo, s38, v2
	s_delay_alu instid0(VALU_DEP_1) | instskip(SKIP_1) | instid1(VALU_DEP_3)
	v_add_co_ci_u32_e64 v7, null, s39, v3, vcc_lo
	v_lshlrev_b64_e32 v[4:5], 3, v[4:5]
	v_add_co_u32 v25, vcc_lo, v6, v14
	s_wait_alu 0xfffd
	s_delay_alu instid0(VALU_DEP_3)
	v_add_co_ci_u32_e64 v26, null, 0, v7, vcc_lo
	v_lshlrev_b64_e32 v[6:7], 3, v[8:9]
	v_add_nc_u32_e32 v19, 0x3000, v14
	v_or_b32_e32 v24, 0x2000, v14
	v_add_nc_u32_e32 v28, v14, v10
	v_add_nc_u32_e32 v29, v14, v12
	;; [unrolled: 1-line block ×3, first 2 shown]
	s_lshl_b64 s[14:15], s[14:15], 3
	s_lshl_b64 s[22:23], s[22:23], 3
	;; [unrolled: 1-line block ×5, first 2 shown]
	s_branch .LBB157_4
.LBB157_2:                              ;   in Loop: Header=BB157_4 Depth=1
	s_wait_alu 0xfffe
	s_or_b32 exec_lo, exec_lo, s7
.LBB157_3:                              ;   in Loop: Header=BB157_4 Depth=1
	s_delay_alu instid0(SALU_CYCLE_1)
	s_or_b32 exec_lo, exec_lo, s47
	s_add_co_i32 s16, s16, 0x10000
	s_wait_alu 0xfffe
	s_cmp_lt_u32 s16, s29
	s_cbranch_scc0 .LBB157_57
.LBB157_4:                              ; =>This Loop Header: Depth=1
                                        ;     Child Loop BB157_40 Depth 2
	s_and_b32 vcc_lo, exec_lo, s33
	s_mov_b32 s7, -1
                                        ; implicit-def: $vgpr8_vgpr9
	s_wait_alu 0xfffe
	s_cbranch_vccnz .LBB157_51
; %bb.5:                                ;   in Loop: Header=BB157_4 Depth=1
	s_and_not1_b32 vcc_lo, exec_lo, s7
	s_wait_alu 0xfffe
	s_cbranch_vccz .LBB157_52
.LBB157_6:                              ;   in Loop: Header=BB157_4 Depth=1
	s_and_b32 vcc_lo, exec_lo, s33
	s_mov_b32 s7, -1
                                        ; implicit-def: $vgpr10_vgpr11
	s_wait_alu 0xfffe
	s_cbranch_vccnz .LBB157_53
.LBB157_7:                              ;   in Loop: Header=BB157_4 Depth=1
	s_and_not1_b32 vcc_lo, exec_lo, s7
	s_wait_alu 0xfffe
	s_cbranch_vccnz .LBB157_9
.LBB157_8:                              ;   in Loop: Header=BB157_4 Depth=1
	s_wait_loadcnt_dscnt 0x0
	scratch_load_b64 v[10:11], off, off
.LBB157_9:                              ;   in Loop: Header=BB157_4 Depth=1
	s_wait_loadcnt_dscnt 0x0
	v_cmp_neq_f64_e32 vcc_lo, 0, v[8:9]
	v_cmp_neq_f64_e64 s7, 1.0, v[10:11]
	s_or_b32 s7, vcc_lo, s7
	s_wait_alu 0xfffe
	s_and_saveexec_b32 s47, s7
	s_cbranch_execz .LBB157_3
; %bb.10:                               ;   in Loop: Header=BB157_4 Depth=1
	v_cmp_neq_f64_e64 s7, 0, v[8:9]
	v_cmp_eq_f64_e32 vcc_lo, 0, v[8:9]
	v_dual_mov_b32 v12, s16 :: v_dual_mov_b32 v13, s17
	s_and_saveexec_b32 s8, vcc_lo
	s_wait_alu 0xfffe
	s_xor_b32 s8, exec_lo, s8
; %bb.11:                               ;   in Loop: Header=BB157_4 Depth=1
	v_dual_mov_b32 v12, s16 :: v_dual_mov_b32 v13, s17
; %bb.12:                               ;   in Loop: Header=BB157_4 Depth=1
	s_wait_alu 0xfffe
	s_or_saveexec_b32 s48, s8
	v_mov_b32_e32 v16, 0
	v_dual_mov_b32 v17, 0 :: v_dual_mov_b32 v14, 0
	v_mov_b32_e32 v15, 0
	s_wait_alu 0xfffe
	s_xor_b32 exec_lo, exec_lo, s48
	s_cbranch_execz .LBB157_14
; %bb.13:                               ;   in Loop: Header=BB157_4 Depth=1
	s_lshl_b64 s[50:51], s[16:17], 3
	s_wait_alu 0xfffe
	s_add_nc_u64 s[50:51], s[12:13], s[50:51]
	global_load_b64 v[14:15], v0, s[50:51]
	s_wait_loadcnt 0x0
	v_add_co_u32 v14, s8, v14, s14
	s_wait_alu 0xf1ff
	v_add_co_ci_u32_e64 v15, null, s15, v15, s8
.LBB157_14:                             ;   in Loop: Header=BB157_4 Depth=1
	s_or_b32 exec_lo, exec_lo, s48
	v_lshlrev_b64_e32 v[12:13], 3, v[12:13]
	s_and_saveexec_b32 s8, s7
	s_cbranch_execz .LBB157_16
; %bb.15:                               ;   in Loop: Header=BB157_4 Depth=1
	s_delay_alu instid0(VALU_DEP_1) | instskip(SKIP_1) | instid1(VALU_DEP_2)
	v_add_co_u32 v16, s7, s20, v12
	s_wait_alu 0xf1ff
	v_add_co_ci_u32_e64 v17, null, s21, v13, s7
	global_load_b64 v[16:17], v[16:17], off
	s_wait_loadcnt 0x0
	v_add_co_u32 v16, s7, v16, s22
	s_wait_alu 0xf1ff
	v_add_co_ci_u32_e64 v17, null, s23, v17, s7
.LBB157_16:                             ;   in Loop: Header=BB157_4 Depth=1
	s_wait_alu 0xfffe
	s_or_b32 exec_lo, exec_lo, s8
	s_delay_alu instid0(VALU_DEP_1)
	v_add_co_u32 v12, s7, s34, v12
	s_wait_alu 0xf1ff
	v_add_co_ci_u32_e64 v13, null, s35, v13, s7
	global_load_b64 v[12:13], v[12:13], off
	s_wait_loadcnt 0x0
	v_add_co_u32 v1, s7, v12, s24
	s_wait_alu 0xf1ff
	v_add_co_ci_u32_e64 v12, null, s25, v13, s7
	s_delay_alu instid0(VALU_DEP_2) | instskip(SKIP_1) | instid1(VALU_DEP_2)
	v_add_co_u32 v31, s7, v1, s40
	s_wait_alu 0xf1ff
	v_add_co_ci_u32_e64 v32, null, s41, v12, s7
	s_and_saveexec_b32 s7, vcc_lo
	s_wait_alu 0xfffe
	s_xor_b32 s7, exec_lo, s7
	s_cbranch_execz .LBB157_23
; %bb.17:                               ;   in Loop: Header=BB157_4 Depth=1
	s_and_saveexec_b32 s8, s0
	s_cbranch_execz .LBB157_22
; %bb.18:                               ;   in Loop: Header=BB157_4 Depth=1
	s_mov_b32 s49, s9
	s_and_saveexec_b32 s48, s1
	s_cbranch_execz .LBB157_20
; %bb.19:                               ;   in Loop: Header=BB157_4 Depth=1
	s_load_b32 s49, s[36:37], 0x0
	s_wait_kmcnt 0x0
	s_add_co_i32 s49, s49, -1
	s_wait_alu 0xfffe
	s_cmp_lt_u32 ttmp9, s49
	s_cselect_b32 s49, -1, 0
	s_and_not1_b32 s50, s9, exec_lo
	s_wait_alu 0xfffe
	s_and_b32 s49, s49, exec_lo
	s_wait_alu 0xfffe
	s_or_b32 s49, s50, s49
.LBB157_20:                             ;   in Loop: Header=BB157_4 Depth=1
	s_wait_alu 0xfffe
	s_or_b32 exec_lo, exec_lo, s48
	s_delay_alu instid0(SALU_CYCLE_1)
	s_and_b32 exec_lo, exec_lo, s49
	s_cbranch_execz .LBB157_22
; %bb.21:                               ;   in Loop: Header=BB157_4 Depth=1
	v_add_co_u32 v8, vcc_lo, v31, v4
	s_wait_alu 0xfffd
	v_add_co_ci_u32_e64 v9, null, v32, v5, vcc_lo
	flat_load_b64 v[12:13], v[8:9]
	s_wait_loadcnt_dscnt 0x0
	v_mul_f64_e32 v[10:11], v[10:11], v[12:13]
	flat_store_b64 v[8:9], v[10:11]
.LBB157_22:                             ;   in Loop: Header=BB157_4 Depth=1
	s_wait_alu 0xfffe
	s_or_b32 exec_lo, exec_lo, s8
                                        ; implicit-def: $vgpr10_vgpr11
                                        ; implicit-def: $vgpr8_vgpr9
                                        ; implicit-def: $vgpr31
                                        ; implicit-def: $vgpr32
                                        ; implicit-def: $vgpr14_vgpr15
                                        ; implicit-def: $vgpr16_vgpr17
.LBB157_23:                             ;   in Loop: Header=BB157_4 Depth=1
	s_wait_alu 0xfffe
	s_and_not1_saveexec_b32 s7, s7
	s_cbranch_execz .LBB157_3
; %bb.24:                               ;   in Loop: Header=BB157_4 Depth=1
	v_mov_b32_e32 v12, 0
	v_mov_b32_e32 v13, 0
	s_and_saveexec_b32 s7, s0
	s_cbranch_execz .LBB157_32
; %bb.25:                               ;   in Loop: Header=BB157_4 Depth=1
	s_mov_b32 s48, s9
	s_and_saveexec_b32 s8, s1
	s_cbranch_execz .LBB157_27
; %bb.26:                               ;   in Loop: Header=BB157_4 Depth=1
	s_load_b32 s48, s[36:37], 0x0
	s_wait_kmcnt 0x0
	s_add_co_i32 s48, s48, -1
	s_wait_alu 0xfffe
	s_cmp_lt_u32 ttmp9, s48
	s_cselect_b32 s48, -1, 0
	s_and_not1_b32 s49, s9, exec_lo
	s_wait_alu 0xfffe
	s_and_b32 s48, s48, exec_lo
	s_wait_alu 0xfffe
	s_or_b32 s48, s49, s48
.LBB157_27:                             ;   in Loop: Header=BB157_4 Depth=1
	s_wait_alu 0xfffe
	s_or_b32 exec_lo, exec_lo, s8
	v_mov_b32_e32 v12, 0
	v_mov_b32_e32 v13, 0
	s_and_saveexec_b32 s8, s48
	s_cbranch_execz .LBB157_31
; %bb.28:                               ;   in Loop: Header=BB157_4 Depth=1
	v_add_co_u32 v1, vcc_lo, v16, s42
	s_wait_alu 0xfffd
	v_add_co_ci_u32_e64 v13, null, s43, v17, vcc_lo
	s_mov_b32 s48, exec_lo
	v_add_co_u32 v12, vcc_lo, v1, v6
	s_wait_alu 0xfffd
	v_add_co_ci_u32_e64 v13, null, v13, v7, vcc_lo
	flat_load_b64 v[16:17], v[12:13]
	v_mov_b32_e32 v12, 0
	v_mov_b32_e32 v13, 0
	s_wait_loadcnt_dscnt 0x0
	ds_store_b64 v19, v[16:17]
	v_cmpx_neq_f64_e32 0, v[10:11]
	s_cbranch_execz .LBB157_30
; %bb.29:                               ;   in Loop: Header=BB157_4 Depth=1
	v_add_co_u32 v12, vcc_lo, v31, v4
	s_wait_alu 0xfffd
	v_add_co_ci_u32_e64 v13, null, v32, v5, vcc_lo
	flat_load_b64 v[12:13], v[12:13]
	s_wait_loadcnt_dscnt 0x0
	v_mul_f64_e32 v[12:13], v[10:11], v[12:13]
.LBB157_30:                             ;   in Loop: Header=BB157_4 Depth=1
	s_wait_alu 0xfffe
	s_or_b32 exec_lo, exec_lo, s48
.LBB157_31:                             ;   in Loop: Header=BB157_4 Depth=1
	s_wait_alu 0xfffe
	s_or_b32 exec_lo, exec_lo, s8
.LBB157_32:                             ;   in Loop: Header=BB157_4 Depth=1
	s_wait_alu 0xfffe
	s_or_b32 exec_lo, exec_lo, s7
	s_load_b32 s7, s[36:37], 0x0
	v_add_co_u32 v1, vcc_lo, v14, s38
	s_wait_alu 0xfffd
	v_add_co_ci_u32_e64 v16, null, s39, v15, vcc_lo
	s_mov_b32 s8, -1
	v_add_co_u32 v1, vcc_lo, v1, v2
	s_wait_alu 0xfffd
	v_add_co_ci_u32_e64 v17, null, v16, v3, vcc_lo
	s_delay_alu instid0(VALU_DEP_2) | instskip(SKIP_1) | instid1(VALU_DEP_2)
	v_add_co_u32 v16, vcc_lo, v1, v27
	s_wait_alu 0xfffd
	v_add_co_ci_u32_e64 v17, null, 0, v17, vcc_lo
	s_wait_kmcnt 0x0
	s_add_co_i32 s7, s7, -1
	s_wait_alu 0xfffe
	s_cmp_eq_u32 ttmp9, s7
	s_cbranch_scc1 .LBB157_34
; %bb.33:                               ;   in Loop: Header=BB157_4 Depth=1
	v_add_co_u32 v33, vcc_lo, v16, s26
	s_wait_alu 0xfffd
	v_add_co_ci_u32_e64 v34, null, s27, v17, vcc_lo
	s_mov_b32 s8, 0
	v_add_co_u32 v35, vcc_lo, v33, s26
	s_wait_alu 0xfffd
	v_add_co_ci_u32_e64 v36, null, s27, v34, vcc_lo
	s_delay_alu instid0(VALU_DEP_2) | instskip(SKIP_1) | instid1(VALU_DEP_2)
	v_add_co_u32 v37, vcc_lo, v35, s26
	s_wait_alu 0xfffd
	v_add_co_ci_u32_e64 v38, null, s27, v36, vcc_lo
	s_clause 0x3
	flat_load_b64 v[39:40], v[16:17]
	flat_load_b64 v[33:34], v[33:34]
	;; [unrolled: 1-line block ×4, first 2 shown]
	s_wait_loadcnt_dscnt 0x202
	ds_store_2addr_stride64_b64 v20, v[39:40], v[33:34] offset1:4
	s_wait_loadcnt_dscnt 0x1
	ds_store_2addr_stride64_b64 v20, v[35:36], v[37:38] offset0:8 offset1:12
.LBB157_34:                             ;   in Loop: Header=BB157_4 Depth=1
	s_wait_alu 0xfffe
	s_and_not1_b32 vcc_lo, exec_lo, s8
	s_wait_alu 0xfffe
	s_cbranch_vccnz .LBB157_44
; %bb.35:                               ;   in Loop: Header=BB157_4 Depth=1
	s_mov_b32 s48, s17
	s_mov_b32 s49, s17
	s_wait_alu 0xfffe
	v_dual_mov_b32 v33, s48 :: v_dual_mov_b32 v34, s49
	ds_store_2addr_stride64_b64 v20, v[33:34], v[33:34] offset1:4
	ds_store_2addr_stride64_b64 v20, v[33:34], v[33:34] offset0:8 offset1:12
	s_and_saveexec_b32 s8, s44
; %bb.36:                               ;   in Loop: Header=BB157_4 Depth=1
	v_mov_b32_e32 v1, v0
	ds_store_b64 v19, v[0:1]
; %bb.37:                               ;   in Loop: Header=BB157_4 Depth=1
	s_wait_alu 0xfffe
	s_or_b32 exec_lo, exec_lo, s8
	s_and_saveexec_b32 s8, s9
	s_cbranch_execz .LBB157_43
; %bb.38:                               ;   in Loop: Header=BB157_4 Depth=1
	s_and_not1_b32 vcc_lo, exec_lo, s46
	s_mov_b32 s48, 0
	s_wait_alu 0xfffe
	s_cbranch_vccnz .LBB157_41
; %bb.39:                               ;   in Loop: Header=BB157_4 Depth=1
	v_add_co_u32 v14, vcc_lo, v14, v25
	s_wait_alu 0xfffd
	v_add_co_ci_u32_e64 v15, null, v15, v26, vcc_lo
	v_mov_b32_e32 v1, v20
	s_mov_b32 s49, s45
.LBB157_40:                             ;   Parent Loop BB157_4 Depth=1
                                        ; =>  This Inner Loop Header: Depth=2
	flat_load_b64 v[33:34], v[14:15]
	v_add_co_u32 v14, vcc_lo, v14, s26
	s_wait_alu 0xfffd
	v_add_co_ci_u32_e64 v15, null, s27, v15, vcc_lo
	s_wait_alu 0xfffe
	s_add_co_i32 s49, s49, -1
	s_mov_b32 s48, s45
	s_wait_alu 0xfffe
	s_cmp_lg_u32 s49, 0
	s_wait_loadcnt_dscnt 0x0
	ds_store_b64 v1, v[33:34]
	v_add_nc_u32_e32 v1, 0x800, v1
	s_cbranch_scc1 .LBB157_40
.LBB157_41:                             ;   in Loop: Header=BB157_4 Depth=1
	s_and_b32 exec_lo, exec_lo, s3
	s_cbranch_execz .LBB157_43
; %bb.42:                               ;   in Loop: Header=BB157_4 Depth=1
	s_lshl_b32 s50, s48, 3
	s_mov_b32 s51, s17
	v_lshl_add_u32 v1, s48, 11, v20
	s_wait_alu 0xfffe
	s_mul_u64 s[50:51], s[30:31], s[50:51]
	s_wait_alu 0xfffe
	s_lshl_b64 s[50:51], s[50:51], 3
	s_wait_alu 0xfffe
	v_add_co_u32 v14, vcc_lo, v16, s50
	s_wait_alu 0xfffd
	v_add_co_ci_u32_e64 v15, null, s51, v17, vcc_lo
	flat_load_b64 v[14:15], v[14:15]
	s_wait_loadcnt_dscnt 0x0
	ds_store_b64 v1, v[14:15]
.LBB157_43:                             ;   in Loop: Header=BB157_4 Depth=1
	s_wait_alu 0xfffe
	s_or_b32 exec_lo, exec_lo, s8
.LBB157_44:                             ;   in Loop: Header=BB157_4 Depth=1
	s_wait_storecnt_dscnt 0x0
	s_barrier_signal -1
	s_barrier_wait -1
	global_inv scope:SCOPE_SE
	s_and_saveexec_b32 s8, s4
	s_cbranch_execnz .LBB157_54
; %bb.45:                               ;   in Loop: Header=BB157_4 Depth=1
	s_wait_alu 0xfffe
	s_or_b32 exec_lo, exec_lo, s8
	s_and_saveexec_b32 s8, s5
	s_cbranch_execnz .LBB157_55
.LBB157_46:                             ;   in Loop: Header=BB157_4 Depth=1
	s_wait_alu 0xfffe
	s_or_b32 exec_lo, exec_lo, s8
	s_and_saveexec_b32 s8, s28
	s_cbranch_execnz .LBB157_56
.LBB157_47:                             ;   in Loop: Header=BB157_4 Depth=1
	s_wait_alu 0xfffe
	s_or_b32 exec_lo, exec_lo, s8
	s_and_saveexec_b32 s8, s6
	s_cbranch_execz .LBB157_49
.LBB157_48:                             ;   in Loop: Header=BB157_4 Depth=1
	ds_load_b64 v[14:15], v21 offset:64
	s_wait_dscnt 0x0
	ds_store_b64 v28, v[14:15]
.LBB157_49:                             ;   in Loop: Header=BB157_4 Depth=1
	s_wait_alu 0xfffe
	s_or_b32 exec_lo, exec_lo, s8
	s_wait_loadcnt_dscnt 0x0
	s_barrier_signal -1
	s_barrier_wait -1
	global_inv scope:SCOPE_SE
	ds_load_2addr_b64 v[14:17], v22 offset1:8
	ds_load_b64 v[33:34], v20
	ds_load_b64 v[35:36], v28
	;; [unrolled: 1-line block ×4, first 2 shown]
	s_cmp_ge_u32 ttmp9, s7
	s_cselect_b32 s7, -1, 0
	s_wait_alu 0xfffe
	s_and_b32 s7, s1, s7
	s_wait_alu 0xfffe
	s_nor_b32 s8, s7, s2
	s_wait_dscnt 0x3
	v_fma_f64 v[14:15], v[33:34], v[14:15], 0
	s_wait_dscnt 0x2
	s_delay_alu instid0(VALU_DEP_1) | instskip(SKIP_3) | instid1(VALU_DEP_1)
	v_fma_f64 v[33:34], v[35:36], v[16:17], v[14:15]
	ds_load_2addr_b64 v[14:17], v22 offset0:16 offset1:24
	s_wait_dscnt 0x0
	v_fma_f64 v[14:15], v[37:38], v[14:15], v[33:34]
	v_fma_f64 v[14:15], v[39:40], v[16:17], v[14:15]
	ds_store_b64 v23, v[14:15]
	s_wait_loadcnt_dscnt 0x0
	s_barrier_signal -1
	s_barrier_wait -1
	global_inv scope:SCOPE_SE
	s_wait_alu 0xfffe
	s_and_saveexec_b32 s7, s8
	s_cbranch_execz .LBB157_2
; %bb.50:                               ;   in Loop: Header=BB157_4 Depth=1
	ds_load_2addr_b64 v[14:17], v24 offset1:32
	v_cmp_neq_f64_e32 vcc_lo, 0, v[10:11]
	s_wait_dscnt 0x0
	v_add_f64_e32 v[14:15], 0, v[14:15]
	s_delay_alu instid0(VALU_DEP_1) | instskip(SKIP_3) | instid1(VALU_DEP_1)
	v_add_f64_e32 v[33:34], v[14:15], v[16:17]
	ds_load_2addr_b64 v[14:17], v24 offset0:64 offset1:96
	s_wait_dscnt 0x0
	v_add_f64_e32 v[14:15], v[33:34], v[14:15]
	v_add_f64_e32 v[33:34], v[14:15], v[16:17]
	ds_load_2addr_b64 v[14:17], v24 offset0:128 offset1:160
	s_wait_dscnt 0x0
	v_add_f64_e32 v[14:15], v[33:34], v[14:15]
	s_delay_alu instid0(VALU_DEP_1) | instskip(SKIP_3) | instid1(VALU_DEP_1)
	v_add_f64_e32 v[33:34], v[14:15], v[16:17]
	ds_load_2addr_b64 v[14:17], v24 offset0:192 offset1:224
	s_wait_dscnt 0x0
	v_add_f64_e32 v[14:15], v[33:34], v[14:15]
	v_add_f64_e32 v[14:15], v[14:15], v[16:17]
	s_delay_alu instid0(VALU_DEP_1) | instskip(SKIP_2) | instid1(VALU_DEP_1)
	v_mul_f64_e32 v[16:17], v[8:9], v[14:15]
	v_fma_f64 v[8:9], v[8:9], v[14:15], v[12:13]
	s_wait_alu 0xfffd
	v_dual_cndmask_b32 v9, v17, v9 :: v_dual_cndmask_b32 v8, v16, v8
	v_add_co_u32 v10, vcc_lo, v31, v4
	s_wait_alu 0xfffd
	v_add_co_ci_u32_e64 v11, null, v32, v5, vcc_lo
	flat_store_b64 v[10:11], v[8:9]
	s_branch .LBB157_2
.LBB157_51:                             ;   in Loop: Header=BB157_4 Depth=1
	ds_load_b64 v[8:9], v18
	s_mul_u64 s[48:49], s[10:11], s[16:17]
	s_wait_alu 0xfffe
	s_lshl_b64 s[48:49], s[48:49], 3
	s_wait_dscnt 0x0
	s_wait_alu 0xfffe
	v_add_co_u32 v8, vcc_lo, v8, s48
	s_wait_alu 0xfffd
	v_add_co_ci_u32_e64 v9, null, s49, v9, vcc_lo
	flat_load_b64 v[8:9], v[8:9]
	s_cbranch_execnz .LBB157_6
.LBB157_52:                             ;   in Loop: Header=BB157_4 Depth=1
	s_wait_loadcnt_dscnt 0x0
	ds_load_b64 v[8:9], v18
	s_and_b32 vcc_lo, exec_lo, s33
	s_mov_b32 s7, -1
                                        ; implicit-def: $vgpr10_vgpr11
	s_wait_alu 0xfffe
	s_cbranch_vccz .LBB157_7
.LBB157_53:                             ;   in Loop: Header=BB157_4 Depth=1
	scratch_load_b64 v[10:11], off, off
	s_mul_u64 s[48:49], s[18:19], s[16:17]
	s_wait_alu 0xfffe
	s_lshl_b64 s[48:49], s[48:49], 3
	s_wait_loadcnt 0x0
	s_wait_alu 0xfffe
	v_add_co_u32 v10, vcc_lo, v10, s48
	s_wait_alu 0xfffd
	v_add_co_ci_u32_e64 v11, null, s49, v11, vcc_lo
	flat_load_b64 v[10:11], v[10:11]
	s_cbranch_execz .LBB157_8
	s_branch .LBB157_9
.LBB157_54:                             ;   in Loop: Header=BB157_4 Depth=1
	ds_load_b64 v[14:15], v21 offset:128
	s_wait_dscnt 0x0
	ds_store_b64 v20, v[14:15] offset:4096
	s_wait_alu 0xfffe
	s_or_b32 exec_lo, exec_lo, s8
	s_and_saveexec_b32 s8, s5
	s_cbranch_execz .LBB157_46
.LBB157_55:                             ;   in Loop: Header=BB157_4 Depth=1
	ds_load_b64 v[14:15], v21 offset:192
	s_wait_dscnt 0x0
	ds_store_b64 v20, v[14:15] offset:6144
	s_wait_alu 0xfffe
	s_or_b32 exec_lo, exec_lo, s8
	s_and_saveexec_b32 s8, s28
	s_cbranch_execz .LBB157_47
.LBB157_56:                             ;   in Loop: Header=BB157_4 Depth=1
	ds_load_b64 v[14:15], v21
	s_wait_dscnt 0x0
	ds_store_b64 v20, v[14:15]
	s_wait_alu 0xfffe
	s_or_b32 exec_lo, exec_lo, s8
	s_and_saveexec_b32 s8, s6
	s_cbranch_execnz .LBB157_48
	s_branch .LBB157_49
.LBB157_57:
	s_endpgm
	.section	.rodata,"a",@progbits
	.p2align	6, 0x0
	.amdhsa_kernel _ZL58rocblas_symv_kernel_upper_double_buffered_diagonal_genericILi32ELi8E24rocblas_internal_val_ptrIdEPKPKdPKPdEvbiT1_lT2_lllSA_lllS9_lT3_lllii
		.amdhsa_group_segment_fixed_size 14592
		.amdhsa_private_segment_fixed_size 16
		.amdhsa_kernarg_size 400
		.amdhsa_user_sgpr_count 4
		.amdhsa_user_sgpr_dispatch_ptr 1
		.amdhsa_user_sgpr_queue_ptr 0
		.amdhsa_user_sgpr_kernarg_segment_ptr 1
		.amdhsa_user_sgpr_dispatch_id 0
		.amdhsa_user_sgpr_private_segment_size 0
		.amdhsa_wavefront_size32 1
		.amdhsa_uses_dynamic_stack 0
		.amdhsa_enable_private_segment 1
		.amdhsa_system_sgpr_workgroup_id_x 1
		.amdhsa_system_sgpr_workgroup_id_y 0
		.amdhsa_system_sgpr_workgroup_id_z 1
		.amdhsa_system_sgpr_workgroup_info 0
		.amdhsa_system_vgpr_workitem_id 2
		.amdhsa_next_free_vgpr 41
		.amdhsa_next_free_sgpr 52
		.amdhsa_reserve_vcc 1
		.amdhsa_float_round_mode_32 0
		.amdhsa_float_round_mode_16_64 0
		.amdhsa_float_denorm_mode_32 3
		.amdhsa_float_denorm_mode_16_64 3
		.amdhsa_fp16_overflow 0
		.amdhsa_workgroup_processor_mode 1
		.amdhsa_memory_ordered 1
		.amdhsa_forward_progress 1
		.amdhsa_inst_pref_size 22
		.amdhsa_round_robin_scheduling 0
		.amdhsa_exception_fp_ieee_invalid_op 0
		.amdhsa_exception_fp_denorm_src 0
		.amdhsa_exception_fp_ieee_div_zero 0
		.amdhsa_exception_fp_ieee_overflow 0
		.amdhsa_exception_fp_ieee_underflow 0
		.amdhsa_exception_fp_ieee_inexact 0
		.amdhsa_exception_int_div_zero 0
	.end_amdhsa_kernel
	.section	.text._ZL58rocblas_symv_kernel_upper_double_buffered_diagonal_genericILi32ELi8E24rocblas_internal_val_ptrIdEPKPKdPKPdEvbiT1_lT2_lllSA_lllS9_lT3_lllii,"axG",@progbits,_ZL58rocblas_symv_kernel_upper_double_buffered_diagonal_genericILi32ELi8E24rocblas_internal_val_ptrIdEPKPKdPKPdEvbiT1_lT2_lllSA_lllS9_lT3_lllii,comdat
.Lfunc_end157:
	.size	_ZL58rocblas_symv_kernel_upper_double_buffered_diagonal_genericILi32ELi8E24rocblas_internal_val_ptrIdEPKPKdPKPdEvbiT1_lT2_lllSA_lllS9_lT3_lllii, .Lfunc_end157-_ZL58rocblas_symv_kernel_upper_double_buffered_diagonal_genericILi32ELi8E24rocblas_internal_val_ptrIdEPKPKdPKPdEvbiT1_lT2_lllSA_lllS9_lT3_lllii
                                        ; -- End function
	.set _ZL58rocblas_symv_kernel_upper_double_buffered_diagonal_genericILi32ELi8E24rocblas_internal_val_ptrIdEPKPKdPKPdEvbiT1_lT2_lllSA_lllS9_lT3_lllii.num_vgpr, 41
	.set _ZL58rocblas_symv_kernel_upper_double_buffered_diagonal_genericILi32ELi8E24rocblas_internal_val_ptrIdEPKPKdPKPdEvbiT1_lT2_lllSA_lllS9_lT3_lllii.num_agpr, 0
	.set _ZL58rocblas_symv_kernel_upper_double_buffered_diagonal_genericILi32ELi8E24rocblas_internal_val_ptrIdEPKPKdPKPdEvbiT1_lT2_lllSA_lllS9_lT3_lllii.numbered_sgpr, 52
	.set _ZL58rocblas_symv_kernel_upper_double_buffered_diagonal_genericILi32ELi8E24rocblas_internal_val_ptrIdEPKPKdPKPdEvbiT1_lT2_lllSA_lllS9_lT3_lllii.num_named_barrier, 0
	.set _ZL58rocblas_symv_kernel_upper_double_buffered_diagonal_genericILi32ELi8E24rocblas_internal_val_ptrIdEPKPKdPKPdEvbiT1_lT2_lllSA_lllS9_lT3_lllii.private_seg_size, 16
	.set _ZL58rocblas_symv_kernel_upper_double_buffered_diagonal_genericILi32ELi8E24rocblas_internal_val_ptrIdEPKPKdPKPdEvbiT1_lT2_lllSA_lllS9_lT3_lllii.uses_vcc, 1
	.set _ZL58rocblas_symv_kernel_upper_double_buffered_diagonal_genericILi32ELi8E24rocblas_internal_val_ptrIdEPKPKdPKPdEvbiT1_lT2_lllSA_lllS9_lT3_lllii.uses_flat_scratch, 1
	.set _ZL58rocblas_symv_kernel_upper_double_buffered_diagonal_genericILi32ELi8E24rocblas_internal_val_ptrIdEPKPKdPKPdEvbiT1_lT2_lllSA_lllS9_lT3_lllii.has_dyn_sized_stack, 0
	.set _ZL58rocblas_symv_kernel_upper_double_buffered_diagonal_genericILi32ELi8E24rocblas_internal_val_ptrIdEPKPKdPKPdEvbiT1_lT2_lllSA_lllS9_lT3_lllii.has_recursion, 0
	.set _ZL58rocblas_symv_kernel_upper_double_buffered_diagonal_genericILi32ELi8E24rocblas_internal_val_ptrIdEPKPKdPKPdEvbiT1_lT2_lllSA_lllS9_lT3_lllii.has_indirect_call, 0
	.section	.AMDGPU.csdata,"",@progbits
; Kernel info:
; codeLenInByte = 2788
; TotalNumSgprs: 54
; NumVgprs: 41
; ScratchSize: 16
; MemoryBound: 0
; FloatMode: 240
; IeeeMode: 1
; LDSByteSize: 14592 bytes/workgroup (compile time only)
; SGPRBlocks: 0
; VGPRBlocks: 5
; NumSGPRsForWavesPerEU: 54
; NumVGPRsForWavesPerEU: 41
; Occupancy: 16
; WaveLimiterHint : 1
; COMPUTE_PGM_RSRC2:SCRATCH_EN: 1
; COMPUTE_PGM_RSRC2:USER_SGPR: 4
; COMPUTE_PGM_RSRC2:TRAP_HANDLER: 0
; COMPUTE_PGM_RSRC2:TGID_X_EN: 1
; COMPUTE_PGM_RSRC2:TGID_Y_EN: 0
; COMPUTE_PGM_RSRC2:TGID_Z_EN: 1
; COMPUTE_PGM_RSRC2:TIDIG_COMP_CNT: 2
	.section	.text._ZL62rocblas_symv_kernel_upper_double_buffered_non_diagonal_genericILi32ELi8ELi2ELi0E24rocblas_internal_val_ptrIdEPKPKdPKPdEvbiT3_lT4_lllSA_lllT5_lllii,"axG",@progbits,_ZL62rocblas_symv_kernel_upper_double_buffered_non_diagonal_genericILi32ELi8ELi2ELi0E24rocblas_internal_val_ptrIdEPKPKdPKPdEvbiT3_lT4_lllSA_lllT5_lllii,comdat
	.globl	_ZL62rocblas_symv_kernel_upper_double_buffered_non_diagonal_genericILi32ELi8ELi2ELi0E24rocblas_internal_val_ptrIdEPKPKdPKPdEvbiT3_lT4_lllSA_lllT5_lllii ; -- Begin function _ZL62rocblas_symv_kernel_upper_double_buffered_non_diagonal_genericILi32ELi8ELi2ELi0E24rocblas_internal_val_ptrIdEPKPKdPKPdEvbiT3_lT4_lllSA_lllT5_lllii
	.p2align	8
	.type	_ZL62rocblas_symv_kernel_upper_double_buffered_non_diagonal_genericILi32ELi8ELi2ELi0E24rocblas_internal_val_ptrIdEPKPKdPKPdEvbiT3_lT4_lllSA_lllT5_lllii,@function
_ZL62rocblas_symv_kernel_upper_double_buffered_non_diagonal_genericILi32ELi8ELi2ELi0E24rocblas_internal_val_ptrIdEPKPKdPKPdEvbiT3_lT4_lllSA_lllT5_lllii: ; @_ZL62rocblas_symv_kernel_upper_double_buffered_non_diagonal_genericILi32ELi8ELi2ELi0E24rocblas_internal_val_ptrIdEPKPKdPKPdEvbiT3_lT4_lllSA_lllT5_lllii
; %bb.0:
	s_load_b64 s[0:1], s[0:1], 0x4
	s_load_b256 s[4:11], s[2:3], 0x8
	v_and_b32_e32 v1, 0x3ff, v0
	s_load_b64 s[20:21], s[2:3], 0x78
	v_bfe_u32 v2, v0, 10, 10
	v_bfe_u32 v0, v0, 20, 10
	s_wait_kmcnt 0x0
	s_lshr_b32 s0, s0, 16
	v_mov_b32_e32 v4, s5
	s_mul_i32 s0, s0, s1
	s_delay_alu instid0(SALU_CYCLE_1) | instskip(NEXT) | instid1(VALU_DEP_1)
	v_mul_lo_u32 v3, s0, v1
	v_mad_u32_u24 v5, v2, s1, v3
	v_mov_b32_e32 v3, s4
	s_lshr_b32 s4, ttmp7, 16
	s_wait_alu 0xfffe
	s_cmp_ge_u32 s4, s21
	v_add_lshl_u32 v0, v5, v0, 3
	ds_store_b64 v0, v[3:4] offset:8448
	s_cbranch_scc1 .LBB158_48
; %bb.1:
	s_clause 0x3
	s_load_b64 s[24:25], s[2:3], 0x48
	s_load_b32 s23, s[2:3], 0x0
	s_load_b64 s[26:27], s[2:3], 0x28
	s_load_b128 s[12:15], s[2:3], 0x38
	v_lshl_add_u32 v17, v2, 5, v1
	v_dual_mov_b32 v0, 0 :: v_dual_add_nc_u32 v45, 0x2100, v0
	v_and_b32_e32 v3, 15, v1
	v_cmp_eq_u32_e64 s0, 0, v2
	s_delay_alu instid0(VALU_DEP_4)
	v_lshrrev_b32_e32 v18, 4, v17
	s_clause 0x1
	s_load_b64 s[28:29], s[2:3], 0x58
	s_load_b128 s[16:19], s[2:3], 0x60
	v_mov_b32_e32 v4, v0
	v_or_b32_e32 v16, 16, v3
	v_cmp_gt_i32_e64 s1, s20, v1
	v_lshlrev_b32_e32 v13, 1, v18
	v_lshlrev_b32_e32 v24, 8, v18
	;; [unrolled: 1-line block ×3, first 2 shown]
	s_mov_b32 s5, 0
	s_mov_b32 s22, ttmp9
	s_add_nc_u64 s[2:3], s[2:3], 0x80
	s_wait_kmcnt 0x0
	v_mad_co_u64_u32 v[5:6], null, s24, v1, 0
	v_lshlrev_b32_e32 v23, 3, v3
	v_mad_co_u64_u32 v[9:10], null, s24, v3, 0
	v_mad_co_u64_u32 v[11:12], null, s24, v16, 0
	s_bitcmp1_b32 s23, 0
	v_mov_b32_e32 v2, v6
	s_cselect_b32 s23, -1, 0
	v_mad_co_u64_u32 v[21:22], null, s18, v1, 0
	s_and_b32 s33, ttmp7, 0xffff
	v_mad_co_u64_u32 v[6:7], null, s25, v1, v[2:3]
	v_mad_co_u64_u32 v[7:8], null, s26, v13, v[3:4]
	s_lshl_b32 s30, ttmp9, 5
	s_xor_b32 s46, s23, -1
	s_ashr_i32 s31, s30, 31
	s_lshl_b32 s47, s33, 5
	s_cmp_lg_u32 ttmp9, 0
	v_or_b32_e32 v47, 0x2000, v46
	v_mov_b32_e32 v2, v8
	v_or_b32_e32 v8, 0x1000, v23
	v_mov_b32_e32 v4, v10
	s_cselect_b32 s48, -1, 0
	s_lshr_b32 s23, s20, 31
	v_mad_co_u64_u32 v[13:14], null, s27, v13, v[2:3]
	v_mov_b32_e32 v2, v12
	v_add_nc_u32_e32 v49, v8, v24
	v_mad_co_u64_u32 v[14:15], null, s25, v3, v[4:5]
	v_mov_b32_e32 v4, v22
	s_add_co_i32 s20, s20, s23
	v_dual_mov_b32 v8, v13 :: v_dual_add_nc_u32 v13, 2, v1
	v_mad_co_u64_u32 v[15:16], null, s25, v16, v[2:3]
	v_and_b32_e32 v2, 0xfff0, v17
	v_xor_b32_e32 v3, 8, v3
	s_delay_alu instid0(VALU_DEP_4)
	v_and_b32_e32 v13, 15, v13
	s_wait_alu 0xfffe
	s_ashr_i32 s20, s20, 1
	v_or_b32_e32 v48, v23, v24
	v_add_nc_u32_e32 v50, 0x2000, v2
	v_dual_mov_b32 v12, v15 :: v_dual_add_nc_u32 v15, 4, v1
	v_mad_co_u64_u32 v[16:17], null, s19, v1, v[4:5]
	v_add_nc_u32_e32 v4, 1, v1
	s_delay_alu instid0(VALU_DEP_3) | instskip(SKIP_2) | instid1(VALU_DEP_4)
	v_dual_mov_b32 v10, v14 :: v_dual_and_b32 v15, 15, v15
	v_add_nc_u32_e32 v14, 3, v1
	v_lshl_add_u32 v2, v1, 7, 0x1000
	v_and_b32_e32 v4, 15, v4
	v_mov_b32_e32 v22, v16
	v_add_nc_u32_e32 v16, 5, v1
	v_and_b32_e32 v14, 15, v14
	v_lshl_or_b32 v53, v13, 3, v2
	v_lshl_or_b32 v52, v4, 3, v2
	v_add_nc_u32_e32 v13, 6, v1
	v_and_b32_e32 v4, 15, v16
	v_lshl_or_b32 v54, v14, 3, v2
	v_add_nc_u32_e32 v14, 7, v1
	v_lshl_or_b32 v55, v15, 3, v2
	v_and_b32_e32 v13, 15, v13
	v_lshl_or_b32 v56, v4, 3, v2
	v_add_nc_u32_e32 v4, 9, v1
	v_and_b32_e32 v14, 15, v14
	v_add_nc_u32_e32 v15, 10, v1
	v_lshl_or_b32 v57, v13, 3, v2
	v_add_nc_u32_e32 v13, 13, v1
	v_and_b32_e32 v4, 15, v4
	v_lshl_or_b32 v58, v14, 3, v2
	v_add_nc_u32_e32 v14, 14, v1
	v_lshl_or_b32 v59, v3, 3, v2
	v_add_nc_u32_e32 v3, 11, v1
	;; [unrolled: 2-line block ×3, first 2 shown]
	v_add_nc_u32_e32 v1, -1, v1
	v_and_b32_e32 v15, 15, v15
	v_and_b32_e32 v13, 15, v13
	v_and_b32_e32 v14, 15, v14
	v_and_b32_e32 v3, 15, v3
	v_and_b32_e32 v4, 15, v4
	v_and_b32_e32 v1, 15, v1
	s_wait_alu 0xfffe
	v_cmp_gt_i32_e64 s20, s20, v18
	v_lshl_or_b32 v61, v15, 3, v2
	v_lshl_or_b32 v64, v13, 3, v2
	;; [unrolled: 1-line block ×3, first 2 shown]
	v_lshlrev_b64_e32 v[13:14], 3, v[5:6]
	v_lshlrev_b64_e32 v[15:16], 3, v[7:8]
	;; [unrolled: 1-line block ×5, first 2 shown]
	v_or_b32_e32 v51, v2, v23
	v_lshl_or_b32 v62, v3, 3, v2
	v_lshl_or_b32 v63, v4, 3, v2
	;; [unrolled: 1-line block ×3, first 2 shown]
	v_add_nc_u32_e32 v67, v23, v24
	v_add_nc_u32_e32 v68, 0x800, v46
	s_mul_u64 s[38:39], s[26:27], s[30:31]
	s_mul_u64 s[36:37], s[24:25], s[30:31]
	;; [unrolled: 1-line block ×3, first 2 shown]
	s_lshl_b64 s[30:31], s[24:25], 8
	s_lshl_b64 s[34:35], s[18:19], 8
	s_mov_b32 s23, s5
	s_lshl_b64 s[14:15], s[14:15], 3
	s_lshl_b64 s[36:37], s[36:37], 3
	;; [unrolled: 1-line block ×6, first 2 shown]
	s_branch .LBB158_3
.LBB158_2:                              ;   in Loop: Header=BB158_3 Depth=1
	s_or_b32 exec_lo, exec_lo, s49
	s_add_co_i32 s4, s4, 0x10000
	s_wait_alu 0xfffe
	s_cmp_lt_u32 s4, s21
	s_cbranch_scc0 .LBB158_48
.LBB158_3:                              ; =>This Loop Header: Depth=1
                                        ;     Child Loop BB158_27 Depth 2
                                        ;       Child Loop BB158_33 Depth 3
                                        ;     Child Loop BB158_43 Depth 2
                                        ;     Child Loop BB158_47 Depth 2
	s_and_b32 vcc_lo, exec_lo, s46
	s_mov_b32 s42, -1
                                        ; implicit-def: $vgpr23_vgpr24
	s_wait_alu 0xfffe
	s_cbranch_vccz .LBB158_5
; %bb.4:                                ;   in Loop: Header=BB158_3 Depth=1
	s_wait_loadcnt 0x1
	ds_load_b64 v[1:2], v45
	s_mul_u64 s[42:43], s[6:7], s[4:5]
	s_wait_alu 0xfffe
	s_lshl_b64 s[42:43], s[42:43], 3
	s_wait_dscnt 0x0
	s_wait_alu 0xfffe
	v_add_co_u32 v1, vcc_lo, v1, s42
	s_wait_alu 0xfffd
	v_add_co_ci_u32_e64 v2, null, s43, v2, vcc_lo
	s_mov_b32 s42, 0
	flat_load_b64 v[23:24], v[1:2]
.LBB158_5:                              ;   in Loop: Header=BB158_3 Depth=1
	s_wait_alu 0xfffe
	s_and_not1_b32 vcc_lo, exec_lo, s42
	s_wait_alu 0xfffe
	s_cbranch_vccnz .LBB158_7
; %bb.6:                                ;   in Loop: Header=BB158_3 Depth=1
	s_wait_loadcnt_dscnt 0x0
	ds_load_b64 v[23:24], v45
.LBB158_7:                              ;   in Loop: Header=BB158_3 Depth=1
	s_mov_b32 s49, exec_lo
	s_wait_loadcnt_dscnt 0x0
	v_cmpx_neq_f64_e32 0, v[23:24]
	s_cbranch_execz .LBB158_2
; %bb.8:                                ;   in Loop: Header=BB158_3 Depth=1
	s_and_not1_b32 vcc_lo, exec_lo, s48
	s_wait_alu 0xfffe
	s_cbranch_vccnz .LBB158_2
; %bb.9:                                ;   in Loop: Header=BB158_3 Depth=1
	s_lshl_b64 s[42:43], s[4:5], 3
	s_wait_alu 0xfffe
	s_add_nc_u64 s[44:45], s[8:9], s[42:43]
	s_add_nc_u64 s[50:51], s[12:13], s[42:43]
	s_clause 0x1
	global_load_b64 v[1:2], v0, s[44:45]
	global_load_b64 v[3:4], v0, s[50:51]
	s_load_b32 s45, s[2:3], 0x4
	s_mov_b32 s51, s5
	s_wait_kmcnt 0x0
	s_cvt_f32_u32 s44, s45
	s_sub_co_i32 s50, 0, s45
	s_wait_alu 0xfffe
	s_delay_alu instid0(SALU_CYCLE_1) | instskip(NEXT) | instid1(TRANS32_DEP_1)
	v_rcp_iflag_f32_e32 v5, s44
	v_readfirstlane_b32 s44, v5
	s_mul_f32 s44, s44, 0x4f7ffffe
	s_wait_alu 0xfffe
	s_delay_alu instid0(SALU_CYCLE_2) | instskip(SKIP_1) | instid1(SALU_CYCLE_2)
	s_cvt_u32_f32 s44, s44
	s_wait_alu 0xfffe
	s_mul_i32 s50, s50, s44
	s_delay_alu instid0(SALU_CYCLE_1) | instskip(NEXT) | instid1(SALU_CYCLE_1)
	s_mul_hi_u32 s50, s44, s50
	s_add_co_i32 s50, s44, s50
	s_delay_alu instid0(SALU_CYCLE_1) | instskip(NEXT) | instid1(SALU_CYCLE_1)
	s_mul_u64 s[50:51], s[22:23], s[50:51]
	s_mul_i32 s44, s51, s45
	s_add_co_i32 s50, s51, 1
	s_wait_alu 0xfffe
	s_sub_co_i32 s44, s22, s44
	s_wait_alu 0xfffe
	s_sub_co_i32 s52, s44, s45
	s_cmp_ge_u32 s44, s45
	s_cselect_b32 s50, s50, s51
	s_wait_alu 0xfffe
	s_cselect_b32 s44, s52, s44
	s_add_co_i32 s51, s50, 1
	s_wait_alu 0xfffe
	s_cmp_ge_u32 s44, s45
	s_cselect_b32 s44, s51, s50
	s_add_co_i32 s50, s45, -1
	s_wait_alu 0xfffe
	s_mov_b32 s52, s44
	s_cmp_lg_u32 s33, s50
	s_cbranch_scc1 .LBB158_11
; %bb.10:                               ;   in Loop: Header=BB158_3 Depth=1
	s_mul_i32 s45, s44, s45
	s_wait_alu 0xfffe
	s_sub_co_i32 s45, s22, s45
	s_wait_alu 0xfffe
	s_add_co_i32 s52, s45, s44
.LBB158_11:                             ;   in Loop: Header=BB158_3 Depth=1
	s_wait_alu 0xfffe
	s_cmp_eq_u32 s52, 0
	s_cbranch_scc1 .LBB158_2
; %bb.12:                               ;   in Loop: Header=BB158_3 Depth=1
	s_load_b32 s50, s[2:3], 0x0
	s_add_nc_u64 s[42:43], s[28:29], s[42:43]
	s_wait_loadcnt 0x0
	v_add_co_u32 v9, vcc_lo, v3, s14
	s_load_b64 s[42:43], s[42:43], 0x0
	v_add_co_ci_u32_e64 v10, null, s15, v4, vcc_lo
	v_add_co_u32 v5, vcc_lo, v9, s36
	s_mov_b32 s51, -1
	s_wait_alu 0xfffd
	v_add_co_ci_u32_e64 v6, null, s37, v10, vcc_lo
	s_mov_b32 s45, -1
	s_wait_kmcnt 0x0
	s_add_co_i32 s50, s50, -1
	s_delay_alu instid0(SALU_CYCLE_1)
	s_cmp_lg_u32 s22, s50
	s_cbranch_scc0 .LBB158_16
; %bb.13:                               ;   in Loop: Header=BB158_3 Depth=1
	s_and_saveexec_b32 s45, s0
	s_cbranch_execz .LBB158_15
; %bb.14:                               ;   in Loop: Header=BB158_3 Depth=1
	v_add_co_u32 v3, vcc_lo, v5, v13
	s_wait_alu 0xfffd
	v_add_co_ci_u32_e64 v4, null, v6, v14, vcc_lo
	flat_load_b64 v[3:4], v[3:4]
	s_wait_loadcnt_dscnt 0x0
	ds_store_b64 v47, v[3:4]
.LBB158_15:                             ;   in Loop: Header=BB158_3 Depth=1
	s_wait_alu 0xfffe
	s_or_b32 exec_lo, exec_lo, s45
	s_mov_b32 s45, 0
.LBB158_16:                             ;   in Loop: Header=BB158_3 Depth=1
	s_wait_alu 0xfffe
	s_and_not1_b32 vcc_lo, exec_lo, s45
	s_wait_alu 0xfffe
	s_cbranch_vccnz .LBB158_22
; %bb.17:                               ;   in Loop: Header=BB158_3 Depth=1
	s_and_saveexec_b32 s45, s0
	s_cbranch_execz .LBB158_21
; %bb.18:                               ;   in Loop: Header=BB158_3 Depth=1
	v_mov_b32_e32 v3, 0
	v_mov_b32_e32 v4, 0
	s_and_saveexec_b32 s51, s1
	s_cbranch_execz .LBB158_20
; %bb.19:                               ;   in Loop: Header=BB158_3 Depth=1
	v_add_co_u32 v3, vcc_lo, v5, v13
	s_wait_alu 0xfffd
	v_add_co_ci_u32_e64 v4, null, v6, v14, vcc_lo
	flat_load_b64 v[3:4], v[3:4]
.LBB158_20:                             ;   in Loop: Header=BB158_3 Depth=1
	s_or_b32 exec_lo, exec_lo, s51
	s_wait_loadcnt_dscnt 0x0
	ds_store_b64 v47, v[3:4]
.LBB158_21:                             ;   in Loop: Header=BB158_3 Depth=1
	s_wait_alu 0xfffe
	s_or_b32 exec_lo, exec_lo, s45
	s_mov_b32 s54, s5
	s_mov_b32 s55, s5
	s_wait_alu 0xfffe
	v_dual_mov_b32 v3, s54 :: v_dual_mov_b32 v4, s55
	s_mov_b32 s51, s20
	ds_store_2addr_b64 v48, v[3:4], v[3:4] offset1:16
	ds_store_2addr_b64 v49, v[3:4], v[3:4] offset1:16
.LBB158_22:                             ;   in Loop: Header=BB158_3 Depth=1
	v_add_co_u32 v1, vcc_lo, v1, s10
	s_wait_alu 0xfffd
	v_add_co_ci_u32_e64 v2, null, s11, v2, vcc_lo
	s_mul_i32 s44, s47, s44
	v_add_co_u32 v4, vcc_lo, v1, s38
	s_wait_alu 0xfffe
	s_ashr_i32 s45, s44, 31
	s_wait_alu 0xfffd
	v_add_co_ci_u32_e64 v5, null, s39, v2, vcc_lo
	v_mov_b32_e32 v3, v0
	s_wait_alu 0xfffe
	s_lshl_b64 s[54:55], s[44:45], 3
	v_dual_mov_b32 v1, v0 :: v_dual_mov_b32 v2, v0
	s_wait_alu 0xfffe
	v_add_co_u32 v69, vcc_lo, v4, s54
	s_wait_alu 0xfffd
	v_add_co_ci_u32_e64 v70, null, s55, v5, vcc_lo
	v_dual_mov_b32 v8, v3 :: v_dual_mov_b32 v7, v2
	v_dual_mov_b32 v6, v1 :: v_dual_mov_b32 v5, v0
	s_wait_dscnt 0x0
	s_barrier_signal -1
	s_barrier_wait -1
	global_inv scope:SCOPE_SE
	s_and_saveexec_b32 s53, s51
	s_cbranch_execz .LBB158_24
; %bb.23:                               ;   in Loop: Header=BB158_3 Depth=1
	v_add_co_u32 v1, vcc_lo, v69, v15
	s_wait_alu 0xfffd
	v_add_co_ci_u32_e64 v2, null, v70, v16, vcc_lo
	s_lshl_b64 s[54:55], s[26:27], 3
	s_wait_alu 0xfffe
	v_add_co_u32 v3, vcc_lo, v1, s54
	s_wait_alu 0xfffd
	v_add_co_ci_u32_e64 v4, null, s55, v2, vcc_lo
	s_clause 0x1
	flat_load_b64 v[5:6], v[1:2]
	flat_load_b64 v[7:8], v[3:4]
.LBB158_24:                             ;   in Loop: Header=BB158_3 Depth=1
	s_wait_alu 0xfffe
	s_or_b32 exec_lo, exec_lo, s53
	s_cmp_lt_i32 s52, 1
	s_add_nc_u64 s[42:43], s[42:43], s[16:17]
	s_cbranch_scc1 .LBB158_37
; %bb.25:                               ;   in Loop: Header=BB158_3 Depth=1
	s_mul_u64 s[54:55], s[24:25], s[44:45]
	s_mul_u64 s[44:45], s[18:19], s[44:45]
	s_wait_alu 0xfffe
	s_lshl_b64 s[54:55], s[54:55], 3
	v_mov_b32_e32 v29, 0
	s_wait_alu 0xfffe
	v_add_co_u32 v71, vcc_lo, v9, s54
	s_wait_alu 0xfffd
	v_add_co_ci_u32_e64 v72, null, s55, v10, vcc_lo
	v_mov_b32_e32 v30, 0
	s_delay_alu instid0(VALU_DEP_3) | instskip(SKIP_1) | instid1(VALU_DEP_3)
	v_add_co_u32 v1, vcc_lo, v71, v17
	s_wait_alu 0xfffd
	v_add_co_ci_u32_e64 v2, null, v72, v18, vcc_lo
	s_lshl_b64 s[44:45], s[44:45], 3
	s_cmp_eq_u32 s52, 1
	s_wait_alu 0xfffe
	s_add_nc_u64 s[44:45], s[42:43], s[44:45]
	flat_load_b64 v[37:38], v[1:2]
	s_cbranch_scc1 .LBB158_38
; %bb.26:                               ;   in Loop: Header=BB158_3 Depth=1
	v_mov_b32_e32 v25, 0
	v_dual_mov_b32 v31, 0 :: v_dual_mov_b32 v26, 0
	v_dual_mov_b32 v27, 0 :: v_dual_mov_b32 v32, 0
	v_dual_mov_b32 v29, 0 :: v_dual_mov_b32 v28, 0
	s_wait_alu 0xfffe
	v_dual_mov_b32 v30, 0 :: v_dual_mov_b32 v33, s44
	v_mov_b32_e32 v34, s45
	s_add_co_i32 s44, s52, -2
	s_mov_b32 s45, 0
.LBB158_27:                             ;   Parent Loop BB158_3 Depth=1
                                        ; =>  This Loop Header: Depth=2
                                        ;       Child Loop BB158_33 Depth 3
	v_add_co_u32 v1, vcc_lo, v71, v19
	s_wait_alu 0xfffd
	v_add_co_ci_u32_e64 v2, null, v72, v20, vcc_lo
	flat_load_b64 v[39:40], v[1:2]
	s_and_saveexec_b32 s52, s51
	s_cbranch_execz .LBB158_29
; %bb.28:                               ;   in Loop: Header=BB158_27 Depth=2
	v_add_co_u32 v1, vcc_lo, v69, v15
	s_wait_alu 0xfffd
	v_add_co_ci_u32_e64 v2, null, v70, v16, vcc_lo
	s_lshl_b64 s[54:55], s[26:27], 3
	s_wait_alu 0xfffe
	v_add_co_u32 v3, vcc_lo, v1, s54
	s_wait_alu 0xfffd
	v_add_co_ci_u32_e64 v4, null, s55, v2, vcc_lo
	s_clause 0x1
	flat_load_b64 v[31:32], v[1:2] offset:128
	flat_load_b64 v[29:30], v[3:4] offset:128
.LBB158_29:                             ;   in Loop: Header=BB158_27 Depth=2
	s_wait_alu 0xfffe
	s_or_b32 exec_lo, exec_lo, s52
	ds_load_b128 v[9:12], v50
	s_wait_loadcnt_dscnt 0x203
	v_dual_mov_b32 v1, v5 :: v_dual_mov_b32 v2, v6
	v_dual_mov_b32 v3, v7 :: v_dual_mov_b32 v4, v8
	s_and_saveexec_b32 s52, s51
	s_cbranch_execz .LBB158_31
; %bb.30:                               ;   in Loop: Header=BB158_27 Depth=2
	v_add_co_u32 v1, vcc_lo, v69, v15
	s_wait_alu 0xfffd
	v_add_co_ci_u32_e64 v2, null, v70, v16, vcc_lo
	s_lshl_b64 s[54:55], s[26:27], 3
	s_wait_alu 0xfffe
	v_add_co_u32 v3, vcc_lo, v1, s54
	s_wait_alu 0xfffd
	v_add_co_ci_u32_e64 v4, null, s55, v2, vcc_lo
	s_clause 0x1
	flat_load_b64 v[1:2], v[1:2] offset:256
	flat_load_b64 v[3:4], v[3:4] offset:256
.LBB158_31:                             ;   in Loop: Header=BB158_27 Depth=2
	s_wait_alu 0xfffe
	s_or_b32 exec_lo, exec_lo, s52
	v_add_co_u32 v71, vcc_lo, v71, s30
	s_wait_alu 0xfffd
	v_add_co_ci_u32_e64 v72, null, s31, v72, vcc_lo
	s_wait_dscnt 0x0
	v_fma_f64 v[41:42], v[5:6], v[9:10], 0
	v_add_co_u32 v35, vcc_lo, v71, v17
	s_wait_alu 0xfffd
	v_add_co_ci_u32_e64 v36, null, v72, v18, vcc_lo
	s_wait_loadcnt 0x1
	v_fma_f64 v[9:10], v[31:32], v[9:10], 0
	flat_load_b64 v[35:36], v[35:36]
	s_wait_loadcnt_dscnt 0x0
	s_barrier_signal -1
	s_barrier_wait -1
	global_inv scope:SCOPE_SE
	v_fma_f64 v[41:42], v[7:8], v[11:12], v[41:42]
	v_fma_f64 v[9:10], v[29:30], v[11:12], v[9:10]
	ds_store_2addr_b64 v67, v[41:42], v[9:10] offset1:16
	s_wait_loadcnt_dscnt 0x0
	s_barrier_signal -1
	s_barrier_wait -1
	global_inv scope:SCOPE_SE
	s_and_saveexec_b32 s52, s0
	s_cbranch_execz .LBB158_35
; %bb.32:                               ;   in Loop: Header=BB158_27 Depth=2
	ds_load_2addr_b64 v[9:12], v46 offset1:32
	ds_load_2addr_b64 v[73:76], v68 offset0:64 offset1:96
	s_mov_b32 s53, 0
	s_wait_dscnt 0x1
	v_add_f64_e32 v[9:10], 0, v[9:10]
	s_delay_alu instid0(VALU_DEP_1) | instskip(SKIP_3) | instid1(VALU_DEP_1)
	v_add_f64_e32 v[41:42], v[9:10], v[11:12]
	ds_load_2addr_b64 v[9:12], v46 offset0:64 offset1:96
	s_wait_dscnt 0x0
	v_add_f64_e32 v[9:10], v[41:42], v[9:10]
	v_add_f64_e32 v[41:42], v[9:10], v[11:12]
	ds_load_2addr_b64 v[9:12], v46 offset0:128 offset1:160
	s_wait_dscnt 0x0
	v_add_f64_e32 v[9:10], v[41:42], v[9:10]
	s_delay_alu instid0(VALU_DEP_1)
	v_add_f64_e32 v[41:42], v[9:10], v[11:12]
	ds_load_2addr_b64 v[9:12], v46 offset0:192 offset1:224
	s_wait_dscnt 0x0
	v_add_f64_e32 v[9:10], v[41:42], v[9:10]
	ds_load_2addr_b64 v[41:44], v68 offset1:32
	v_add_f64_e32 v[9:10], v[9:10], v[11:12]
	s_wait_dscnt 0x0
	s_delay_alu instid0(VALU_DEP_1)
	v_add_f64_e32 v[9:10], v[9:10], v[41:42]
	v_add_co_u32 v41, vcc_lo, v33, v21
	s_wait_alu 0xfffd
	v_add_co_ci_u32_e64 v42, null, v34, v22, vcc_lo
	flat_load_b64 v[11:12], v[41:42]
	v_add_f64_e32 v[9:10], v[9:10], v[43:44]
	s_delay_alu instid0(VALU_DEP_1) | instskip(NEXT) | instid1(VALU_DEP_1)
	v_add_f64_e32 v[9:10], v[9:10], v[73:74]
	v_add_f64_e32 v[9:10], v[9:10], v[75:76]
	ds_load_2addr_b64 v[73:76], v68 offset0:128 offset1:160
	s_wait_dscnt 0x0
	v_add_f64_e32 v[9:10], v[9:10], v[73:74]
	s_delay_alu instid0(VALU_DEP_1) | instskip(SKIP_3) | instid1(VALU_DEP_1)
	v_add_f64_e32 v[9:10], v[9:10], v[75:76]
	ds_load_2addr_b64 v[73:76], v68 offset0:192 offset1:224
	s_wait_dscnt 0x0
	v_add_f64_e32 v[9:10], v[9:10], v[73:74]
	v_add_f64_e32 v[9:10], v[9:10], v[75:76]
	s_delay_alu instid0(VALU_DEP_1)
	v_mul_f64_e32 v[43:44], v[23:24], v[9:10]
.LBB158_33:                             ;   Parent Loop BB158_3 Depth=1
                                        ;     Parent Loop BB158_27 Depth=2
                                        ; =>    This Inner Loop Header: Depth=3
	s_wait_loadcnt 0x0
	s_delay_alu instid0(VALU_DEP_1)
	v_add_f64_e32 v[9:10], v[11:12], v[43:44]
	flat_atomic_cmpswap_b64 v[9:10], v[41:42], v[9:12] th:TH_ATOMIC_RETURN scope:SCOPE_DEV
	s_wait_loadcnt_dscnt 0x0
	v_cmp_eq_u64_e32 vcc_lo, v[9:10], v[11:12]
	v_dual_mov_b32 v12, v10 :: v_dual_mov_b32 v11, v9
	s_wait_alu 0xfffe
	s_or_b32 s53, vcc_lo, s53
	s_wait_alu 0xfffe
	s_and_not1_b32 exec_lo, exec_lo, s53
	s_cbranch_execnz .LBB158_33
; %bb.34:                               ;   in Loop: Header=BB158_27 Depth=2
	s_or_b32 exec_lo, exec_lo, s53
	v_add_co_u32 v33, vcc_lo, v33, s34
	s_wait_alu 0xfffd
	v_add_co_ci_u32_e64 v34, null, s35, v34, vcc_lo
.LBB158_35:                             ;   in Loop: Header=BB158_27 Depth=2
	s_wait_alu 0xfffe
	s_or_b32 exec_lo, exec_lo, s52
	v_fma_f64 v[5:6], v[37:38], v[5:6], v[25:26]
	v_fma_f64 v[7:8], v[37:38], v[7:8], v[27:28]
	v_add_co_u32 v69, vcc_lo, 0x100, v69
	s_wait_alu 0xfffd
	v_add_co_ci_u32_e64 v70, null, 0, v70, vcc_lo
	s_add_co_i32 s52, s45, 1
	s_cmp_eq_u32 s45, s44
	v_fma_f64 v[25:26], v[39:40], v[31:32], v[5:6]
	v_fma_f64 v[27:28], v[39:40], v[29:30], v[7:8]
	s_cbranch_scc1 .LBB158_39
; %bb.36:                               ;   in Loop: Header=BB158_27 Depth=2
	v_dual_mov_b32 v8, v4 :: v_dual_mov_b32 v7, v3
	v_dual_mov_b32 v38, v36 :: v_dual_mov_b32 v37, v35
	;; [unrolled: 1-line block ×3, first 2 shown]
	s_wait_alu 0xfffe
	s_mov_b32 s45, s52
	s_branch .LBB158_27
.LBB158_37:                             ;   in Loop: Header=BB158_3 Depth=1
	v_mov_b32_e32 v1, 0
	v_dual_mov_b32 v2, 0 :: v_dual_mov_b32 v3, 0
	v_mov_b32_e32 v4, 0
	s_branch .LBB158_45
.LBB158_38:                             ;   in Loop: Header=BB158_3 Depth=1
	v_mov_b32_e32 v31, 0
	v_dual_mov_b32 v25, 0 :: v_dual_mov_b32 v32, 0
	v_dual_mov_b32 v27, 0 :: v_dual_mov_b32 v26, 0
	s_wait_loadcnt_dscnt 0x101
	v_mov_b32_e32 v1, v5
	s_wait_alu 0xfffe
	v_dual_mov_b32 v33, s44 :: v_dual_mov_b32 v34, s45
	v_mov_b32_e32 v28, 0
	v_dual_mov_b32 v2, v6 :: v_dual_mov_b32 v3, v7
	s_wait_loadcnt_dscnt 0x0
	v_dual_mov_b32 v4, v8 :: v_dual_mov_b32 v35, v37
	v_mov_b32_e32 v36, v38
.LBB158_39:                             ;   in Loop: Header=BB158_3 Depth=1
	v_add_co_u32 v5, vcc_lo, v71, v19
	s_wait_alu 0xfffd
	v_add_co_ci_u32_e64 v6, null, v72, v20, vcc_lo
	flat_load_b64 v[9:10], v[5:6]
	s_and_saveexec_b32 s44, s51
	s_cbranch_execz .LBB158_41
; %bb.40:                               ;   in Loop: Header=BB158_3 Depth=1
	v_add_co_u32 v5, vcc_lo, v69, v15
	s_wait_alu 0xfffd
	v_add_co_ci_u32_e64 v6, null, v70, v16, vcc_lo
	s_lshl_b64 s[52:53], s[26:27], 3
	s_wait_alu 0xfffe
	v_add_co_u32 v7, vcc_lo, v5, s52
	s_wait_alu 0xfffd
	v_add_co_ci_u32_e64 v8, null, s53, v6, vcc_lo
	s_clause 0x1
	flat_load_b64 v[31:32], v[5:6] offset:128
	flat_load_b64 v[29:30], v[7:8] offset:128
.LBB158_41:                             ;   in Loop: Header=BB158_3 Depth=1
	s_wait_alu 0xfffe
	s_or_b32 exec_lo, exec_lo, s44
	ds_load_b128 v[5:8], v50
	s_wait_loadcnt_dscnt 0x0
	s_barrier_signal -1
	s_barrier_wait -1
	global_inv scope:SCOPE_SE
	v_fma_f64 v[11:12], v[1:2], v[5:6], 0
	v_fma_f64 v[5:6], v[31:32], v[5:6], 0
	s_delay_alu instid0(VALU_DEP_2) | instskip(NEXT) | instid1(VALU_DEP_2)
	v_fma_f64 v[11:12], v[3:4], v[7:8], v[11:12]
	v_fma_f64 v[5:6], v[29:30], v[7:8], v[5:6]
	ds_store_2addr_b64 v67, v[11:12], v[5:6] offset1:16
	s_wait_loadcnt_dscnt 0x0
	s_barrier_signal -1
	s_barrier_wait -1
	global_inv scope:SCOPE_SE
	s_and_saveexec_b32 s44, s0
	s_cbranch_execz .LBB158_44
; %bb.42:                               ;   in Loop: Header=BB158_3 Depth=1
	ds_load_2addr_b64 v[5:8], v46 offset1:32
	ds_load_2addr_b64 v[37:40], v68 offset1:32
	s_mov_b32 s45, 0
	s_wait_dscnt 0x1
	v_add_f64_e32 v[5:6], 0, v[5:6]
	s_delay_alu instid0(VALU_DEP_1) | instskip(SKIP_3) | instid1(VALU_DEP_1)
	v_add_f64_e32 v[11:12], v[5:6], v[7:8]
	ds_load_2addr_b64 v[5:8], v46 offset0:64 offset1:96
	s_wait_dscnt 0x0
	v_add_f64_e32 v[5:6], v[11:12], v[5:6]
	v_add_f64_e32 v[11:12], v[5:6], v[7:8]
	ds_load_2addr_b64 v[5:8], v46 offset0:128 offset1:160
	s_wait_dscnt 0x0
	v_add_f64_e32 v[5:6], v[11:12], v[5:6]
	s_delay_alu instid0(VALU_DEP_1)
	v_add_f64_e32 v[11:12], v[5:6], v[7:8]
	ds_load_2addr_b64 v[5:8], v46 offset0:192 offset1:224
	s_wait_dscnt 0x0
	v_add_f64_e32 v[5:6], v[11:12], v[5:6]
	v_add_co_u32 v11, vcc_lo, v33, v21
	s_wait_alu 0xfffd
	v_add_co_ci_u32_e64 v12, null, v34, v22, vcc_lo
	s_delay_alu instid0(VALU_DEP_3) | instskip(SKIP_2) | instid1(VALU_DEP_1)
	v_add_f64_e32 v[5:6], v[5:6], v[7:8]
	flat_load_b64 v[7:8], v[11:12]
	v_add_f64_e32 v[5:6], v[5:6], v[37:38]
	v_add_f64_e32 v[5:6], v[5:6], v[39:40]
	ds_load_2addr_b64 v[37:40], v68 offset0:64 offset1:96
	s_wait_dscnt 0x0
	v_add_f64_e32 v[5:6], v[5:6], v[37:38]
	s_delay_alu instid0(VALU_DEP_1) | instskip(SKIP_3) | instid1(VALU_DEP_1)
	v_add_f64_e32 v[5:6], v[5:6], v[39:40]
	ds_load_2addr_b64 v[37:40], v68 offset0:128 offset1:160
	s_wait_dscnt 0x0
	v_add_f64_e32 v[5:6], v[5:6], v[37:38]
	v_add_f64_e32 v[5:6], v[5:6], v[39:40]
	ds_load_2addr_b64 v[37:40], v68 offset0:192 offset1:224
	s_wait_dscnt 0x0
	v_add_f64_e32 v[5:6], v[5:6], v[37:38]
	s_delay_alu instid0(VALU_DEP_1) | instskip(NEXT) | instid1(VALU_DEP_1)
	v_add_f64_e32 v[5:6], v[5:6], v[39:40]
	v_mul_f64_e32 v[33:34], v[23:24], v[5:6]
.LBB158_43:                             ;   Parent Loop BB158_3 Depth=1
                                        ; =>  This Inner Loop Header: Depth=2
	s_wait_loadcnt 0x0
	s_delay_alu instid0(VALU_DEP_1)
	v_add_f64_e32 v[5:6], v[7:8], v[33:34]
	flat_atomic_cmpswap_b64 v[5:6], v[11:12], v[5:8] th:TH_ATOMIC_RETURN scope:SCOPE_DEV
	s_wait_loadcnt_dscnt 0x0
	v_cmp_eq_u64_e32 vcc_lo, v[5:6], v[7:8]
	v_dual_mov_b32 v8, v6 :: v_dual_mov_b32 v7, v5
	s_wait_alu 0xfffe
	s_or_b32 s45, vcc_lo, s45
	s_wait_alu 0xfffe
	s_and_not1_b32 exec_lo, exec_lo, s45
	s_cbranch_execnz .LBB158_43
.LBB158_44:                             ;   in Loop: Header=BB158_3 Depth=1
	s_wait_alu 0xfffe
	s_or_b32 exec_lo, exec_lo, s44
	v_fma_f64 v[1:2], v[35:36], v[1:2], v[25:26]
	v_fma_f64 v[5:6], v[35:36], v[3:4], v[27:28]
	s_delay_alu instid0(VALU_DEP_2) | instskip(NEXT) | instid1(VALU_DEP_2)
	v_fma_f64 v[3:4], v[9:10], v[31:32], v[1:2]
	v_fma_f64 v[1:2], v[9:10], v[29:30], v[5:6]
.LBB158_45:                             ;   in Loop: Header=BB158_3 Depth=1
	s_cmp_lt_u32 s22, s50
	ds_store_2addr_b64 v49, v[3:4], v[1:2] offset1:16
	s_cselect_b32 s44, -1, 0
	s_wait_loadcnt_dscnt 0x0
	s_wait_alu 0xfffe
	s_or_b32 s44, s1, s44
	s_barrier_signal -1
	s_wait_alu 0xfffe
	s_and_b32 s44, s0, s44
	s_barrier_wait -1
	global_inv scope:SCOPE_SE
	s_wait_alu 0xfffe
	s_and_b32 exec_lo, exec_lo, s44
	s_cbranch_execz .LBB158_2
; %bb.46:                               ;   in Loop: Header=BB158_3 Depth=1
	ds_load_b64 v[1:2], v51
	ds_load_b64 v[3:4], v52
	;; [unrolled: 1-line block ×4, first 2 shown]
	s_add_nc_u64 s[42:43], s[42:43], s[40:41]
	s_wait_dscnt 0x3
	v_add_f64_e32 v[1:2], 0, v[1:2]
	s_wait_dscnt 0x2
	s_delay_alu instid0(VALU_DEP_1) | instskip(SKIP_1) | instid1(VALU_DEP_1)
	v_add_f64_e32 v[1:2], v[1:2], v[3:4]
	s_wait_dscnt 0x1
	v_add_f64_e32 v[1:2], v[1:2], v[5:6]
	s_wait_dscnt 0x0
	s_delay_alu instid0(VALU_DEP_1)
	v_add_f64_e32 v[1:2], v[1:2], v[7:8]
	ds_load_b64 v[3:4], v55
	ds_load_b64 v[5:6], v56
	;; [unrolled: 1-line block ×4, first 2 shown]
	s_wait_dscnt 0x3
	v_add_f64_e32 v[1:2], v[1:2], v[3:4]
	s_wait_dscnt 0x2
	s_delay_alu instid0(VALU_DEP_1)
	v_add_f64_e32 v[1:2], v[1:2], v[5:6]
	s_wait_alu 0xfffe
	v_add_co_u32 v5, vcc_lo, s42, v21
	s_wait_alu 0xfffd
	v_add_co_ci_u32_e64 v6, null, s43, v22, vcc_lo
	s_mov_b32 s42, 0
	s_wait_dscnt 0x1
	v_add_f64_e32 v[1:2], v[1:2], v[7:8]
	s_wait_dscnt 0x0
	s_delay_alu instid0(VALU_DEP_1)
	v_add_f64_e32 v[1:2], v[1:2], v[9:10]
	ds_load_b64 v[3:4], v59
	ds_load_b64 v[7:8], v60
	;; [unrolled: 1-line block ×4, first 2 shown]
	s_wait_dscnt 0x3
	v_add_f64_e32 v[1:2], v[1:2], v[3:4]
	flat_load_b64 v[3:4], v[5:6]
	s_wait_dscnt 0x3
	v_add_f64_e32 v[1:2], v[1:2], v[7:8]
	s_wait_dscnt 0x2
	s_delay_alu instid0(VALU_DEP_1) | instskip(SKIP_1) | instid1(VALU_DEP_1)
	v_add_f64_e32 v[1:2], v[1:2], v[9:10]
	s_wait_dscnt 0x1
	v_add_f64_e32 v[1:2], v[1:2], v[11:12]
	ds_load_b64 v[7:8], v63
	ds_load_b64 v[9:10], v64
	;; [unrolled: 1-line block ×4, first 2 shown]
	s_wait_dscnt 0x3
	v_add_f64_e32 v[1:2], v[1:2], v[7:8]
	s_wait_dscnt 0x2
	s_delay_alu instid0(VALU_DEP_1) | instskip(SKIP_1) | instid1(VALU_DEP_1)
	v_add_f64_e32 v[1:2], v[1:2], v[9:10]
	s_wait_dscnt 0x1
	v_add_f64_e32 v[1:2], v[1:2], v[11:12]
	s_wait_dscnt 0x0
	s_delay_alu instid0(VALU_DEP_1) | instskip(NEXT) | instid1(VALU_DEP_1)
	v_add_f64_e32 v[1:2], v[1:2], v[25:26]
	v_mul_f64_e32 v[7:8], v[23:24], v[1:2]
.LBB158_47:                             ;   Parent Loop BB158_3 Depth=1
                                        ; =>  This Inner Loop Header: Depth=2
	s_wait_loadcnt 0x0
	s_delay_alu instid0(VALU_DEP_1)
	v_add_f64_e32 v[1:2], v[3:4], v[7:8]
	flat_atomic_cmpswap_b64 v[1:2], v[5:6], v[1:4] th:TH_ATOMIC_RETURN scope:SCOPE_DEV
	s_wait_loadcnt_dscnt 0x0
	v_cmp_eq_u64_e32 vcc_lo, v[1:2], v[3:4]
	v_dual_mov_b32 v4, v2 :: v_dual_mov_b32 v3, v1
	s_wait_alu 0xfffe
	s_or_b32 s42, vcc_lo, s42
	s_wait_alu 0xfffe
	s_and_not1_b32 exec_lo, exec_lo, s42
	s_cbranch_execnz .LBB158_47
	s_branch .LBB158_2
.LBB158_48:
	s_endpgm
	.section	.rodata,"a",@progbits
	.p2align	6, 0x0
	.amdhsa_kernel _ZL62rocblas_symv_kernel_upper_double_buffered_non_diagonal_genericILi32ELi8ELi2ELi0E24rocblas_internal_val_ptrIdEPKPKdPKPdEvbiT3_lT4_lllSA_lllT5_lllii
		.amdhsa_group_segment_fixed_size 10496
		.amdhsa_private_segment_fixed_size 0
		.amdhsa_kernarg_size 384
		.amdhsa_user_sgpr_count 4
		.amdhsa_user_sgpr_dispatch_ptr 1
		.amdhsa_user_sgpr_queue_ptr 0
		.amdhsa_user_sgpr_kernarg_segment_ptr 1
		.amdhsa_user_sgpr_dispatch_id 0
		.amdhsa_user_sgpr_private_segment_size 0
		.amdhsa_wavefront_size32 1
		.amdhsa_uses_dynamic_stack 0
		.amdhsa_enable_private_segment 0
		.amdhsa_system_sgpr_workgroup_id_x 1
		.amdhsa_system_sgpr_workgroup_id_y 1
		.amdhsa_system_sgpr_workgroup_id_z 1
		.amdhsa_system_sgpr_workgroup_info 0
		.amdhsa_system_vgpr_workitem_id 2
		.amdhsa_next_free_vgpr 77
		.amdhsa_next_free_sgpr 56
		.amdhsa_reserve_vcc 1
		.amdhsa_float_round_mode_32 0
		.amdhsa_float_round_mode_16_64 0
		.amdhsa_float_denorm_mode_32 3
		.amdhsa_float_denorm_mode_16_64 3
		.amdhsa_fp16_overflow 0
		.amdhsa_workgroup_processor_mode 1
		.amdhsa_memory_ordered 1
		.amdhsa_forward_progress 1
		.amdhsa_inst_pref_size 31
		.amdhsa_round_robin_scheduling 0
		.amdhsa_exception_fp_ieee_invalid_op 0
		.amdhsa_exception_fp_denorm_src 0
		.amdhsa_exception_fp_ieee_div_zero 0
		.amdhsa_exception_fp_ieee_overflow 0
		.amdhsa_exception_fp_ieee_underflow 0
		.amdhsa_exception_fp_ieee_inexact 0
		.amdhsa_exception_int_div_zero 0
	.end_amdhsa_kernel
	.section	.text._ZL62rocblas_symv_kernel_upper_double_buffered_non_diagonal_genericILi32ELi8ELi2ELi0E24rocblas_internal_val_ptrIdEPKPKdPKPdEvbiT3_lT4_lllSA_lllT5_lllii,"axG",@progbits,_ZL62rocblas_symv_kernel_upper_double_buffered_non_diagonal_genericILi32ELi8ELi2ELi0E24rocblas_internal_val_ptrIdEPKPKdPKPdEvbiT3_lT4_lllSA_lllT5_lllii,comdat
.Lfunc_end158:
	.size	_ZL62rocblas_symv_kernel_upper_double_buffered_non_diagonal_genericILi32ELi8ELi2ELi0E24rocblas_internal_val_ptrIdEPKPKdPKPdEvbiT3_lT4_lllSA_lllT5_lllii, .Lfunc_end158-_ZL62rocblas_symv_kernel_upper_double_buffered_non_diagonal_genericILi32ELi8ELi2ELi0E24rocblas_internal_val_ptrIdEPKPKdPKPdEvbiT3_lT4_lllSA_lllT5_lllii
                                        ; -- End function
	.set _ZL62rocblas_symv_kernel_upper_double_buffered_non_diagonal_genericILi32ELi8ELi2ELi0E24rocblas_internal_val_ptrIdEPKPKdPKPdEvbiT3_lT4_lllSA_lllT5_lllii.num_vgpr, 77
	.set _ZL62rocblas_symv_kernel_upper_double_buffered_non_diagonal_genericILi32ELi8ELi2ELi0E24rocblas_internal_val_ptrIdEPKPKdPKPdEvbiT3_lT4_lllSA_lllT5_lllii.num_agpr, 0
	.set _ZL62rocblas_symv_kernel_upper_double_buffered_non_diagonal_genericILi32ELi8ELi2ELi0E24rocblas_internal_val_ptrIdEPKPKdPKPdEvbiT3_lT4_lllSA_lllT5_lllii.numbered_sgpr, 56
	.set _ZL62rocblas_symv_kernel_upper_double_buffered_non_diagonal_genericILi32ELi8ELi2ELi0E24rocblas_internal_val_ptrIdEPKPKdPKPdEvbiT3_lT4_lllSA_lllT5_lllii.num_named_barrier, 0
	.set _ZL62rocblas_symv_kernel_upper_double_buffered_non_diagonal_genericILi32ELi8ELi2ELi0E24rocblas_internal_val_ptrIdEPKPKdPKPdEvbiT3_lT4_lllSA_lllT5_lllii.private_seg_size, 0
	.set _ZL62rocblas_symv_kernel_upper_double_buffered_non_diagonal_genericILi32ELi8ELi2ELi0E24rocblas_internal_val_ptrIdEPKPKdPKPdEvbiT3_lT4_lllSA_lllT5_lllii.uses_vcc, 1
	.set _ZL62rocblas_symv_kernel_upper_double_buffered_non_diagonal_genericILi32ELi8ELi2ELi0E24rocblas_internal_val_ptrIdEPKPKdPKPdEvbiT3_lT4_lllSA_lllT5_lllii.uses_flat_scratch, 1
	.set _ZL62rocblas_symv_kernel_upper_double_buffered_non_diagonal_genericILi32ELi8ELi2ELi0E24rocblas_internal_val_ptrIdEPKPKdPKPdEvbiT3_lT4_lllSA_lllT5_lllii.has_dyn_sized_stack, 0
	.set _ZL62rocblas_symv_kernel_upper_double_buffered_non_diagonal_genericILi32ELi8ELi2ELi0E24rocblas_internal_val_ptrIdEPKPKdPKPdEvbiT3_lT4_lllSA_lllT5_lllii.has_recursion, 0
	.set _ZL62rocblas_symv_kernel_upper_double_buffered_non_diagonal_genericILi32ELi8ELi2ELi0E24rocblas_internal_val_ptrIdEPKPKdPKPdEvbiT3_lT4_lllSA_lllT5_lllii.has_indirect_call, 0
	.section	.AMDGPU.csdata,"",@progbits
; Kernel info:
; codeLenInByte = 3848
; TotalNumSgprs: 58
; NumVgprs: 77
; ScratchSize: 0
; MemoryBound: 1
; FloatMode: 240
; IeeeMode: 1
; LDSByteSize: 10496 bytes/workgroup (compile time only)
; SGPRBlocks: 0
; VGPRBlocks: 9
; NumSGPRsForWavesPerEU: 58
; NumVGPRsForWavesPerEU: 77
; Occupancy: 16
; WaveLimiterHint : 1
; COMPUTE_PGM_RSRC2:SCRATCH_EN: 0
; COMPUTE_PGM_RSRC2:USER_SGPR: 4
; COMPUTE_PGM_RSRC2:TRAP_HANDLER: 0
; COMPUTE_PGM_RSRC2:TGID_X_EN: 1
; COMPUTE_PGM_RSRC2:TGID_Y_EN: 1
; COMPUTE_PGM_RSRC2:TGID_Z_EN: 1
; COMPUTE_PGM_RSRC2:TIDIG_COMP_CNT: 2
	.section	.text._ZL62rocblas_symv_kernel_upper_double_buffered_non_diagonal_genericILi32ELi8ELi2ELi1E24rocblas_internal_val_ptrIdEPKPKdPKPdEvbiT3_lT4_lllSA_lllT5_lllii,"axG",@progbits,_ZL62rocblas_symv_kernel_upper_double_buffered_non_diagonal_genericILi32ELi8ELi2ELi1E24rocblas_internal_val_ptrIdEPKPKdPKPdEvbiT3_lT4_lllSA_lllT5_lllii,comdat
	.globl	_ZL62rocblas_symv_kernel_upper_double_buffered_non_diagonal_genericILi32ELi8ELi2ELi1E24rocblas_internal_val_ptrIdEPKPKdPKPdEvbiT3_lT4_lllSA_lllT5_lllii ; -- Begin function _ZL62rocblas_symv_kernel_upper_double_buffered_non_diagonal_genericILi32ELi8ELi2ELi1E24rocblas_internal_val_ptrIdEPKPKdPKPdEvbiT3_lT4_lllSA_lllT5_lllii
	.p2align	8
	.type	_ZL62rocblas_symv_kernel_upper_double_buffered_non_diagonal_genericILi32ELi8ELi2ELi1E24rocblas_internal_val_ptrIdEPKPKdPKPdEvbiT3_lT4_lllSA_lllT5_lllii,@function
_ZL62rocblas_symv_kernel_upper_double_buffered_non_diagonal_genericILi32ELi8ELi2ELi1E24rocblas_internal_val_ptrIdEPKPKdPKPdEvbiT3_lT4_lllSA_lllT5_lllii: ; @_ZL62rocblas_symv_kernel_upper_double_buffered_non_diagonal_genericILi32ELi8ELi2ELi1E24rocblas_internal_val_ptrIdEPKPKdPKPdEvbiT3_lT4_lllSA_lllT5_lllii
; %bb.0:
	s_load_b64 s[0:1], s[0:1], 0x4
	s_load_b256 s[4:11], s[2:3], 0x8
	v_and_b32_e32 v1, 0x3ff, v0
	s_load_b64 s[20:21], s[2:3], 0x78
	v_bfe_u32 v2, v0, 10, 10
	v_bfe_u32 v0, v0, 20, 10
	s_wait_kmcnt 0x0
	s_lshr_b32 s0, s0, 16
	v_mov_b32_e32 v4, s5
	s_mul_i32 s0, s0, s1
	s_delay_alu instid0(SALU_CYCLE_1) | instskip(NEXT) | instid1(VALU_DEP_1)
	v_mul_lo_u32 v3, s0, v1
	v_mad_u32_u24 v5, v2, s1, v3
	v_mov_b32_e32 v3, s4
	s_lshr_b32 s4, ttmp7, 16
	s_wait_alu 0xfffe
	s_cmp_ge_u32 s4, s21
	v_add_lshl_u32 v0, v5, v0, 3
	ds_store_b64 v0, v[3:4] offset:8448
	s_cbranch_scc1 .LBB159_80
; %bb.1:
	s_clause 0x3
	s_load_b64 s[24:25], s[2:3], 0x48
	s_load_b32 s23, s[2:3], 0x0
	s_load_b64 s[26:27], s[2:3], 0x28
	s_load_b128 s[12:15], s[2:3], 0x38
	v_lshl_add_u32 v19, v2, 5, v1
	s_clause 0x1
	s_load_b64 s[28:29], s[2:3], 0x58
	s_load_b128 s[16:19], s[2:3], 0x60
	v_dual_mov_b32 v0, 0 :: v_dual_add_nc_u32 v47, 0x2100, v0
	v_and_b32_e32 v3, 15, v1
	v_lshrrev_b32_e32 v20, 4, v19
	v_cmp_eq_u32_e64 s0, 0, v2
	s_add_nc_u64 s[30:31], s[2:3], 0x80
	v_mov_b32_e32 v4, v0
	v_or_b32_e32 v18, 16, v3
	v_lshlrev_b32_e32 v50, 3, v3
	v_lshlrev_b32_e32 v48, 3, v1
	v_cmp_gt_i32_e64 s1, s20, v1
	s_mov_b32 s5, 0
	s_mov_b32 s22, ttmp9
	v_or_b32_e32 v17, 0x1000, v50
	s_wait_kmcnt 0x0
	v_mad_co_u64_u32 v[5:6], null, s24, v1, 0
	v_lshlrev_b32_e32 v15, 1, v20
	v_mad_co_u64_u32 v[9:10], null, s24, v3, 0
	v_mad_co_u64_u32 v[13:14], null, s18, v1, 0
	;; [unrolled: 1-line block ×3, first 2 shown]
	v_mov_b32_e32 v2, v6
	s_bitcmp1_b32 s23, 0
	v_or_b32_e32 v49, 0x2000, v48
	s_cselect_b32 s3, -1, 0
	s_and_b32 s33, ttmp7, 0xffff
	v_mad_co_u64_u32 v[6:7], null, s25, v1, v[2:3]
	v_mad_co_u64_u32 v[7:8], null, s26, v15, v[3:4]
	v_lshlrev_b32_e32 v51, 8, v20
	s_lshl_b32 s2, ttmp9, 5
	s_xor_b32 s48, s3, -1
	s_ashr_i32 s3, s2, 31
	s_lshl_b32 s49, s33, 5
	s_cmp_lg_u32 ttmp9, 0
	s_delay_alu instid0(VALU_DEP_2) | instskip(SKIP_3) | instid1(VALU_DEP_2)
	v_mov_b32_e32 v2, v8
	v_dual_mov_b32 v4, v10 :: v_dual_add_nc_u32 v53, v17, v51
	s_cselect_b32 s50, -1, 0
	s_lshr_b32 s23, s20, 31
	v_mad_co_u64_u32 v[15:16], null, s27, v15, v[2:3]
	s_delay_alu instid0(VALU_DEP_2) | instskip(SKIP_4) | instid1(VALU_DEP_4)
	v_mad_co_u64_u32 v[16:17], null, s25, v3, v[4:5]
	v_mov_b32_e32 v4, v14
	v_mov_b32_e32 v2, v12
	s_add_co_i32 s20, s20, s23
	s_mul_u64 s[40:41], s[26:27], s[2:3]
	v_mov_b32_e32 v8, v15
	v_mad_co_u64_u32 v[14:15], null, s19, v1, v[4:5]
	v_add_nc_u32_e32 v15, 2, v1
	v_mad_co_u64_u32 v[17:18], null, s25, v18, v[2:3]
	v_and_b32_e32 v2, 0xfff0, v19
	v_add_nc_u32_e32 v4, 1, v1
	v_add_nc_u32_e32 v18, 5, v1
	v_and_b32_e32 v15, 15, v15
	v_xor_b32_e32 v3, 8, v3
	v_add_nc_u32_e32 v54, 0x2000, v2
	v_dual_mov_b32 v12, v17 :: v_dual_add_nc_u32 v17, 4, v1
	v_mov_b32_e32 v10, v16
	v_add_nc_u32_e32 v16, 3, v1
	v_lshl_add_u32 v2, v1, 7, 0x1000
	v_and_b32_e32 v4, 15, v4
	v_and_b32_e32 v17, 15, v17
	s_mul_u64 s[38:39], s[24:25], s[2:3]
	v_and_b32_e32 v16, 15, v16
	v_lshl_or_b32 v57, v15, 3, v2
	v_lshl_or_b32 v56, v4, 3, v2
	v_and_b32_e32 v4, 15, v18
	v_add_nc_u32_e32 v15, 6, v1
	v_lshl_or_b32 v58, v16, 3, v2
	v_add_nc_u32_e32 v16, 7, v1
	v_lshl_or_b32 v59, v17, 3, v2
	v_lshl_or_b32 v60, v4, 3, v2
	v_add_nc_u32_e32 v4, 9, v1
	v_and_b32_e32 v15, 15, v15
	v_and_b32_e32 v16, 15, v16
	v_add_nc_u32_e32 v17, 10, v1
	v_lshl_or_b32 v63, v3, 3, v2
	v_and_b32_e32 v4, 15, v4
	v_lshl_or_b32 v61, v15, 3, v2
	v_lshl_or_b32 v62, v16, 3, v2
	v_add_nc_u32_e32 v15, 13, v1
	v_add_nc_u32_e32 v16, 14, v1
	v_lshl_or_b32 v64, v4, 3, v2
	v_add_nc_u32_e32 v3, 11, v1
	v_add_nc_u32_e32 v4, 12, v1
	v_add_nc_u32_e32 v1, -1, v1
	v_and_b32_e32 v17, 15, v17
	v_and_b32_e32 v15, 15, v15
	;; [unrolled: 1-line block ×6, first 2 shown]
	s_mul_u64 s[42:43], s[18:19], s[2:3]
	s_wait_alu 0xfffe
	s_ashr_i32 s3, s20, 1
	v_lshl_or_b32 v65, v17, 3, v2
	v_cmp_le_i32_e64 s2, s3, v20
	v_cmp_eq_u32_e64 s3, s3, v20
	v_lshl_or_b32 v68, v15, 3, v2
	v_lshl_or_b32 v69, v16, 3, v2
	v_lshlrev_b64_e32 v[15:16], 3, v[5:6]
	v_lshlrev_b64_e32 v[17:18], 3, v[7:8]
	v_lshlrev_b64_e32 v[19:20], 3, v[9:10]
	v_lshlrev_b64_e32 v[21:22], 3, v[11:12]
	v_or_b32_e32 v52, v50, v51
	v_or_b32_e32 v55, v2, v50
	v_lshl_or_b32 v66, v3, 3, v2
	v_lshl_or_b32 v67, v4, 3, v2
	;; [unrolled: 1-line block ×3, first 2 shown]
	s_lshl_b64 s[34:35], s[24:25], 8
	s_lshl_b64 s[36:37], s[18:19], 8
	s_mov_b32 s23, s5
	s_lshl_b64 s[14:15], s[14:15], 3
	s_lshl_b64 s[38:39], s[38:39], 3
	;; [unrolled: 1-line block ×6, first 2 shown]
	s_branch .LBB159_3
.LBB159_2:                              ;   in Loop: Header=BB159_3 Depth=1
	s_wait_alu 0xfffe
	s_or_b32 exec_lo, exec_lo, s20
	s_add_co_i32 s4, s4, 0x10000
	s_wait_alu 0xfffe
	s_cmp_lt_u32 s4, s21
	s_cbranch_scc0 .LBB159_80
.LBB159_3:                              ; =>This Loop Header: Depth=1
                                        ;     Child Loop BB159_27 Depth 2
                                        ;       Child Loop BB159_49 Depth 3
                                        ;     Child Loop BB159_75 Depth 2
                                        ;     Child Loop BB159_79 Depth 2
	s_and_b32 vcc_lo, exec_lo, s48
	s_mov_b32 s20, -1
                                        ; implicit-def: $vgpr23_vgpr24
	s_wait_alu 0xfffe
	s_cbranch_vccz .LBB159_5
; %bb.4:                                ;   in Loop: Header=BB159_3 Depth=1
	s_wait_loadcnt 0x1
	ds_load_b64 v[1:2], v47
	s_mul_u64 s[44:45], s[6:7], s[4:5]
	s_mov_b32 s20, 0
	s_wait_alu 0xfffe
	s_lshl_b64 s[44:45], s[44:45], 3
	s_wait_dscnt 0x0
	s_wait_alu 0xfffe
	v_add_co_u32 v1, vcc_lo, v1, s44
	s_wait_alu 0xfffd
	v_add_co_ci_u32_e64 v2, null, s45, v2, vcc_lo
	flat_load_b64 v[23:24], v[1:2]
.LBB159_5:                              ;   in Loop: Header=BB159_3 Depth=1
	s_wait_alu 0xfffe
	s_and_not1_b32 vcc_lo, exec_lo, s20
	s_wait_alu 0xfffe
	s_cbranch_vccnz .LBB159_7
; %bb.6:                                ;   in Loop: Header=BB159_3 Depth=1
	s_wait_loadcnt_dscnt 0x0
	ds_load_b64 v[23:24], v47
.LBB159_7:                              ;   in Loop: Header=BB159_3 Depth=1
	s_mov_b32 s20, exec_lo
	s_wait_loadcnt_dscnt 0x0
	v_cmpx_neq_f64_e32 0, v[23:24]
	s_cbranch_execz .LBB159_2
; %bb.8:                                ;   in Loop: Header=BB159_3 Depth=1
	s_and_not1_b32 vcc_lo, exec_lo, s50
	s_wait_alu 0xfffe
	s_cbranch_vccnz .LBB159_2
; %bb.9:                                ;   in Loop: Header=BB159_3 Depth=1
	s_lshl_b64 s[44:45], s[4:5], 3
	s_wait_alu 0xfffe
	s_add_nc_u64 s[46:47], s[8:9], s[44:45]
	s_add_nc_u64 s[52:53], s[12:13], s[44:45]
	s_clause 0x1
	global_load_b64 v[1:2], v0, s[46:47]
	global_load_b64 v[3:4], v0, s[52:53]
	s_load_b32 s47, s[30:31], 0x4
	s_mov_b32 s53, s5
	s_wait_kmcnt 0x0
	s_cvt_f32_u32 s46, s47
	s_sub_co_i32 s51, 0, s47
	s_wait_alu 0xfffe
	s_delay_alu instid0(SALU_CYCLE_1) | instskip(NEXT) | instid1(TRANS32_DEP_1)
	v_rcp_iflag_f32_e32 v5, s46
	v_readfirstlane_b32 s46, v5
	s_mul_f32 s46, s46, 0x4f7ffffe
	s_wait_alu 0xfffe
	s_delay_alu instid0(SALU_CYCLE_2) | instskip(SKIP_1) | instid1(SALU_CYCLE_2)
	s_cvt_u32_f32 s46, s46
	s_wait_alu 0xfffe
	s_mul_i32 s51, s51, s46
	s_delay_alu instid0(SALU_CYCLE_1) | instskip(NEXT) | instid1(SALU_CYCLE_1)
	s_mul_hi_u32 s51, s46, s51
	s_add_co_i32 s52, s46, s51
	s_wait_alu 0xfffe
	s_mul_u64 s[52:53], s[22:23], s[52:53]
	s_wait_alu 0xfffe
	s_mul_i32 s46, s53, s47
	s_add_co_i32 s51, s53, 1
	s_wait_alu 0xfffe
	s_sub_co_i32 s46, s22, s46
	s_wait_alu 0xfffe
	s_sub_co_i32 s52, s46, s47
	s_cmp_ge_u32 s46, s47
	s_cselect_b32 s51, s51, s53
	s_wait_alu 0xfffe
	s_cselect_b32 s46, s52, s46
	s_add_co_i32 s52, s51, 1
	s_wait_alu 0xfffe
	s_cmp_ge_u32 s46, s47
	s_cselect_b32 s46, s52, s51
	s_add_co_i32 s51, s47, -1
	s_wait_alu 0xfffe
	s_mov_b32 s52, s46
	s_cmp_lg_u32 s33, s51
	s_cbranch_scc1 .LBB159_11
; %bb.10:                               ;   in Loop: Header=BB159_3 Depth=1
	s_mul_i32 s47, s46, s47
	s_wait_alu 0xfffe
	s_sub_co_i32 s47, s22, s47
	s_wait_alu 0xfffe
	s_add_co_i32 s52, s47, s46
.LBB159_11:                             ;   in Loop: Header=BB159_3 Depth=1
	s_wait_alu 0xfffe
	s_cmp_eq_u32 s52, 0
	s_cbranch_scc1 .LBB159_2
; %bb.12:                               ;   in Loop: Header=BB159_3 Depth=1
	s_load_b32 s51, s[30:31], 0x0
	s_add_nc_u64 s[44:45], s[28:29], s[44:45]
	s_wait_loadcnt 0x0
	v_add_co_u32 v5, vcc_lo, v3, s14
	s_load_b64 s[44:45], s[44:45], 0x0
	v_add_co_ci_u32_e64 v6, null, s15, v4, vcc_lo
	v_add_co_u32 v7, vcc_lo, v5, s38
	s_mov_b32 s47, -1
	s_wait_alu 0xfffd
	v_add_co_ci_u32_e64 v8, null, s39, v6, vcc_lo
	s_wait_kmcnt 0x0
	s_add_co_i32 s51, s51, -1
	s_delay_alu instid0(SALU_CYCLE_1)
	s_cmp_lg_u32 s22, s51
	s_cselect_b32 s53, -1, 0
	s_wait_alu 0xfffe
	s_and_b32 vcc_lo, exec_lo, s53
	s_wait_alu 0xfffe
	s_cbranch_vccz .LBB159_16
; %bb.13:                               ;   in Loop: Header=BB159_3 Depth=1
	s_and_saveexec_b32 s47, s0
	s_cbranch_execz .LBB159_15
; %bb.14:                               ;   in Loop: Header=BB159_3 Depth=1
	v_add_co_u32 v3, vcc_lo, v7, v15
	s_wait_alu 0xfffd
	v_add_co_ci_u32_e64 v4, null, v8, v16, vcc_lo
	flat_load_b64 v[3:4], v[3:4]
	s_wait_loadcnt_dscnt 0x0
	ds_store_b64 v49, v[3:4]
.LBB159_15:                             ;   in Loop: Header=BB159_3 Depth=1
	s_wait_alu 0xfffe
	s_or_b32 exec_lo, exec_lo, s47
	s_mov_b32 s47, 0
.LBB159_16:                             ;   in Loop: Header=BB159_3 Depth=1
	s_wait_alu 0xfffe
	s_and_not1_b32 vcc_lo, exec_lo, s47
	s_wait_alu 0xfffe
	s_cbranch_vccnz .LBB159_22
; %bb.17:                               ;   in Loop: Header=BB159_3 Depth=1
	s_and_saveexec_b32 s47, s0
	s_cbranch_execz .LBB159_21
; %bb.18:                               ;   in Loop: Header=BB159_3 Depth=1
	v_mov_b32_e32 v3, 0
	v_mov_b32_e32 v4, 0
	s_and_saveexec_b32 s54, s1
	s_cbranch_execz .LBB159_20
; %bb.19:                               ;   in Loop: Header=BB159_3 Depth=1
	v_add_co_u32 v3, vcc_lo, v7, v15
	s_wait_alu 0xfffd
	v_add_co_ci_u32_e64 v4, null, v8, v16, vcc_lo
	flat_load_b64 v[3:4], v[3:4]
.LBB159_20:                             ;   in Loop: Header=BB159_3 Depth=1
	s_wait_alu 0xfffe
	s_or_b32 exec_lo, exec_lo, s54
	s_wait_loadcnt_dscnt 0x0
	ds_store_b64 v49, v[3:4]
.LBB159_21:                             ;   in Loop: Header=BB159_3 Depth=1
	s_wait_alu 0xfffe
	s_or_b32 exec_lo, exec_lo, s47
	s_mov_b32 s54, s5
	s_mov_b32 s55, s5
	s_wait_alu 0xfffe
	v_dual_mov_b32 v3, s54 :: v_dual_mov_b32 v4, s55
	ds_store_2addr_b64 v52, v[3:4], v[3:4] offset1:16
	ds_store_2addr_b64 v53, v[3:4], v[3:4] offset1:16
.LBB159_22:                             ;   in Loop: Header=BB159_3 Depth=1
	v_add_co_u32 v1, vcc_lo, v1, s10
	s_wait_alu 0xfffd
	v_add_co_ci_u32_e64 v2, null, s11, v2, vcc_lo
	s_mul_i32 s46, s49, s46
	v_add_co_u32 v1, vcc_lo, v1, s40
	s_wait_alu 0xfffe
	s_ashr_i32 s47, s46, 31
	s_wait_alu 0xfffd
	v_add_co_ci_u32_e64 v2, null, s41, v2, vcc_lo
	s_wait_alu 0xfffe
	s_lshl_b64 s[54:55], s[46:47], 3
	v_cndmask_b32_e64 v71, 0, 1, s53
	s_wait_alu 0xfffe
	v_add_co_u32 v25, vcc_lo, v1, s54
	s_wait_alu 0xfffd
	v_add_co_ci_u32_e64 v26, null, s55, v2, vcc_lo
	s_and_not1_b32 vcc_lo, exec_lo, s53
	s_mov_b32 s53, -1
	s_wait_dscnt 0x0
	s_barrier_signal -1
	s_barrier_wait -1
	global_inv scope:SCOPE_SE
                                        ; implicit-def: $vgpr1_vgpr2_vgpr3_vgpr4
	s_wait_alu 0xfffe
	s_cbranch_vccz .LBB159_53
; %bb.23:                               ;   in Loop: Header=BB159_3 Depth=1
	s_and_not1_b32 vcc_lo, exec_lo, s53
	s_wait_alu 0xfffe
	s_cbranch_vccz .LBB159_54
.LBB159_24:                             ;   in Loop: Header=BB159_3 Depth=1
	s_cmp_lt_i32 s52, 1
	s_add_nc_u64 s[44:45], s[44:45], s[16:17]
	s_cbranch_scc1 .LBB159_61
.LBB159_25:                             ;   in Loop: Header=BB159_3 Depth=1
	s_mul_u64 s[54:55], s[24:25], s[46:47]
	s_mul_u64 s[46:47], s[18:19], s[46:47]
	s_wait_alu 0xfffe
	s_lshl_b64 s[54:55], s[54:55], 3
	v_mov_b32_e32 v33, 0
	s_wait_alu 0xfffe
	v_add_co_u32 v72, vcc_lo, v5, s54
	s_wait_alu 0xfffd
	v_add_co_ci_u32_e64 v73, null, s55, v6, vcc_lo
	v_mov_b32_e32 v34, 0
	s_delay_alu instid0(VALU_DEP_3) | instskip(SKIP_1) | instid1(VALU_DEP_3)
	v_add_co_u32 v5, vcc_lo, v72, v19
	s_wait_alu 0xfffd
	v_add_co_ci_u32_e64 v6, null, v73, v20, vcc_lo
	s_lshl_b64 s[46:47], s[46:47], 3
	s_cmp_eq_u32 s52, 1
	s_wait_alu 0xfffe
	s_add_nc_u64 s[46:47], s[44:45], s[46:47]
	flat_load_b64 v[37:38], v[5:6]
	s_cbranch_scc1 .LBB159_62
; %bb.26:                               ;   in Loop: Header=BB159_3 Depth=1
	v_mov_b32_e32 v27, 0
	v_dual_mov_b32 v7, 0 :: v_dual_mov_b32 v28, 0
	v_dual_mov_b32 v29, 0 :: v_dual_mov_b32 v8, 0
	;; [unrolled: 1-line block ×3, first 2 shown]
	s_wait_alu 0xfffe
	v_dual_mov_b32 v6, 0 :: v_dual_mov_b32 v31, s46
	v_mov_b32_e32 v32, s47
	s_add_co_i32 s46, s52, -2
	s_mov_b32 s47, 0
.LBB159_27:                             ;   Parent Loop BB159_3 Depth=1
                                        ; =>  This Loop Header: Depth=2
                                        ;       Child Loop BB159_49 Depth 3
	v_add_co_u32 v9, vcc_lo, v72, v21
	s_wait_alu 0xfffd
	v_add_co_ci_u32_e64 v10, null, v73, v22, vcc_lo
	v_cmp_ne_u32_e32 vcc_lo, 1, v71
	s_mov_b32 s52, -1
                                        ; implicit-def: $vgpr33_vgpr34
                                        ; implicit-def: $vgpr35_vgpr36
	flat_load_b64 v[41:42], v[9:10]
	s_cbranch_vccnz .LBB159_29
; %bb.28:                               ;   in Loop: Header=BB159_27 Depth=2
	v_add_co_u32 v9, vcc_lo, v25, v17
	s_wait_alu 0xfffd
	v_add_co_ci_u32_e64 v10, null, v26, v18, vcc_lo
	s_lshl_b64 s[52:53], s[26:27], 3
	s_wait_alu 0xfffe
	v_add_co_u32 v11, vcc_lo, v9, s52
	s_wait_alu 0xfffd
	v_add_co_ci_u32_e64 v12, null, s53, v10, vcc_lo
	s_mov_b32 s52, 0
	s_clause 0x1
	flat_load_b64 v[35:36], v[9:10] offset:128
	flat_load_b64 v[33:34], v[11:12] offset:128
.LBB159_29:                             ;   in Loop: Header=BB159_27 Depth=2
	s_wait_alu 0xfffe
	s_and_not1_b32 vcc_lo, exec_lo, s52
	s_wait_alu 0xfffe
	s_cbranch_vccnz .LBB159_37
; %bb.30:                               ;   in Loop: Header=BB159_27 Depth=2
	s_and_saveexec_b32 s52, s2
	s_wait_alu 0xfffe
	s_xor_b32 s52, exec_lo, s52
	s_cbranch_execz .LBB159_34
; %bb.31:                               ;   in Loop: Header=BB159_27 Depth=2
	s_and_saveexec_b32 s53, s3
	s_cbranch_execz .LBB159_33
; %bb.32:                               ;   in Loop: Header=BB159_27 Depth=2
	v_add_co_u32 v7, vcc_lo, v25, v17
	s_wait_alu 0xfffd
	v_add_co_ci_u32_e64 v8, null, v26, v18, vcc_lo
	flat_load_b64 v[7:8], v[7:8] offset:128
.LBB159_33:                             ;   in Loop: Header=BB159_27 Depth=2
	s_wait_alu 0xfffe
	s_or_b32 exec_lo, exec_lo, s53
.LBB159_34:                             ;   in Loop: Header=BB159_27 Depth=2
	s_wait_alu 0xfffe
	s_and_not1_saveexec_b32 s52, s52
	s_cbranch_execz .LBB159_36
; %bb.35:                               ;   in Loop: Header=BB159_27 Depth=2
	v_add_co_u32 v5, vcc_lo, v25, v17
	s_wait_alu 0xfffd
	v_add_co_ci_u32_e64 v6, null, v26, v18, vcc_lo
	s_lshl_b64 s[54:55], s[26:27], 3
	s_wait_alu 0xfffe
	v_add_co_u32 v9, vcc_lo, v5, s54
	s_wait_alu 0xfffd
	v_add_co_ci_u32_e64 v10, null, s55, v6, vcc_lo
	s_wait_loadcnt_dscnt 0x0
	s_clause 0x1
	flat_load_b64 v[7:8], v[5:6] offset:128
	flat_load_b64 v[5:6], v[9:10] offset:128
.LBB159_36:                             ;   in Loop: Header=BB159_27 Depth=2
	s_wait_alu 0xfffe
	s_or_b32 exec_lo, exec_lo, s52
	s_wait_loadcnt_dscnt 0x0
	v_dual_mov_b32 v36, v8 :: v_dual_mov_b32 v35, v7
	v_dual_mov_b32 v34, v6 :: v_dual_mov_b32 v33, v5
.LBB159_37:                             ;   in Loop: Header=BB159_27 Depth=2
	ds_load_b128 v[9:12], v54
	v_cmp_ne_u32_e32 vcc_lo, 1, v71
	s_mov_b32 s52, -1
                                        ; implicit-def: $vgpr5_vgpr6_vgpr7_vgpr8
	s_cbranch_vccnz .LBB159_39
; %bb.38:                               ;   in Loop: Header=BB159_27 Depth=2
	v_add_co_u32 v5, vcc_lo, v25, v17
	s_wait_alu 0xfffd
	v_add_co_ci_u32_e64 v6, null, v26, v18, vcc_lo
	s_lshl_b64 s[52:53], s[26:27], 3
	s_wait_alu 0xfffe
	v_add_co_u32 v7, vcc_lo, v5, s52
	s_wait_alu 0xfffd
	v_add_co_ci_u32_e64 v8, null, s53, v6, vcc_lo
	s_mov_b32 s52, 0
	s_clause 0x1
	flat_load_b64 v[5:6], v[5:6] offset:256
	flat_load_b64 v[7:8], v[7:8] offset:256
.LBB159_39:                             ;   in Loop: Header=BB159_27 Depth=2
	s_wait_alu 0xfffe
	s_and_not1_b32 vcc_lo, exec_lo, s52
	s_wait_alu 0xfffe
	s_cbranch_vccnz .LBB159_47
; %bb.40:                               ;   in Loop: Header=BB159_27 Depth=2
                                        ; implicit-def: $vgpr5_vgpr6_vgpr7_vgpr8
	s_and_saveexec_b32 s52, s2
	s_wait_alu 0xfffe
	s_xor_b32 s52, exec_lo, s52
	s_cbranch_execz .LBB159_44
; %bb.41:                               ;   in Loop: Header=BB159_27 Depth=2
	s_wait_loadcnt_dscnt 0x0
	v_dual_mov_b32 v8, v4 :: v_dual_mov_b32 v7, v3
	v_dual_mov_b32 v6, v2 :: v_dual_mov_b32 v5, v1
	s_and_saveexec_b32 s53, s3
	s_cbranch_execz .LBB159_43
; %bb.42:                               ;   in Loop: Header=BB159_27 Depth=2
	v_add_co_u32 v5, vcc_lo, v25, v17
	s_wait_alu 0xfffd
	v_add_co_ci_u32_e64 v6, null, v26, v18, vcc_lo
	flat_load_b64 v[39:40], v[5:6] offset:256
	v_dual_mov_b32 v8, v4 :: v_dual_mov_b32 v7, v3
	v_dual_mov_b32 v6, v2 :: v_dual_mov_b32 v5, v1
	s_wait_loadcnt_dscnt 0x0
	v_dual_mov_b32 v5, v39 :: v_dual_mov_b32 v6, v40
.LBB159_43:                             ;   in Loop: Header=BB159_27 Depth=2
	s_wait_alu 0xfffe
	s_or_b32 exec_lo, exec_lo, s53
.LBB159_44:                             ;   in Loop: Header=BB159_27 Depth=2
	s_wait_alu 0xfffe
	s_and_not1_saveexec_b32 s52, s52
	s_cbranch_execz .LBB159_46
; %bb.45:                               ;   in Loop: Header=BB159_27 Depth=2
	s_wait_loadcnt_dscnt 0x101
	v_add_co_u32 v5, vcc_lo, v25, v17
	s_wait_alu 0xfffd
	v_add_co_ci_u32_e64 v6, null, v26, v18, vcc_lo
	s_lshl_b64 s[54:55], s[26:27], 3
	s_wait_loadcnt_dscnt 0x0
	s_wait_alu 0xfffe
	v_add_co_u32 v7, vcc_lo, v5, s54
	s_wait_alu 0xfffd
	v_add_co_ci_u32_e64 v8, null, s55, v6, vcc_lo
	s_clause 0x1
	flat_load_b64 v[5:6], v[5:6] offset:256
	flat_load_b64 v[7:8], v[7:8] offset:256
.LBB159_46:                             ;   in Loop: Header=BB159_27 Depth=2
	s_wait_alu 0xfffe
	s_or_b32 exec_lo, exec_lo, s52
.LBB159_47:                             ;   in Loop: Header=BB159_27 Depth=2
	v_add_co_u32 v72, vcc_lo, v72, s34
	s_wait_alu 0xfffd
	v_add_co_ci_u32_e64 v73, null, s35, v73, vcc_lo
	s_wait_loadcnt_dscnt 0x200
	v_fma_f64 v[43:44], v[1:2], v[9:10], 0
	v_add_co_u32 v39, vcc_lo, v72, v19
	s_wait_alu 0xfffd
	v_add_co_ci_u32_e64 v40, null, v73, v20, vcc_lo
	s_wait_loadcnt 0x1
	v_fma_f64 v[9:10], v[35:36], v[9:10], 0
	flat_load_b64 v[39:40], v[39:40]
	s_wait_loadcnt_dscnt 0x0
	s_barrier_signal -1
	s_barrier_wait -1
	global_inv scope:SCOPE_SE
	v_fma_f64 v[43:44], v[3:4], v[11:12], v[43:44]
	v_fma_f64 v[9:10], v[33:34], v[11:12], v[9:10]
	v_add_nc_u32_e32 v11, v50, v51
	ds_store_2addr_b64 v11, v[43:44], v[9:10] offset1:16
	s_wait_loadcnt_dscnt 0x0
	s_barrier_signal -1
	s_barrier_wait -1
	global_inv scope:SCOPE_SE
	s_and_saveexec_b32 s52, s0
	s_cbranch_execz .LBB159_51
; %bb.48:                               ;   in Loop: Header=BB159_27 Depth=2
	ds_load_2addr_b64 v[9:12], v48 offset1:32
	v_add_nc_u32_e32 v78, 0x800, v48
	s_mov_b32 s53, 0
	ds_load_2addr_b64 v[74:77], v78 offset0:64 offset1:96
	s_wait_dscnt 0x1
	v_add_f64_e32 v[9:10], 0, v[9:10]
	s_delay_alu instid0(VALU_DEP_1) | instskip(SKIP_3) | instid1(VALU_DEP_1)
	v_add_f64_e32 v[43:44], v[9:10], v[11:12]
	ds_load_2addr_b64 v[9:12], v48 offset0:64 offset1:96
	s_wait_dscnt 0x0
	v_add_f64_e32 v[9:10], v[43:44], v[9:10]
	v_add_f64_e32 v[43:44], v[9:10], v[11:12]
	ds_load_2addr_b64 v[9:12], v48 offset0:128 offset1:160
	s_wait_dscnt 0x0
	v_add_f64_e32 v[9:10], v[43:44], v[9:10]
	s_delay_alu instid0(VALU_DEP_1)
	v_add_f64_e32 v[43:44], v[9:10], v[11:12]
	ds_load_2addr_b64 v[9:12], v48 offset0:192 offset1:224
	s_wait_dscnt 0x0
	v_add_f64_e32 v[9:10], v[43:44], v[9:10]
	ds_load_2addr_b64 v[43:46], v78 offset1:32
	v_add_f64_e32 v[9:10], v[9:10], v[11:12]
	v_lshlrev_b64_e32 v[11:12], 3, v[13:14]
	s_wait_dscnt 0x0
	s_delay_alu instid0(VALU_DEP_2) | instskip(NEXT) | instid1(VALU_DEP_2)
	v_add_f64_e32 v[9:10], v[9:10], v[43:44]
	v_add_co_u32 v43, vcc_lo, v31, v11
	s_wait_alu 0xfffd
	s_delay_alu instid0(VALU_DEP_3) | instskip(SKIP_2) | instid1(VALU_DEP_1)
	v_add_co_ci_u32_e64 v44, null, v32, v12, vcc_lo
	flat_load_b64 v[11:12], v[43:44]
	v_add_f64_e32 v[9:10], v[9:10], v[45:46]
	v_add_f64_e32 v[9:10], v[9:10], v[74:75]
	s_delay_alu instid0(VALU_DEP_1) | instskip(SKIP_3) | instid1(VALU_DEP_1)
	v_add_f64_e32 v[9:10], v[9:10], v[76:77]
	ds_load_2addr_b64 v[74:77], v78 offset0:128 offset1:160
	s_wait_dscnt 0x0
	v_add_f64_e32 v[9:10], v[9:10], v[74:75]
	v_add_f64_e32 v[9:10], v[9:10], v[76:77]
	ds_load_2addr_b64 v[74:77], v78 offset0:192 offset1:224
	s_wait_dscnt 0x0
	v_add_f64_e32 v[9:10], v[9:10], v[74:75]
	s_delay_alu instid0(VALU_DEP_1) | instskip(NEXT) | instid1(VALU_DEP_1)
	v_add_f64_e32 v[9:10], v[9:10], v[76:77]
	v_mul_f64_e32 v[45:46], v[23:24], v[9:10]
.LBB159_49:                             ;   Parent Loop BB159_3 Depth=1
                                        ;     Parent Loop BB159_27 Depth=2
                                        ; =>    This Inner Loop Header: Depth=3
	s_wait_loadcnt 0x0
	s_delay_alu instid0(VALU_DEP_1)
	v_add_f64_e32 v[9:10], v[11:12], v[45:46]
	flat_atomic_cmpswap_b64 v[9:10], v[43:44], v[9:12] th:TH_ATOMIC_RETURN scope:SCOPE_DEV
	s_wait_loadcnt_dscnt 0x0
	v_cmp_eq_u64_e32 vcc_lo, v[9:10], v[11:12]
	v_dual_mov_b32 v12, v10 :: v_dual_mov_b32 v11, v9
	s_wait_alu 0xfffe
	s_or_b32 s53, vcc_lo, s53
	s_wait_alu 0xfffe
	s_and_not1_b32 exec_lo, exec_lo, s53
	s_cbranch_execnz .LBB159_49
; %bb.50:                               ;   in Loop: Header=BB159_27 Depth=2
	s_or_b32 exec_lo, exec_lo, s53
	v_add_co_u32 v31, vcc_lo, v31, s36
	s_wait_alu 0xfffd
	v_add_co_ci_u32_e64 v32, null, s37, v32, vcc_lo
.LBB159_51:                             ;   in Loop: Header=BB159_27 Depth=2
	s_wait_alu 0xfffe
	s_or_b32 exec_lo, exec_lo, s52
	v_fma_f64 v[1:2], v[37:38], v[1:2], v[27:28]
	v_fma_f64 v[3:4], v[37:38], v[3:4], v[29:30]
	v_add_co_u32 v25, vcc_lo, 0x100, v25
	s_wait_alu 0xfffd
	v_add_co_ci_u32_e64 v26, null, 0, v26, vcc_lo
	s_add_co_i32 s52, s47, 1
	s_cmp_eq_u32 s47, s46
	v_fma_f64 v[27:28], v[41:42], v[35:36], v[1:2]
	v_fma_f64 v[29:30], v[41:42], v[33:34], v[3:4]
	s_cbranch_scc1 .LBB159_63
; %bb.52:                               ;   in Loop: Header=BB159_27 Depth=2
	v_dual_mov_b32 v1, v5 :: v_dual_mov_b32 v2, v6
	v_dual_mov_b32 v37, v39 :: v_dual_mov_b32 v38, v40
	;; [unrolled: 1-line block ×5, first 2 shown]
	s_wait_alu 0xfffe
	s_mov_b32 s47, s52
	s_branch .LBB159_27
.LBB159_53:                             ;   in Loop: Header=BB159_3 Depth=1
	v_add_co_u32 v1, vcc_lo, v25, v17
	s_wait_alu 0xfffd
	v_add_co_ci_u32_e64 v2, null, v26, v18, vcc_lo
	s_lshl_b64 s[54:55], s[26:27], 3
	s_wait_alu 0xfffe
	v_add_co_u32 v3, vcc_lo, v1, s54
	s_wait_alu 0xfffd
	v_add_co_ci_u32_e64 v4, null, s55, v2, vcc_lo
	s_clause 0x1
	flat_load_b64 v[1:2], v[1:2]
	flat_load_b64 v[3:4], v[3:4]
	s_cbranch_execnz .LBB159_24
.LBB159_54:                             ;   in Loop: Header=BB159_3 Depth=1
                                        ; implicit-def: $vgpr1_vgpr2_vgpr3_vgpr4
	s_and_saveexec_b32 s53, s2
	s_wait_alu 0xfffe
	s_xor_b32 s53, exec_lo, s53
	s_cbranch_execz .LBB159_58
; %bb.55:                               ;   in Loop: Header=BB159_3 Depth=1
	s_wait_loadcnt_dscnt 0x0
	v_mov_b32_e32 v3, v0
	v_dual_mov_b32 v1, v0 :: v_dual_mov_b32 v2, v0
	s_delay_alu instid0(VALU_DEP_2) | instskip(NEXT) | instid1(VALU_DEP_2)
	v_mov_b32_e32 v4, v3
	v_mov_b32_e32 v3, v2
	s_delay_alu instid0(VALU_DEP_3)
	v_mov_b32_e32 v2, v1
	v_mov_b32_e32 v1, v0
	s_and_saveexec_b32 s54, s3
	s_cbranch_execz .LBB159_57
; %bb.56:                               ;   in Loop: Header=BB159_3 Depth=1
	v_add_co_u32 v1, vcc_lo, v25, v17
	s_wait_alu 0xfffd
	v_add_co_ci_u32_e64 v2, null, v26, v18, vcc_lo
	v_dual_mov_b32 v3, v0 :: v_dual_mov_b32 v4, v0
	flat_load_b64 v[1:2], v[1:2]
.LBB159_57:                             ;   in Loop: Header=BB159_3 Depth=1
	s_wait_alu 0xfffe
	s_or_b32 exec_lo, exec_lo, s54
.LBB159_58:                             ;   in Loop: Header=BB159_3 Depth=1
	s_wait_alu 0xfffe
	s_and_not1_saveexec_b32 s53, s53
	s_cbranch_execz .LBB159_60
; %bb.59:                               ;   in Loop: Header=BB159_3 Depth=1
	s_wait_loadcnt_dscnt 0x0
	v_add_co_u32 v1, vcc_lo, v25, v17
	s_wait_alu 0xfffd
	v_add_co_ci_u32_e64 v2, null, v26, v18, vcc_lo
	s_lshl_b64 s[54:55], s[26:27], 3
	s_wait_alu 0xfffe
	v_add_co_u32 v3, vcc_lo, v1, s54
	s_wait_alu 0xfffd
	v_add_co_ci_u32_e64 v4, null, s55, v2, vcc_lo
	s_clause 0x1
	flat_load_b64 v[1:2], v[1:2]
	flat_load_b64 v[3:4], v[3:4]
.LBB159_60:                             ;   in Loop: Header=BB159_3 Depth=1
	s_wait_alu 0xfffe
	s_or_b32 exec_lo, exec_lo, s53
	s_cmp_lt_i32 s52, 1
	s_add_nc_u64 s[44:45], s[44:45], s[16:17]
	s_cbranch_scc0 .LBB159_25
.LBB159_61:                             ;   in Loop: Header=BB159_3 Depth=1
	s_wait_loadcnt_dscnt 0x0
	v_mov_b32_e32 v1, 0
	v_dual_mov_b32 v2, 0 :: v_dual_mov_b32 v3, 0
	v_mov_b32_e32 v4, 0
	s_branch .LBB159_77
.LBB159_62:                             ;   in Loop: Header=BB159_3 Depth=1
	v_mov_b32_e32 v35, 0
	v_dual_mov_b32 v36, 0 :: v_dual_mov_b32 v29, 0
	s_wait_loadcnt_dscnt 0x101
	v_dual_mov_b32 v27, 0 :: v_dual_mov_b32 v8, v4
	s_wait_alu 0xfffe
	v_dual_mov_b32 v31, s46 :: v_dual_mov_b32 v32, s47
	v_mov_b32_e32 v30, 0
	v_dual_mov_b32 v28, 0 :: v_dual_mov_b32 v7, v3
	v_dual_mov_b32 v6, v2 :: v_dual_mov_b32 v5, v1
	s_wait_loadcnt_dscnt 0x0
	v_dual_mov_b32 v40, v38 :: v_dual_mov_b32 v39, v37
.LBB159_63:                             ;   in Loop: Header=BB159_3 Depth=1
	v_add_co_u32 v1, vcc_lo, v72, v21
	s_wait_alu 0xfffd
	v_add_co_ci_u32_e64 v2, null, v73, v22, vcc_lo
	v_cmp_ne_u32_e32 vcc_lo, 1, v71
	s_mov_b32 s46, -1
                                        ; implicit-def: $vgpr37_vgpr38
                                        ; implicit-def: $vgpr11_vgpr12
	flat_load_b64 v[9:10], v[1:2]
	s_cbranch_vccnz .LBB159_65
; %bb.64:                               ;   in Loop: Header=BB159_3 Depth=1
	v_add_co_u32 v1, vcc_lo, v25, v17
	s_wait_alu 0xfffd
	v_add_co_ci_u32_e64 v2, null, v26, v18, vcc_lo
	s_lshl_b64 s[46:47], s[26:27], 3
	s_wait_alu 0xfffe
	v_add_co_u32 v3, vcc_lo, v1, s46
	s_wait_alu 0xfffd
	v_add_co_ci_u32_e64 v4, null, s47, v2, vcc_lo
	s_mov_b32 s46, 0
	s_clause 0x1
	flat_load_b64 v[11:12], v[1:2] offset:128
	flat_load_b64 v[37:38], v[3:4] offset:128
.LBB159_65:                             ;   in Loop: Header=BB159_3 Depth=1
	s_wait_alu 0xfffe
	s_and_not1_b32 vcc_lo, exec_lo, s46
	s_wait_alu 0xfffe
	s_cbranch_vccnz .LBB159_73
; %bb.66:                               ;   in Loop: Header=BB159_3 Depth=1
	s_and_saveexec_b32 s46, s2
	s_wait_alu 0xfffe
	s_xor_b32 s46, exec_lo, s46
	s_cbranch_execz .LBB159_70
; %bb.67:                               ;   in Loop: Header=BB159_3 Depth=1
	s_and_saveexec_b32 s47, s3
	s_cbranch_execz .LBB159_69
; %bb.68:                               ;   in Loop: Header=BB159_3 Depth=1
	v_add_co_u32 v1, vcc_lo, v25, v17
	s_wait_alu 0xfffd
	v_add_co_ci_u32_e64 v2, null, v26, v18, vcc_lo
	flat_load_b64 v[35:36], v[1:2] offset:128
.LBB159_69:                             ;   in Loop: Header=BB159_3 Depth=1
	s_wait_alu 0xfffe
	s_or_b32 exec_lo, exec_lo, s47
                                        ; implicit-def: $vgpr25_vgpr26
.LBB159_70:                             ;   in Loop: Header=BB159_3 Depth=1
	s_wait_alu 0xfffe
	s_and_not1_saveexec_b32 s46, s46
	s_cbranch_execz .LBB159_72
; %bb.71:                               ;   in Loop: Header=BB159_3 Depth=1
	v_add_co_u32 v1, vcc_lo, v25, v17
	s_wait_alu 0xfffd
	v_add_co_ci_u32_e64 v2, null, v26, v18, vcc_lo
	s_lshl_b64 s[52:53], s[26:27], 3
	s_wait_alu 0xfffe
	v_add_co_u32 v3, vcc_lo, v1, s52
	s_wait_alu 0xfffd
	v_add_co_ci_u32_e64 v4, null, s53, v2, vcc_lo
	s_wait_loadcnt_dscnt 0x0
	s_clause 0x1
	flat_load_b64 v[35:36], v[1:2] offset:128
	flat_load_b64 v[33:34], v[3:4] offset:128
.LBB159_72:                             ;   in Loop: Header=BB159_3 Depth=1
	s_wait_alu 0xfffe
	s_or_b32 exec_lo, exec_lo, s46
	s_wait_loadcnt_dscnt 0x0
	v_dual_mov_b32 v11, v35 :: v_dual_mov_b32 v12, v36
	v_dual_mov_b32 v38, v34 :: v_dual_mov_b32 v37, v33
.LBB159_73:                             ;   in Loop: Header=BB159_3 Depth=1
	ds_load_b128 v[1:4], v54
	s_wait_loadcnt_dscnt 0x0
	s_barrier_signal -1
	s_barrier_wait -1
	global_inv scope:SCOPE_SE
	v_fma_f64 v[25:26], v[5:6], v[1:2], 0
	v_fma_f64 v[1:2], v[11:12], v[1:2], 0
	s_delay_alu instid0(VALU_DEP_2) | instskip(NEXT) | instid1(VALU_DEP_2)
	v_fma_f64 v[25:26], v[7:8], v[3:4], v[25:26]
	v_fma_f64 v[1:2], v[37:38], v[3:4], v[1:2]
	v_add_nc_u32_e32 v3, v50, v51
	ds_store_2addr_b64 v3, v[25:26], v[1:2] offset1:16
	s_wait_loadcnt_dscnt 0x0
	s_barrier_signal -1
	s_barrier_wait -1
	global_inv scope:SCOPE_SE
	s_and_saveexec_b32 s46, s0
	s_cbranch_execz .LBB159_76
; %bb.74:                               ;   in Loop: Header=BB159_3 Depth=1
	ds_load_2addr_b64 v[1:4], v48 offset1:32
	v_add_nc_u32_e32 v41, 0x800, v48
	s_mov_b32 s47, 0
	ds_load_2addr_b64 v[33:36], v41 offset1:32
	s_wait_dscnt 0x1
	v_add_f64_e32 v[1:2], 0, v[1:2]
	s_delay_alu instid0(VALU_DEP_1) | instskip(SKIP_3) | instid1(VALU_DEP_1)
	v_add_f64_e32 v[25:26], v[1:2], v[3:4]
	ds_load_2addr_b64 v[1:4], v48 offset0:64 offset1:96
	s_wait_dscnt 0x0
	v_add_f64_e32 v[1:2], v[25:26], v[1:2]
	v_add_f64_e32 v[25:26], v[1:2], v[3:4]
	ds_load_2addr_b64 v[1:4], v48 offset0:128 offset1:160
	s_wait_dscnt 0x0
	v_add_f64_e32 v[1:2], v[25:26], v[1:2]
	s_delay_alu instid0(VALU_DEP_1) | instskip(SKIP_3) | instid1(VALU_DEP_1)
	v_add_f64_e32 v[25:26], v[1:2], v[3:4]
	ds_load_2addr_b64 v[1:4], v48 offset0:192 offset1:224
	s_wait_dscnt 0x0
	v_add_f64_e32 v[1:2], v[25:26], v[1:2]
	v_add_f64_e32 v[1:2], v[1:2], v[3:4]
	v_lshlrev_b64_e32 v[3:4], 3, v[13:14]
	s_delay_alu instid0(VALU_DEP_1) | instskip(SKIP_1) | instid1(VALU_DEP_2)
	v_add_co_u32 v25, vcc_lo, v31, v3
	s_wait_alu 0xfffd
	v_add_co_ci_u32_e64 v26, null, v32, v4, vcc_lo
	flat_load_b64 v[3:4], v[25:26]
	v_add_f64_e32 v[1:2], v[1:2], v[33:34]
	ds_load_2addr_b64 v[31:34], v41 offset0:64 offset1:96
	v_add_f64_e32 v[1:2], v[1:2], v[35:36]
	s_wait_dscnt 0x0
	s_delay_alu instid0(VALU_DEP_1) | instskip(NEXT) | instid1(VALU_DEP_1)
	v_add_f64_e32 v[1:2], v[1:2], v[31:32]
	v_add_f64_e32 v[1:2], v[1:2], v[33:34]
	ds_load_2addr_b64 v[31:34], v41 offset0:128 offset1:160
	s_wait_dscnt 0x0
	v_add_f64_e32 v[1:2], v[1:2], v[31:32]
	s_delay_alu instid0(VALU_DEP_1) | instskip(SKIP_3) | instid1(VALU_DEP_1)
	v_add_f64_e32 v[1:2], v[1:2], v[33:34]
	ds_load_2addr_b64 v[31:34], v41 offset0:192 offset1:224
	s_wait_dscnt 0x0
	v_add_f64_e32 v[1:2], v[1:2], v[31:32]
	v_add_f64_e32 v[1:2], v[1:2], v[33:34]
	s_delay_alu instid0(VALU_DEP_1)
	v_mul_f64_e32 v[31:32], v[23:24], v[1:2]
.LBB159_75:                             ;   Parent Loop BB159_3 Depth=1
                                        ; =>  This Inner Loop Header: Depth=2
	s_wait_loadcnt 0x0
	s_delay_alu instid0(VALU_DEP_1)
	v_add_f64_e32 v[1:2], v[3:4], v[31:32]
	flat_atomic_cmpswap_b64 v[1:2], v[25:26], v[1:4] th:TH_ATOMIC_RETURN scope:SCOPE_DEV
	s_wait_loadcnt_dscnt 0x0
	v_cmp_eq_u64_e32 vcc_lo, v[1:2], v[3:4]
	v_dual_mov_b32 v4, v2 :: v_dual_mov_b32 v3, v1
	s_wait_alu 0xfffe
	s_or_b32 s47, vcc_lo, s47
	s_wait_alu 0xfffe
	s_and_not1_b32 exec_lo, exec_lo, s47
	s_cbranch_execnz .LBB159_75
.LBB159_76:                             ;   in Loop: Header=BB159_3 Depth=1
	s_wait_alu 0xfffe
	s_or_b32 exec_lo, exec_lo, s46
	v_fma_f64 v[1:2], v[39:40], v[5:6], v[27:28]
	v_fma_f64 v[5:6], v[39:40], v[7:8], v[29:30]
	s_delay_alu instid0(VALU_DEP_2) | instskip(NEXT) | instid1(VALU_DEP_2)
	v_fma_f64 v[3:4], v[9:10], v[11:12], v[1:2]
	v_fma_f64 v[1:2], v[9:10], v[37:38], v[5:6]
.LBB159_77:                             ;   in Loop: Header=BB159_3 Depth=1
	s_cmp_lt_u32 s22, s51
	ds_store_2addr_b64 v53, v[3:4], v[1:2] offset1:16
	s_cselect_b32 s46, -1, 0
	s_wait_loadcnt_dscnt 0x0
	s_wait_alu 0xfffe
	s_or_b32 s46, s1, s46
	s_barrier_signal -1
	s_wait_alu 0xfffe
	s_and_b32 s46, s0, s46
	s_barrier_wait -1
	global_inv scope:SCOPE_SE
	s_wait_alu 0xfffe
	s_and_b32 exec_lo, exec_lo, s46
	s_cbranch_execz .LBB159_2
; %bb.78:                               ;   in Loop: Header=BB159_3 Depth=1
	ds_load_b64 v[1:2], v55
	ds_load_b64 v[3:4], v56
	;; [unrolled: 1-line block ×4, first 2 shown]
	s_add_nc_u64 s[44:45], s[44:45], s[42:43]
	s_wait_dscnt 0x3
	v_add_f64_e32 v[1:2], 0, v[1:2]
	s_wait_dscnt 0x2
	s_delay_alu instid0(VALU_DEP_1) | instskip(SKIP_1) | instid1(VALU_DEP_1)
	v_add_f64_e32 v[1:2], v[1:2], v[3:4]
	s_wait_dscnt 0x1
	v_add_f64_e32 v[1:2], v[1:2], v[5:6]
	s_wait_dscnt 0x0
	s_delay_alu instid0(VALU_DEP_1)
	v_add_f64_e32 v[1:2], v[1:2], v[7:8]
	ds_load_b64 v[3:4], v59
	ds_load_b64 v[5:6], v60
	;; [unrolled: 1-line block ×4, first 2 shown]
	s_wait_dscnt 0x3
	v_add_f64_e32 v[1:2], v[1:2], v[3:4]
	s_wait_dscnt 0x2
	s_delay_alu instid0(VALU_DEP_1) | instskip(SKIP_1) | instid1(VALU_DEP_1)
	v_add_f64_e32 v[1:2], v[1:2], v[5:6]
	s_wait_dscnt 0x1
	v_add_f64_e32 v[1:2], v[1:2], v[7:8]
	s_wait_dscnt 0x0
	s_delay_alu instid0(VALU_DEP_1)
	v_add_f64_e32 v[1:2], v[1:2], v[9:10]
	ds_load_b64 v[3:4], v63
	ds_load_b64 v[7:8], v64
	ds_load_b64 v[9:10], v65
	ds_load_b64 v[11:12], v66
	s_wait_dscnt 0x3
	v_add_f64_e32 v[1:2], v[1:2], v[3:4]
	v_lshlrev_b64_e32 v[3:4], 3, v[13:14]
	s_wait_alu 0xfffe
	s_delay_alu instid0(VALU_DEP_1) | instskip(SKIP_1) | instid1(VALU_DEP_2)
	v_add_co_u32 v5, vcc_lo, s44, v3
	s_wait_alu 0xfffd
	v_add_co_ci_u32_e64 v6, null, s45, v4, vcc_lo
	s_mov_b32 s44, 0
	flat_load_b64 v[3:4], v[5:6]
	s_wait_dscnt 0x3
	v_add_f64_e32 v[1:2], v[1:2], v[7:8]
	s_wait_dscnt 0x2
	s_delay_alu instid0(VALU_DEP_1) | instskip(SKIP_1) | instid1(VALU_DEP_1)
	v_add_f64_e32 v[1:2], v[1:2], v[9:10]
	s_wait_dscnt 0x1
	v_add_f64_e32 v[1:2], v[1:2], v[11:12]
	ds_load_b64 v[7:8], v67
	ds_load_b64 v[9:10], v68
	;; [unrolled: 1-line block ×4, first 2 shown]
	s_wait_dscnt 0x3
	v_add_f64_e32 v[1:2], v[1:2], v[7:8]
	s_wait_dscnt 0x2
	s_delay_alu instid0(VALU_DEP_1) | instskip(SKIP_1) | instid1(VALU_DEP_1)
	v_add_f64_e32 v[1:2], v[1:2], v[9:10]
	s_wait_dscnt 0x1
	v_add_f64_e32 v[1:2], v[1:2], v[11:12]
	s_wait_dscnt 0x0
	s_delay_alu instid0(VALU_DEP_1) | instskip(NEXT) | instid1(VALU_DEP_1)
	v_add_f64_e32 v[1:2], v[1:2], v[25:26]
	v_mul_f64_e32 v[7:8], v[23:24], v[1:2]
.LBB159_79:                             ;   Parent Loop BB159_3 Depth=1
                                        ; =>  This Inner Loop Header: Depth=2
	s_wait_loadcnt 0x0
	s_delay_alu instid0(VALU_DEP_1)
	v_add_f64_e32 v[1:2], v[3:4], v[7:8]
	flat_atomic_cmpswap_b64 v[1:2], v[5:6], v[1:4] th:TH_ATOMIC_RETURN scope:SCOPE_DEV
	s_wait_loadcnt_dscnt 0x0
	v_cmp_eq_u64_e32 vcc_lo, v[1:2], v[3:4]
	v_dual_mov_b32 v4, v2 :: v_dual_mov_b32 v3, v1
	s_wait_alu 0xfffe
	s_or_b32 s44, vcc_lo, s44
	s_wait_alu 0xfffe
	s_and_not1_b32 exec_lo, exec_lo, s44
	s_cbranch_execnz .LBB159_79
	s_branch .LBB159_2
.LBB159_80:
	s_endpgm
	.section	.rodata,"a",@progbits
	.p2align	6, 0x0
	.amdhsa_kernel _ZL62rocblas_symv_kernel_upper_double_buffered_non_diagonal_genericILi32ELi8ELi2ELi1E24rocblas_internal_val_ptrIdEPKPKdPKPdEvbiT3_lT4_lllSA_lllT5_lllii
		.amdhsa_group_segment_fixed_size 10496
		.amdhsa_private_segment_fixed_size 0
		.amdhsa_kernarg_size 384
		.amdhsa_user_sgpr_count 4
		.amdhsa_user_sgpr_dispatch_ptr 1
		.amdhsa_user_sgpr_queue_ptr 0
		.amdhsa_user_sgpr_kernarg_segment_ptr 1
		.amdhsa_user_sgpr_dispatch_id 0
		.amdhsa_user_sgpr_private_segment_size 0
		.amdhsa_wavefront_size32 1
		.amdhsa_uses_dynamic_stack 0
		.amdhsa_enable_private_segment 0
		.amdhsa_system_sgpr_workgroup_id_x 1
		.amdhsa_system_sgpr_workgroup_id_y 1
		.amdhsa_system_sgpr_workgroup_id_z 1
		.amdhsa_system_sgpr_workgroup_info 0
		.amdhsa_system_vgpr_workitem_id 2
		.amdhsa_next_free_vgpr 79
		.amdhsa_next_free_sgpr 56
		.amdhsa_reserve_vcc 1
		.amdhsa_float_round_mode_32 0
		.amdhsa_float_round_mode_16_64 0
		.amdhsa_float_denorm_mode_32 3
		.amdhsa_float_denorm_mode_16_64 3
		.amdhsa_fp16_overflow 0
		.amdhsa_workgroup_processor_mode 1
		.amdhsa_memory_ordered 1
		.amdhsa_forward_progress 1
		.amdhsa_inst_pref_size 38
		.amdhsa_round_robin_scheduling 0
		.amdhsa_exception_fp_ieee_invalid_op 0
		.amdhsa_exception_fp_denorm_src 0
		.amdhsa_exception_fp_ieee_div_zero 0
		.amdhsa_exception_fp_ieee_overflow 0
		.amdhsa_exception_fp_ieee_underflow 0
		.amdhsa_exception_fp_ieee_inexact 0
		.amdhsa_exception_int_div_zero 0
	.end_amdhsa_kernel
	.section	.text._ZL62rocblas_symv_kernel_upper_double_buffered_non_diagonal_genericILi32ELi8ELi2ELi1E24rocblas_internal_val_ptrIdEPKPKdPKPdEvbiT3_lT4_lllSA_lllT5_lllii,"axG",@progbits,_ZL62rocblas_symv_kernel_upper_double_buffered_non_diagonal_genericILi32ELi8ELi2ELi1E24rocblas_internal_val_ptrIdEPKPKdPKPdEvbiT3_lT4_lllSA_lllT5_lllii,comdat
.Lfunc_end159:
	.size	_ZL62rocblas_symv_kernel_upper_double_buffered_non_diagonal_genericILi32ELi8ELi2ELi1E24rocblas_internal_val_ptrIdEPKPKdPKPdEvbiT3_lT4_lllSA_lllT5_lllii, .Lfunc_end159-_ZL62rocblas_symv_kernel_upper_double_buffered_non_diagonal_genericILi32ELi8ELi2ELi1E24rocblas_internal_val_ptrIdEPKPKdPKPdEvbiT3_lT4_lllSA_lllT5_lllii
                                        ; -- End function
	.set _ZL62rocblas_symv_kernel_upper_double_buffered_non_diagonal_genericILi32ELi8ELi2ELi1E24rocblas_internal_val_ptrIdEPKPKdPKPdEvbiT3_lT4_lllSA_lllT5_lllii.num_vgpr, 79
	.set _ZL62rocblas_symv_kernel_upper_double_buffered_non_diagonal_genericILi32ELi8ELi2ELi1E24rocblas_internal_val_ptrIdEPKPKdPKPdEvbiT3_lT4_lllSA_lllT5_lllii.num_agpr, 0
	.set _ZL62rocblas_symv_kernel_upper_double_buffered_non_diagonal_genericILi32ELi8ELi2ELi1E24rocblas_internal_val_ptrIdEPKPKdPKPdEvbiT3_lT4_lllSA_lllT5_lllii.numbered_sgpr, 56
	.set _ZL62rocblas_symv_kernel_upper_double_buffered_non_diagonal_genericILi32ELi8ELi2ELi1E24rocblas_internal_val_ptrIdEPKPKdPKPdEvbiT3_lT4_lllSA_lllT5_lllii.num_named_barrier, 0
	.set _ZL62rocblas_symv_kernel_upper_double_buffered_non_diagonal_genericILi32ELi8ELi2ELi1E24rocblas_internal_val_ptrIdEPKPKdPKPdEvbiT3_lT4_lllSA_lllT5_lllii.private_seg_size, 0
	.set _ZL62rocblas_symv_kernel_upper_double_buffered_non_diagonal_genericILi32ELi8ELi2ELi1E24rocblas_internal_val_ptrIdEPKPKdPKPdEvbiT3_lT4_lllSA_lllT5_lllii.uses_vcc, 1
	.set _ZL62rocblas_symv_kernel_upper_double_buffered_non_diagonal_genericILi32ELi8ELi2ELi1E24rocblas_internal_val_ptrIdEPKPKdPKPdEvbiT3_lT4_lllSA_lllT5_lllii.uses_flat_scratch, 1
	.set _ZL62rocblas_symv_kernel_upper_double_buffered_non_diagonal_genericILi32ELi8ELi2ELi1E24rocblas_internal_val_ptrIdEPKPKdPKPdEvbiT3_lT4_lllSA_lllT5_lllii.has_dyn_sized_stack, 0
	.set _ZL62rocblas_symv_kernel_upper_double_buffered_non_diagonal_genericILi32ELi8ELi2ELi1E24rocblas_internal_val_ptrIdEPKPKdPKPdEvbiT3_lT4_lllSA_lllT5_lllii.has_recursion, 0
	.set _ZL62rocblas_symv_kernel_upper_double_buffered_non_diagonal_genericILi32ELi8ELi2ELi1E24rocblas_internal_val_ptrIdEPKPKdPKPdEvbiT3_lT4_lllSA_lllT5_lllii.has_indirect_call, 0
	.section	.AMDGPU.csdata,"",@progbits
; Kernel info:
; codeLenInByte = 4744
; TotalNumSgprs: 58
; NumVgprs: 79
; ScratchSize: 0
; MemoryBound: 1
; FloatMode: 240
; IeeeMode: 1
; LDSByteSize: 10496 bytes/workgroup (compile time only)
; SGPRBlocks: 0
; VGPRBlocks: 9
; NumSGPRsForWavesPerEU: 58
; NumVGPRsForWavesPerEU: 79
; Occupancy: 16
; WaveLimiterHint : 1
; COMPUTE_PGM_RSRC2:SCRATCH_EN: 0
; COMPUTE_PGM_RSRC2:USER_SGPR: 4
; COMPUTE_PGM_RSRC2:TRAP_HANDLER: 0
; COMPUTE_PGM_RSRC2:TGID_X_EN: 1
; COMPUTE_PGM_RSRC2:TGID_Y_EN: 1
; COMPUTE_PGM_RSRC2:TGID_Z_EN: 1
; COMPUTE_PGM_RSRC2:TIDIG_COMP_CNT: 2
	.section	.text._ZL26rocblas_hemvn_kernel_upperILb0ELi64ELi4ELi33ELi32ELi16ElPKdPKS1_PdEviT6_lT7_lT5_lS6_lS7_lS5_lT8_i,"axG",@progbits,_ZL26rocblas_hemvn_kernel_upperILb0ELi64ELi4ELi33ELi32ELi16ElPKdPKS1_PdEviT6_lT7_lT5_lS6_lS7_lS5_lT8_i,comdat
	.globl	_ZL26rocblas_hemvn_kernel_upperILb0ELi64ELi4ELi33ELi32ELi16ElPKdPKS1_PdEviT6_lT7_lT5_lS6_lS7_lS5_lT8_i ; -- Begin function _ZL26rocblas_hemvn_kernel_upperILb0ELi64ELi4ELi33ELi32ELi16ElPKdPKS1_PdEviT6_lT7_lT5_lS6_lS7_lS5_lT8_i
	.p2align	8
	.type	_ZL26rocblas_hemvn_kernel_upperILb0ELi64ELi4ELi33ELi32ELi16ElPKdPKS1_PdEviT6_lT7_lT5_lS6_lS7_lS5_lT8_i,@function
_ZL26rocblas_hemvn_kernel_upperILb0ELi64ELi4ELi33ELi32ELi16ElPKdPKS1_PdEviT6_lT7_lT5_lS6_lS7_lS5_lT8_i: ; @_ZL26rocblas_hemvn_kernel_upperILb0ELi64ELi4ELi33ELi32ELi16ElPKdPKS1_PdEviT6_lT7_lT5_lS6_lS7_lS5_lT8_i
; %bb.0:
	s_clause 0x1
	s_load_b64 s[2:3], s[0:1], 0x84
	s_load_b32 s33, s[0:1], 0x70
	s_lshr_b32 s34, ttmp7, 16
	s_wait_kmcnt 0x0
	s_lshr_b32 s4, s2, 16
	s_and_b32 s2, s2, 0xffff
	s_and_b32 s3, s3, 0xffff
	s_mul_i32 s2, s4, s2
	s_delay_alu instid0(SALU_CYCLE_1) | instskip(NEXT) | instid1(SALU_CYCLE_1)
	s_mul_i32 s2, s2, s3
	s_cmp_lg_u32 s2, 0x100
	s_cselect_b32 s2, -1, 0
	s_cmp_ge_u32 s34, s33
	s_cselect_b32 s3, -1, 0
	s_delay_alu instid0(SALU_CYCLE_1) | instskip(NEXT) | instid1(SALU_CYCLE_1)
	s_or_b32 s2, s2, s3
	s_and_b32 vcc_lo, exec_lo, s2
	s_cbranch_vccnz .LBB160_131
; %bb.1:
	s_clause 0x1
	s_load_b32 s2, s[0:1], 0x0
	s_load_b64 s[40:41], s[0:1], 0x48
	s_add_nc_u64 s[6:7], s[0:1], 0x78
	v_dual_mov_b32 v56, 0 :: v_dual_and_b32 v99, 0x3ff, v0
	s_load_b32 s42, s[6:7], 0x0
	s_clause 0x2
	s_load_b64 s[60:61], s[0:1], 0x28
	s_load_b128 s[28:31], s[0:1], 0x38
	s_load_b64 s[6:7], s[0:1], 0x68
	v_bfe_u32 v11, v0, 10, 10
	s_lshl_b32 s18, ttmp9, 6
	s_load_b256 s[20:27], s[0:1], 0x8
	v_add_nc_u32_e32 v1, s18, v99
	s_load_b128 s[36:39], s[0:1], 0x58
	v_lshl_add_u32 v9, v11, 6, v99
	v_and_b32_e32 v55, 31, v0
	s_mov_b32 s35, 0
	v_ashrrev_i32_e32 v2, 31, v1
	s_mov_b32 s4, ttmp9
	v_lshrrev_b32_e32 v10, 5, v9
	s_mov_b32 s43, s35
	v_lshlrev_b32_e32 v100, 3, v99
	s_wait_kmcnt 0x0
	s_ashr_i32 s3, s2, 31
	v_mul_lo_u32 v7, s40, v2
	s_lshr_b32 s0, s3, 26
	v_mul_lo_u32 v8, s41, v1
	s_add_co_i32 s0, s2, s0
	s_add_co_i32 s1, s42, -1
	s_and_not1_b32 s0, s0, 63
	v_mad_co_u64_u32 v[3:4], null, s40, v1, 0
	s_sub_co_i32 s72, s2, s0
	s_cmp_eq_u32 ttmp9, s1
	v_mad_co_u64_u32 v[5:6], null, s60, v10, v[55:56]
	s_cselect_b32 s44, s72, 0
	v_lshlrev_b32_e32 v15, 2, v10
	s_cmp_lg_u32 s44, 0
	v_add3_u32 v4, v4, v7, v8
	s_cselect_b32 s73, -1, 0
	s_cmp_eq_u32 s44, 0
	v_mad_co_u64_u32 v[6:7], null, s61, v10, v[6:7]
	s_cselect_b32 s1, -1, 0
	s_ashr_i32 s5, ttmp9, 31
	s_mul_u64 s[46:47], s[42:43], s[2:3]
	s_mul_u64 s[4:5], s[2:3], s[4:5]
	v_sub_co_u32 v7, s2, 0, v55
	s_sub_co_i32 s15, s44, 32
	v_sub_co_ci_u32_e64 v8, null, 0, 0, s2
	v_add_nc_u32_e32 v12, 8, v10
	v_add_nc_u32_e32 v13, 16, v10
	v_cmp_gt_i32_e64 s2, s44, v10
	v_mul_u32_u24_e32 v18, 0x108, v10
	v_add_nc_u32_e32 v14, 24, v10
	v_mul_u32_u24_e32 v20, 0x420, v10
	v_or_b32_e32 v21, 2, v15
	v_lshlrev_b32_e32 v23, 3, v10
	v_cmp_gt_i32_e64 s12, s15, v10
	v_cmp_eq_u32_e64 s16, 1, v10
	v_mul_i32_i24_e32 v106, 0xffffffe8, v10
	v_lshrrev_b32_e32 v10, 4, v9
	s_lshl_b64 s[4:5], s[4:5], 3
	v_cmp_gt_i32_e64 s3, s44, v12
	s_add_nc_u64 s[48:49], s[6:7], s[4:5]
	v_cmp_gt_i32_e64 s4, s44, v13
	v_cmp_gt_u32_e64 s6, v15, v55
	v_or_b32_e32 v19, 1, v15
	v_cmp_ge_u32_e64 s7, v15, v55
	v_or_b32_e32 v15, 3, v15
	v_cmp_gt_u32_e64 s8, v21, v55
	v_cmp_gt_i32_e64 s13, s15, v12
	v_cmp_gt_i32_e64 s14, s15, v13
	v_and_b32_e32 v12, 15, v0
	v_lshlrev_b32_e32 v21, 5, v11
	v_lshlrev_b32_e32 v13, 5, v10
	v_cmp_gt_i32_e32 vcc_lo, s44, v99
	v_mul_u32_u24_e32 v22, 33, v55
	v_cmp_gt_u32_e64 s9, v15, v55
	v_or_b32_e32 v15, 32, v55
	v_and_b32_e32 v0, 48, v0
	v_mad_u32_u24 v111, 0x218, v12, v13
	v_add_nc_u32_e32 v13, 0x110, v21
	s_add_co_i32 s17, ttmp9, 1
	s_or_b32 s74, s1, vcc_lo
	s_ashr_i32 s19, s18, 31
	s_ashr_i32 s45, s44, 31
	s_lshl_b64 s[50:51], s[60:61], 6
	s_lshl_b64 s[52:53], s[60:61], 7
	;; [unrolled: 1-line block ×3, first 2 shown]
	v_and_b32_e32 v16, 0x7fe0, v9
	v_cmp_gt_i32_e64 s5, s44, v14
	v_lshl_add_u32 v105, v22, 3, v23
	v_cmp_gt_u32_e64 s10, 32, v9
	v_cmp_gt_i32_e64 s11, s44, v15
	v_cmp_gt_i32_e64 s15, s15, v14
	s_cmp_lt_u32 s17, s42
	v_lshlrev_b32_e32 v0, 3, v0
	v_or_b32_e32 v14, 0x78, v100
	v_mul_i32_i24_e32 v22, 0xffffffe8, v10
	v_cmp_gt_u32_e64 s17, 64, v9
	v_mad_co_u64_u32 v[9:10], null, s60, v13, 0
	v_add_nc_u32_e32 v15, 0x118, v21
	v_cmp_eq_u32_e64 s0, 0, v11
	v_lshlrev_b32_e32 v107, 2, v11
	v_mad_u32_u24 v110, 0x860, v11, v100
	v_mad_u32_u24 v112, 0x218, v12, v0
	;; [unrolled: 1-line block ×4, first 2 shown]
	v_mad_co_u64_u32 v[11:12], null, s60, v15, 0
	v_mov_b32_e32 v0, v10
	v_lshlrev_b64_e32 v[57:58], 3, v[5:6]
	v_add_nc_u32_e32 v104, 0x2380, v16
	v_mul_u32_u24_e32 v19, 0x108, v19
	s_wait_alu 0xfffe
	s_mul_u64 s[56:57], s[40:41], s[18:19]
	v_mad_co_u64_u32 v[13:14], null, s61, v13, v[0:1]
	v_dual_mov_b32 v0, v12 :: v_dual_lshlrev_b32 v17, 3, v55
	v_add_nc_u32_e32 v14, 0x100, v21
	v_sub_co_u32 v132, vcc_lo, v9, v57
	s_delay_alu instid0(VALU_DEP_3) | instskip(NEXT) | instid1(VALU_DEP_4)
	v_mad_co_u64_u32 v[9:10], null, s61, v15, v[0:1]
	v_lshl_or_b32 v102, v55, 8, v17
	v_sub_co_ci_u32_e64 v133, null, v13, v58, vcc_lo
	v_mad_co_u64_u32 v[12:13], null, s60, v14, 0
	s_delay_alu instid0(VALU_DEP_3)
	v_add_nc_u32_e32 v103, v102, v16
	v_add_nc_u32_e32 v16, 0x108, v21
	;; [unrolled: 1-line block ×3, first 2 shown]
	v_sub_co_u32 v134, vcc_lo, v11, v57
	s_wait_alu 0xfffd
	v_sub_co_ci_u32_e64 v135, null, v9, v58, vcc_lo
	v_mad_co_u64_u32 v[5:6], null, s60, v16, 0
	v_lshlrev_b64_e32 v[59:60], 3, v[3:4]
	v_lshlrev_b64_e32 v[61:62], 3, v[1:2]
	;; [unrolled: 1-line block ×3, first 2 shown]
	v_cmp_gt_i32_e64 s1, s44, v55
	v_add_nc_u32_e32 v164, v111, v22
	v_lshlrev_b32_e32 v166, 3, v55
	v_mov_b32_e32 v0, v6
	v_mov_b32_e32 v6, v13
	v_sub_co_u32 v136, vcc_lo, v5, v57
	v_add_nc_u32_e32 v165, v17, v18
	s_delay_alu instid0(VALU_DEP_4) | instskip(NEXT) | instid1(VALU_DEP_4)
	v_mad_co_u64_u32 v[9:10], null, s61, v16, v[0:1]
	v_mad_co_u64_u32 v[13:14], null, s61, v14, v[6:7]
	;; [unrolled: 1-line block ×3, first 2 shown]
	v_add_nc_u32_e32 v14, 0x198, v21
	v_add_nc_u32_e32 v167, v17, v20
	s_wait_alu 0xfffd
	v_sub_co_ci_u32_e64 v137, null, v9, v58, vcc_lo
	v_sub_co_u32 v138, vcc_lo, v12, v57
	v_mad_co_u64_u32 v[5:6], null, s60, v14, 0
	v_dual_mov_b32 v0, v11 :: v_dual_add_nc_u32 v9, 0x188, v21
	s_wait_alu 0xfffd
	v_sub_co_ci_u32_e64 v139, null, v13, v58, vcc_lo
	v_sub_co_u32 v140, vcc_lo, v10, v57
	s_delay_alu instid0(VALU_DEP_3) | instskip(SKIP_4) | instid1(VALU_DEP_4)
	v_mad_co_u64_u32 v[11:12], null, s61, v15, v[0:1]
	v_mov_b32_e32 v0, v6
	v_add_nc_u32_e32 v6, 0x180, v21
	v_mad_co_u64_u32 v[12:13], null, s60, v9, 0
	v_add_nc_u32_e32 v130, v102, v23
	v_mad_co_u64_u32 v[14:15], null, s61, v14, v[0:1]
	s_delay_alu instid0(VALU_DEP_4)
	v_mad_co_u64_u32 v[15:16], null, s60, v6, 0
	s_wait_alu 0xfffd
	v_sub_co_ci_u32_e64 v141, null, v11, v58, vcc_lo
	v_mov_b32_e32 v0, v13
	v_sub_co_u32 v142, vcc_lo, v5, v57
	v_add_nc_u32_e32 v13, 0x210, v21
	v_mov_b32_e32 v5, v16
	v_add_nc_u32_e32 v101, 0x2380, v100
	v_mad_co_u64_u32 v[9:10], null, s61, v9, v[0:1]
	s_delay_alu instid0(VALU_DEP_4)
	v_mad_co_u64_u32 v[10:11], null, s60, v13, 0
	s_wait_alu 0xfffd
	v_sub_co_ci_u32_e64 v143, null, v14, v58, vcc_lo
	v_add_nc_u32_e32 v14, 0x218, v21
	v_mad_co_u64_u32 v[5:6], null, s61, v6, v[5:6]
	v_sub_co_u32 v144, vcc_lo, v12, v57
	v_mov_b32_e32 v0, v11
	s_delay_alu instid0(VALU_DEP_4)
	v_mad_co_u64_u32 v[11:12], null, s60, v14, 0
	s_wait_alu 0xfffd
	v_sub_co_ci_u32_e64 v145, null, v9, v58, vcc_lo
	v_add_nc_u32_e32 v9, 0x208, v21
	v_sub_co_u32 v146, vcc_lo, v15, v57
	s_wait_alu 0xfffd
	v_sub_co_ci_u32_e64 v147, null, v5, v58, vcc_lo
	v_mad_co_u64_u32 v[5:6], null, s61, v13, v[0:1]
	v_mov_b32_e32 v0, v12
	v_mad_co_u64_u32 v[12:13], null, s60, v9, 0
	v_sub_co_u32 v148, vcc_lo, v10, v57
	s_delay_alu instid0(VALU_DEP_3) | instskip(SKIP_2) | instid1(VALU_DEP_4)
	v_mad_co_u64_u32 v[14:15], null, s61, v14, v[0:1]
	s_wait_alu 0xfffd
	v_sub_co_ci_u32_e64 v149, null, v5, v58, vcc_lo
	v_mov_b32_e32 v0, v13
	v_add_nc_u32_e32 v6, 0x200, v21
	v_add_nc_u32_e32 v131, 0x2380, v23
	v_sub_co_u32 v150, vcc_lo, v11, v57
	s_delay_alu instid0(VALU_DEP_4) | instskip(NEXT) | instid1(VALU_DEP_4)
	v_mad_co_u64_u32 v[9:10], null, s61, v9, v[0:1]
	v_mad_co_u64_u32 v[15:16], null, s60, v6, 0
	v_add_nc_u32_e32 v23, 0x298, v21
	s_wait_alu 0xfffd
	v_sub_co_ci_u32_e64 v151, null, v14, v58, vcc_lo
	v_sub_co_u32 v152, vcc_lo, v12, v57
	s_wait_alu 0xfffd
	v_sub_co_ci_u32_e64 v153, null, v9, v58, vcc_lo
	v_dual_mov_b32 v5, v16 :: v_dual_add_nc_u32 v16, 0x290, v21
	v_add_nc_u32_e32 v9, 0x288, v21
	v_mad_co_u64_u32 v[13:14], null, s60, v23, 0
	s_delay_alu instid0(VALU_DEP_3) | instskip(NEXT) | instid1(VALU_DEP_4)
	v_mad_co_u64_u32 v[5:6], null, s61, v6, v[5:6]
	v_mad_co_u64_u32 v[10:11], null, s60, v16, 0
	v_sub_co_u32 v154, vcc_lo, v15, v57
	v_add_nc_u32_e32 v108, 0x2180, v100
	v_or_b32_e32 v114, 1, v107
	s_wait_alu 0xfffd
	v_sub_co_ci_u32_e64 v155, null, v5, v58, vcc_lo
	v_mov_b32_e32 v0, v11
	v_mad_co_u64_u32 v[11:12], null, s60, v9, 0
	v_add_nc_u32_e32 v109, 0x2180, v21
	v_add_nc_u32_e32 v21, 0x280, v21
	v_mov_b32_e32 v5, v14
	v_mad_co_u64_u32 v[14:15], null, s61, v16, v[0:1]
	v_sub_co_u32 v156, vcc_lo, v10, v57
	s_delay_alu instid0(VALU_DEP_4)
	v_mad_co_u64_u32 v[15:16], null, s60, v21, 0
	v_mov_b32_e32 v0, v12
	v_mad_co_u64_u32 v[5:6], null, s61, v23, v[5:6]
	v_add_nc_u32_e32 v117, 16, v107
	s_wait_alu 0xfffd
	v_sub_co_ci_u32_e64 v157, null, v14, v58, vcc_lo
	v_mad_co_u64_u32 v[9:10], null, s61, v9, v[0:1]
	v_mov_b32_e32 v0, v16
	v_sub_co_u32 v158, vcc_lo, v13, v57
	s_wait_alu 0xfffd
	v_sub_co_ci_u32_e64 v159, null, v5, v58, vcc_lo
	s_delay_alu instid0(VALU_DEP_3)
	v_mad_co_u64_u32 v[5:6], null, s61, v21, v[0:1]
	v_sub_co_u32 v160, vcc_lo, v11, v57
	s_wait_alu 0xfffd
	v_sub_co_ci_u32_e64 v161, null, v9, v58, vcc_lo
	v_sub_co_u32 v162, vcc_lo, v15, v57
	v_or_b32_e32 v115, 2, v107
	v_or_b32_e32 v116, 3, v107
	v_add_nc_u32_e32 v118, 17, v107
	v_add_nc_u32_e32 v119, 18, v107
	;; [unrolled: 1-line block ×11, first 2 shown]
	s_wait_alu 0xfffd
	v_sub_co_ci_u32_e64 v163, null, v5, v58, vcc_lo
	v_add_nc_u32_e32 v168, v17, v19
	s_mul_u64 s[62:63], s[60:61], s[18:19]
	s_sub_nc_u64 s[66:67], 0, s[56:57]
	s_mul_u64 s[54:55], s[60:61], 0xc0
	s_cselect_b32 s43, -1, 0
	s_add_co_i32 s75, s42, -2
	s_and_b32 s76, s0, s74
	s_sub_nc_u64 s[56:57], 0, s[44:45]
	s_add_co_i32 s77, s18, 64
	s_lshl_b64 s[58:59], s[60:61], 9
	s_lshl_b64 s[30:31], s[30:31], 3
	;; [unrolled: 1-line block ×7, first 2 shown]
	s_branch .LBB160_4
.LBB160_2:                              ;   in Loop: Header=BB160_4 Depth=1
	s_wait_alu 0xfffe
	s_or_b32 exec_lo, exec_lo, s18
.LBB160_3:                              ;   in Loop: Header=BB160_4 Depth=1
	s_add_co_i32 s34, s34, 0x10000
	s_delay_alu instid0(SALU_CYCLE_1)
	s_cmp_lt_u32 s34, s33
	s_cbranch_scc0 .LBB160_131
.LBB160_4:                              ; =>This Loop Header: Depth=1
                                        ;     Child Loop BB160_71 Depth 2
	s_mul_u64 s[18:19], s[22:23], s[34:35]
	s_mul_u64 s[68:69], s[38:39], s[34:35]
	s_wait_alu 0xfffe
	s_lshl_b64 s[18:19], s[18:19], 3
	s_lshl_b64 s[68:69], s[68:69], 3
	s_wait_alu 0xfffe
	s_add_nc_u64 s[18:19], s[20:21], s[18:19]
	s_add_nc_u64 s[68:69], s[36:37], s[68:69]
	s_clause 0x1
	global_load_b64 v[0:1], v56, s[18:19]
	global_load_b64 v[2:3], v56, s[68:69]
	s_wait_loadcnt 0x1
	v_cmp_eq_f64_e64 s18, 0, v[0:1]
	s_wait_loadcnt 0x0
	v_cmp_eq_f64_e32 vcc_lo, 1.0, v[2:3]
	s_wait_alu 0xfffe
	s_and_b32 s19, s18, vcc_lo
	s_wait_alu 0xfffe
	s_and_b32 vcc_lo, exec_lo, s19
	s_wait_alu 0xfffe
	s_cbranch_vccnz .LBB160_3
; %bb.5:                                ;   in Loop: Header=BB160_4 Depth=1
	s_and_b32 vcc_lo, exec_lo, s18
	s_wait_alu 0xfffe
	s_cbranch_vccz .LBB160_7
; %bb.6:                                ;   in Loop: Header=BB160_4 Depth=1
	s_cbranch_execnz .LBB160_3
	s_branch .LBB160_8
.LBB160_7:                              ;   in Loop: Header=BB160_4 Depth=1
.LBB160_8:                              ;   in Loop: Header=BB160_4 Depth=1
	s_lshl_b64 s[18:19], s[34:35], 3
	s_wait_alu 0xfffe
	s_add_nc_u64 s[68:69], s[28:29], s[18:19]
	s_add_nc_u64 s[18:19], s[24:25], s[18:19]
	s_clause 0x1
	global_load_b64 v[2:3], v56, s[68:69]
	global_load_b64 v[0:1], v56, s[18:19]
	s_wait_loadcnt 0x1
	v_add_co_u32 v2, vcc_lo, v2, s30
	s_wait_alu 0xfffd
	v_add_co_ci_u32_e64 v3, null, s31, v3, vcc_lo
	s_delay_alu instid0(VALU_DEP_2) | instskip(SKIP_1) | instid1(VALU_DEP_2)
	v_add_co_u32 v12, vcc_lo, v2, v59
	s_wait_alu 0xfffd
	v_add_co_ci_u32_e64 v13, null, v3, v60, vcc_lo
	s_and_saveexec_b32 s18, s0
	s_cbranch_execz .LBB160_12
; %bb.9:                                ;   in Loop: Header=BB160_4 Depth=1
	v_mov_b32_e32 v2, 0
	v_mov_b32_e32 v3, 0
	s_and_saveexec_b32 s19, s74
	s_cbranch_execz .LBB160_11
; %bb.10:                               ;   in Loop: Header=BB160_4 Depth=1
	flat_load_b64 v[2:3], v[12:13]
.LBB160_11:                             ;   in Loop: Header=BB160_4 Depth=1
	s_wait_alu 0xfffe
	s_or_b32 exec_lo, exec_lo, s19
	s_wait_loadcnt_dscnt 0x0
	ds_store_b64 v101, v[2:3]
.LBB160_12:                             ;   in Loop: Header=BB160_4 Depth=1
	s_wait_alu 0xfffe
	s_or_b32 exec_lo, exec_lo, s18
	s_wait_loadcnt 0x0
	v_add_co_u32 v0, vcc_lo, v0, s26
	s_wait_alu 0xfffd
	v_add_co_ci_u32_e64 v1, null, s27, v1, vcc_lo
	s_mov_b32 s18, -1
	v_add_co_u32 v0, vcc_lo, v0, s60
	s_wait_alu 0xfffd
	v_add_co_ci_u32_e64 v1, null, s61, v1, vcc_lo
	s_delay_alu instid0(VALU_DEP_2) | instskip(SKIP_1) | instid1(VALU_DEP_2)
	v_add_co_u32 v0, vcc_lo, v0, v57
	s_wait_alu 0xfffd
	v_add_co_ci_u32_e64 v1, null, v1, v58, vcc_lo
	s_delay_alu instid0(VALU_DEP_2) | instskip(SKIP_1) | instid1(VALU_DEP_2)
	v_add_co_u32 v2, vcc_lo, v0, s62
	s_wait_alu 0xfffd
	v_add_co_ci_u32_e64 v3, null, s63, v1, vcc_lo
	s_and_b32 vcc_lo, exec_lo, s73
                                        ; implicit-def: $vgpr0_vgpr1
	s_wait_alu 0xfffe
	s_cbranch_vccz .LBB160_22
; %bb.13:                               ;   in Loop: Header=BB160_4 Depth=1
	v_add_co_u32 v0, vcc_lo, v2, v63
	s_wait_alu 0xfffd
	v_add_co_ci_u32_e64 v1, null, v3, v64, vcc_lo
	s_lshl_b64 s[18:19], s[44:45], 3
	v_mov_b32_e32 v6, 0
	s_wait_alu 0xfffe
	v_add_co_u32 v0, vcc_lo, v0, s18
	s_wait_alu 0xfffd
	v_add_co_ci_u32_e64 v1, null, s19, v1, vcc_lo
	v_dual_mov_b32 v7, 0 :: v_dual_mov_b32 v4, 0
	s_delay_alu instid0(VALU_DEP_3) | instskip(SKIP_1) | instid1(VALU_DEP_3)
	v_add_co_u32 v0, vcc_lo, v0, -8
	s_wait_alu 0xfffd
	v_add_co_ci_u32_e64 v1, null, -1, v1, vcc_lo
	v_mov_b32_e32 v5, 0
	s_delay_alu instid0(VALU_DEP_3) | instskip(NEXT) | instid1(VALU_DEP_3)
	v_cndmask_b32_e64 v0, v0, v2, s1
	v_cndmask_b32_e64 v1, v1, v3, s1
	s_and_saveexec_b32 s18, s2
	s_cbranch_execz .LBB160_15
; %bb.14:                               ;   in Loop: Header=BB160_4 Depth=1
	flat_load_b64 v[4:5], v[0:1]
.LBB160_15:                             ;   in Loop: Header=BB160_4 Depth=1
	s_wait_alu 0xfffe
	s_or_b32 exec_lo, exec_lo, s18
	s_wait_loadcnt_dscnt 0x0
	ds_store_b64 v165, v[4:5]
	s_and_saveexec_b32 s18, s3
	s_cbranch_execz .LBB160_17
; %bb.16:                               ;   in Loop: Header=BB160_4 Depth=1
	v_add_co_u32 v4, vcc_lo, v0, s50
	s_wait_alu 0xfffd
	v_add_co_ci_u32_e64 v5, null, s51, v1, vcc_lo
	flat_load_b64 v[6:7], v[4:5]
.LBB160_17:                             ;   in Loop: Header=BB160_4 Depth=1
	s_wait_alu 0xfffe
	s_or_b32 exec_lo, exec_lo, s18
	v_mov_b32_e32 v4, 0
	v_dual_mov_b32 v5, 0 :: v_dual_mov_b32 v8, 0
	v_mov_b32_e32 v9, 0
	s_wait_loadcnt_dscnt 0x0
	ds_store_b64 v165, v[6:7] offset:2112
	s_and_saveexec_b32 s18, s4
	s_cbranch_execz .LBB160_19
; %bb.18:                               ;   in Loop: Header=BB160_4 Depth=1
	v_add_co_u32 v6, vcc_lo, v0, s52
	s_wait_alu 0xfffd
	v_add_co_ci_u32_e64 v7, null, s53, v1, vcc_lo
	flat_load_b64 v[8:9], v[6:7]
.LBB160_19:                             ;   in Loop: Header=BB160_4 Depth=1
	s_wait_alu 0xfffe
	s_or_b32 exec_lo, exec_lo, s18
	s_wait_loadcnt_dscnt 0x0
	ds_store_b64 v165, v[8:9] offset:4224
	s_and_saveexec_b32 s18, s5
	s_cbranch_execz .LBB160_21
; %bb.20:                               ;   in Loop: Header=BB160_4 Depth=1
	v_add_co_u32 v4, vcc_lo, v0, s54
	s_wait_alu 0xfffd
	v_add_co_ci_u32_e64 v5, null, s55, v1, vcc_lo
	flat_load_b64 v[4:5], v[4:5]
.LBB160_21:                             ;   in Loop: Header=BB160_4 Depth=1
	s_wait_alu 0xfffe
	s_or_b32 exec_lo, exec_lo, s18
	v_add_co_u32 v0, vcc_lo, v0, v166
	s_wait_alu 0xfffd
	v_add_co_ci_u32_e64 v1, null, 0, v1, vcc_lo
	s_lshl_b64 s[18:19], s[56:57], 3
	s_wait_loadcnt_dscnt 0x0
	ds_store_b64 v165, v[4:5] offset:6336
	s_wait_alu 0xfffe
	v_add_co_u32 v0, vcc_lo, v0, s18
	s_wait_alu 0xfffd
	v_add_co_ci_u32_e64 v1, null, s19, v1, vcc_lo
	s_mov_b32 s18, 0
	v_add_co_u32 v0, vcc_lo, v0, 8
	s_wait_alu 0xfffd
	v_add_co_ci_u32_e64 v1, null, 0, v1, vcc_lo
	s_delay_alu instid0(VALU_DEP_2) | instskip(NEXT) | instid1(VALU_DEP_2)
	v_cndmask_b32_e64 v0, v0, v2, s1
	v_cndmask_b32_e64 v1, v1, v3, s1
.LBB160_22:                             ;   in Loop: Header=BB160_4 Depth=1
	s_wait_alu 0xfffe
	s_and_b32 vcc_lo, exec_lo, s18
	s_wait_alu 0xfffe
	s_cbranch_vccz .LBB160_24
; %bb.23:                               ;   in Loop: Header=BB160_4 Depth=1
	v_add_co_u32 v0, vcc_lo, v2, s50
	s_wait_alu 0xfffd
	v_add_co_ci_u32_e64 v1, null, s51, v3, vcc_lo
	s_delay_alu instid0(VALU_DEP_2) | instskip(SKIP_1) | instid1(VALU_DEP_2)
	v_add_co_u32 v4, vcc_lo, v0, s50
	s_wait_alu 0xfffd
	v_add_co_ci_u32_e64 v5, null, s51, v1, vcc_lo
	s_delay_alu instid0(VALU_DEP_2) | instskip(SKIP_1) | instid1(VALU_DEP_2)
	v_add_co_u32 v6, vcc_lo, v4, s50
	s_wait_alu 0xfffd
	v_add_co_ci_u32_e64 v7, null, s51, v5, vcc_lo
	s_clause 0x3
	flat_load_b64 v[8:9], v[2:3]
	flat_load_b64 v[10:11], v[0:1]
	;; [unrolled: 1-line block ×4, first 2 shown]
	v_dual_mov_b32 v0, v2 :: v_dual_mov_b32 v1, v3
	s_wait_loadcnt_dscnt 0x303
	ds_store_b64 v165, v[8:9]
	s_wait_loadcnt_dscnt 0x203
	ds_store_b64 v165, v[10:11] offset:2112
	s_wait_loadcnt_dscnt 0x103
	ds_store_b64 v165, v[4:5] offset:4224
	;; [unrolled: 2-line block ×3, first 2 shown]
.LBB160_24:                             ;   in Loop: Header=BB160_4 Depth=1
	s_wait_dscnt 0x0
	s_barrier_signal -1
	s_barrier_wait -1
	global_inv scope:SCOPE_SE
	s_and_saveexec_b32 s18, s6
	s_cbranch_execnz .LBB160_125
; %bb.25:                               ;   in Loop: Header=BB160_4 Depth=1
	s_wait_alu 0xfffe
	s_or_b32 exec_lo, exec_lo, s18
	s_and_saveexec_b32 s18, s7
	s_cbranch_execnz .LBB160_126
.LBB160_26:                             ;   in Loop: Header=BB160_4 Depth=1
	s_wait_alu 0xfffe
	s_or_b32 exec_lo, exec_lo, s18
	s_and_saveexec_b32 s18, s8
	s_cbranch_execnz .LBB160_127
.LBB160_27:                             ;   in Loop: Header=BB160_4 Depth=1
	s_wait_alu 0xfffe
	s_or_b32 exec_lo, exec_lo, s18
	s_and_saveexec_b32 s18, s9
	s_cbranch_execz .LBB160_29
.LBB160_28:                             ;   in Loop: Header=BB160_4 Depth=1
	ds_load_b64 v[2:3], v168 offset:528
	s_wait_dscnt 0x0
	ds_store_b64 v103, v[2:3] offset:24
.LBB160_29:                             ;   in Loop: Header=BB160_4 Depth=1
	s_wait_alu 0xfffe
	s_or_b32 exec_lo, exec_lo, s18
	s_wait_loadcnt_dscnt 0x0
	s_barrier_signal -1
	s_barrier_wait -1
	global_inv scope:SCOPE_SE
	ds_load_b64 v[10:11], v167
	ds_load_b128 v[2:5], v104
	ds_load_b128 v[6:9], v104 offset:16
	ds_load_b64 v[18:19], v168 offset:528
	ds_load_2addr_b64 v[14:17], v168 offset1:33
	v_mov_b32_e32 v65, 0
	v_mov_b32_e32 v66, 0
	s_wait_loadcnt_dscnt 0x0
	s_barrier_signal -1
	s_barrier_wait -1
	global_inv scope:SCOPE_SE
	v_fma_f64 v[2:3], v[10:11], v[2:3], 0
	s_delay_alu instid0(VALU_DEP_1) | instskip(NEXT) | instid1(VALU_DEP_1)
	v_fma_f64 v[2:3], v[14:15], v[4:5], v[2:3]
	v_fma_f64 v[2:3], v[16:17], v[6:7], v[2:3]
	s_delay_alu instid0(VALU_DEP_1)
	v_fma_f64 v[2:3], v[18:19], v[8:9], v[2:3]
	ds_store_b64 v105, v[2:3]
	s_wait_loadcnt_dscnt 0x0
	s_barrier_signal -1
	s_barrier_wait -1
	global_inv scope:SCOPE_SE
	s_and_saveexec_b32 s18, s10
	s_cbranch_execz .LBB160_31
; %bb.30:                               ;   in Loop: Header=BB160_4 Depth=1
	ds_load_2addr_b64 v[2:5], v102 offset1:1
	ds_load_2addr_b64 v[6:9], v102 offset0:2 offset1:3
	s_wait_dscnt 0x1
	v_add_f64_e32 v[2:3], v[2:3], v[4:5]
	s_wait_dscnt 0x0
	s_delay_alu instid0(VALU_DEP_1) | instskip(NEXT) | instid1(VALU_DEP_1)
	v_add_f64_e32 v[2:3], v[2:3], v[6:7]
	v_add_f64_e32 v[10:11], v[2:3], v[8:9]
	ds_load_2addr_b64 v[2:5], v102 offset0:4 offset1:5
	ds_load_2addr_b64 v[6:9], v102 offset0:6 offset1:7
	s_wait_dscnt 0x1
	v_add_f64_e32 v[2:3], v[10:11], v[2:3]
	s_delay_alu instid0(VALU_DEP_1) | instskip(SKIP_1) | instid1(VALU_DEP_1)
	v_add_f64_e32 v[2:3], v[2:3], v[4:5]
	s_wait_dscnt 0x0
	v_add_f64_e32 v[2:3], v[2:3], v[6:7]
	s_delay_alu instid0(VALU_DEP_1)
	v_add_f64_e32 v[65:66], v[2:3], v[8:9]
.LBB160_31:                             ;   in Loop: Header=BB160_4 Depth=1
	s_wait_alu 0xfffe
	s_or_b32 exec_lo, exec_lo, s18
	v_add_co_u32 v4, vcc_lo, v0, s64
	s_wait_alu 0xfffd
	v_add_co_ci_u32_e64 v5, null, s65, v1, vcc_lo
	s_mov_b32 s18, -1
	v_add_co_u32 v2, vcc_lo, 0x100, v4
	s_wait_alu 0xfffd
	v_add_co_ci_u32_e64 v3, null, 0, v5, vcc_lo
	s_and_b32 vcc_lo, exec_lo, s73
	s_wait_loadcnt 0x0
	s_barrier_signal -1
	s_barrier_wait -1
	global_inv scope:SCOPE_SE
                                        ; implicit-def: $vgpr0_vgpr1
	s_wait_alu 0xfffe
	s_cbranch_vccz .LBB160_41
; %bb.32:                               ;   in Loop: Header=BB160_4 Depth=1
	v_add_co_u32 v0, vcc_lo, v4, v63
	s_wait_alu 0xfffd
	v_add_co_ci_u32_e64 v1, null, v5, v64, vcc_lo
	s_lshl_b64 s[18:19], s[44:45], 3
	v_mov_b32_e32 v8, 0
	s_wait_alu 0xfffe
	v_add_co_u32 v0, vcc_lo, v0, s18
	s_wait_alu 0xfffd
	v_add_co_ci_u32_e64 v1, null, s19, v1, vcc_lo
	v_dual_mov_b32 v9, 0 :: v_dual_mov_b32 v6, 0
	s_delay_alu instid0(VALU_DEP_3) | instskip(SKIP_1) | instid1(VALU_DEP_3)
	v_add_co_u32 v0, vcc_lo, v0, -8
	s_wait_alu 0xfffd
	v_add_co_ci_u32_e64 v1, null, -1, v1, vcc_lo
	v_mov_b32_e32 v7, 0
	s_delay_alu instid0(VALU_DEP_3) | instskip(NEXT) | instid1(VALU_DEP_3)
	v_cndmask_b32_e64 v0, v0, v2, s11
	v_cndmask_b32_e64 v1, v1, v3, s11
	s_and_saveexec_b32 s18, s12
	s_cbranch_execz .LBB160_34
; %bb.33:                               ;   in Loop: Header=BB160_4 Depth=1
	flat_load_b64 v[6:7], v[0:1]
.LBB160_34:                             ;   in Loop: Header=BB160_4 Depth=1
	s_wait_alu 0xfffe
	s_or_b32 exec_lo, exec_lo, s18
	s_wait_loadcnt_dscnt 0x0
	ds_store_b64 v165, v[6:7]
	s_and_saveexec_b32 s18, s13
	s_cbranch_execz .LBB160_36
; %bb.35:                               ;   in Loop: Header=BB160_4 Depth=1
	v_add_co_u32 v6, vcc_lo, v0, s50
	s_wait_alu 0xfffd
	v_add_co_ci_u32_e64 v7, null, s51, v1, vcc_lo
	flat_load_b64 v[8:9], v[6:7]
.LBB160_36:                             ;   in Loop: Header=BB160_4 Depth=1
	s_wait_alu 0xfffe
	s_or_b32 exec_lo, exec_lo, s18
	v_mov_b32_e32 v6, 0
	v_dual_mov_b32 v7, 0 :: v_dual_mov_b32 v10, 0
	v_mov_b32_e32 v11, 0
	s_wait_loadcnt_dscnt 0x0
	ds_store_b64 v165, v[8:9] offset:2112
	s_and_saveexec_b32 s18, s14
	s_cbranch_execz .LBB160_38
; %bb.37:                               ;   in Loop: Header=BB160_4 Depth=1
	v_add_co_u32 v8, vcc_lo, v0, s52
	s_wait_alu 0xfffd
	v_add_co_ci_u32_e64 v9, null, s53, v1, vcc_lo
	flat_load_b64 v[10:11], v[8:9]
.LBB160_38:                             ;   in Loop: Header=BB160_4 Depth=1
	s_wait_alu 0xfffe
	s_or_b32 exec_lo, exec_lo, s18
	s_wait_loadcnt_dscnt 0x0
	ds_store_b64 v165, v[10:11] offset:4224
	s_and_saveexec_b32 s18, s15
	s_cbranch_execz .LBB160_40
; %bb.39:                               ;   in Loop: Header=BB160_4 Depth=1
	v_add_co_u32 v6, vcc_lo, v0, s54
	s_wait_alu 0xfffd
	v_add_co_ci_u32_e64 v7, null, s55, v1, vcc_lo
	flat_load_b64 v[6:7], v[6:7]
.LBB160_40:                             ;   in Loop: Header=BB160_4 Depth=1
	s_wait_alu 0xfffe
	s_or_b32 exec_lo, exec_lo, s18
	v_add_co_u32 v0, vcc_lo, v0, v166
	s_wait_alu 0xfffd
	v_add_co_ci_u32_e64 v1, null, 0, v1, vcc_lo
	s_lshl_b64 s[18:19], s[56:57], 3
	s_wait_loadcnt_dscnt 0x0
	ds_store_b64 v165, v[6:7] offset:6336
	s_wait_alu 0xfffe
	v_add_co_u32 v0, vcc_lo, v0, s18
	s_wait_alu 0xfffd
	v_add_co_ci_u32_e64 v1, null, s19, v1, vcc_lo
	s_mov_b32 s18, 0
	v_add_co_u32 v0, vcc_lo, 0x108, v0
	s_wait_alu 0xfffd
	v_add_co_ci_u32_e64 v1, null, 0, v1, vcc_lo
	s_delay_alu instid0(VALU_DEP_2) | instskip(NEXT) | instid1(VALU_DEP_2)
	v_cndmask_b32_e64 v0, v0, v2, s11
	v_cndmask_b32_e64 v1, v1, v3, s11
.LBB160_41:                             ;   in Loop: Header=BB160_4 Depth=1
	s_wait_alu 0xfffe
	s_and_b32 vcc_lo, exec_lo, s18
	s_wait_alu 0xfffe
	s_cbranch_vccz .LBB160_43
; %bb.42:                               ;   in Loop: Header=BB160_4 Depth=1
	v_add_co_u32 v0, vcc_lo, v4, s50
	s_wait_alu 0xfffd
	v_add_co_ci_u32_e64 v1, null, s51, v5, vcc_lo
	s_delay_alu instid0(VALU_DEP_2) | instskip(SKIP_1) | instid1(VALU_DEP_2)
	v_add_co_u32 v6, vcc_lo, v0, s50
	s_wait_alu 0xfffd
	v_add_co_ci_u32_e64 v7, null, s51, v1, vcc_lo
	s_delay_alu instid0(VALU_DEP_2) | instskip(SKIP_1) | instid1(VALU_DEP_2)
	v_add_co_u32 v8, vcc_lo, v6, s50
	s_wait_alu 0xfffd
	v_add_co_ci_u32_e64 v9, null, s51, v7, vcc_lo
	s_clause 0x3
	flat_load_b64 v[4:5], v[4:5] offset:256
	flat_load_b64 v[10:11], v[0:1] offset:256
	;; [unrolled: 1-line block ×4, first 2 shown]
	v_dual_mov_b32 v0, v2 :: v_dual_mov_b32 v1, v3
	s_wait_loadcnt_dscnt 0x303
	ds_store_b64 v165, v[4:5]
	s_wait_loadcnt_dscnt 0x203
	ds_store_b64 v165, v[10:11] offset:2112
	s_wait_loadcnt_dscnt 0x103
	ds_store_b64 v165, v[6:7] offset:4224
	;; [unrolled: 2-line block ×3, first 2 shown]
.LBB160_43:                             ;   in Loop: Header=BB160_4 Depth=1
	s_wait_loadcnt_dscnt 0x0
	s_barrier_signal -1
	s_barrier_wait -1
	global_inv scope:SCOPE_SE
	s_and_saveexec_b32 s18, s6
	s_cbranch_execnz .LBB160_128
; %bb.44:                               ;   in Loop: Header=BB160_4 Depth=1
	s_wait_alu 0xfffe
	s_or_b32 exec_lo, exec_lo, s18
	s_and_saveexec_b32 s18, s7
	s_cbranch_execnz .LBB160_129
.LBB160_45:                             ;   in Loop: Header=BB160_4 Depth=1
	s_wait_alu 0xfffe
	s_or_b32 exec_lo, exec_lo, s18
	s_and_saveexec_b32 s18, s8
	s_cbranch_execnz .LBB160_130
.LBB160_46:                             ;   in Loop: Header=BB160_4 Depth=1
	s_wait_alu 0xfffe
	s_or_b32 exec_lo, exec_lo, s18
	s_and_saveexec_b32 s18, s9
	s_cbranch_execz .LBB160_48
.LBB160_47:                             ;   in Loop: Header=BB160_4 Depth=1
	ds_load_b64 v[2:3], v168 offset:528
	s_wait_dscnt 0x0
	ds_store_b64 v103, v[2:3] offset:24
.LBB160_48:                             ;   in Loop: Header=BB160_4 Depth=1
	s_wait_alu 0xfffe
	s_or_b32 exec_lo, exec_lo, s18
	s_wait_loadcnt_dscnt 0x0
	s_barrier_signal -1
	s_barrier_wait -1
	global_inv scope:SCOPE_SE
	ds_load_b64 v[10:11], v167
	ds_load_b128 v[2:5], v104 offset:256
	ds_load_b128 v[6:9], v104 offset:272
	ds_load_b64 v[18:19], v168 offset:528
	ds_load_2addr_b64 v[14:17], v168 offset1:33
	s_wait_loadcnt_dscnt 0x0
	s_barrier_signal -1
	s_barrier_wait -1
	global_inv scope:SCOPE_SE
	v_fma_f64 v[2:3], v[10:11], v[2:3], 0
	s_delay_alu instid0(VALU_DEP_1) | instskip(NEXT) | instid1(VALU_DEP_1)
	v_fma_f64 v[2:3], v[14:15], v[4:5], v[2:3]
	v_fma_f64 v[2:3], v[16:17], v[6:7], v[2:3]
	s_delay_alu instid0(VALU_DEP_1)
	v_fma_f64 v[2:3], v[18:19], v[8:9], v[2:3]
	ds_store_b64 v105, v[2:3]
	s_wait_loadcnt_dscnt 0x0
	s_barrier_signal -1
	s_barrier_wait -1
	global_inv scope:SCOPE_SE
	s_and_saveexec_b32 s18, s16
	s_cbranch_execz .LBB160_50
; %bb.49:                               ;   in Loop: Header=BB160_4 Depth=1
	ds_load_2addr_b64 v[2:5], v102 offset1:1
	ds_load_2addr_b64 v[6:9], v102 offset0:2 offset1:3
	s_wait_dscnt 0x1
	v_add_f64_e32 v[2:3], v[2:3], v[4:5]
	s_wait_dscnt 0x0
	s_delay_alu instid0(VALU_DEP_1) | instskip(NEXT) | instid1(VALU_DEP_1)
	v_add_f64_e32 v[2:3], v[2:3], v[6:7]
	v_add_f64_e32 v[10:11], v[2:3], v[8:9]
	ds_load_2addr_b64 v[2:5], v102 offset0:4 offset1:5
	ds_load_2addr_b64 v[6:9], v102 offset0:6 offset1:7
	s_wait_dscnt 0x1
	v_add_f64_e32 v[2:3], v[10:11], v[2:3]
	s_delay_alu instid0(VALU_DEP_1) | instskip(SKIP_1) | instid1(VALU_DEP_1)
	v_add_f64_e32 v[2:3], v[2:3], v[4:5]
	s_wait_dscnt 0x0
	v_add_f64_e32 v[2:3], v[2:3], v[6:7]
	s_delay_alu instid0(VALU_DEP_1)
	v_add_f64_e32 v[65:66], v[2:3], v[8:9]
.LBB160_50:                             ;   in Loop: Header=BB160_4 Depth=1
	s_wait_alu 0xfffe
	s_or_b32 exec_lo, exec_lo, s18
	v_add_co_u32 v2, vcc_lo, 0xffffff00, v0
	s_wait_alu 0xfffd
	v_add_co_ci_u32_e64 v3, null, -1, v1, vcc_lo
	s_and_b32 vcc_lo, exec_lo, s73
	s_mov_b32 s18, -1
	s_wait_loadcnt 0x0
	s_barrier_signal -1
	s_barrier_wait -1
	global_inv scope:SCOPE_SE
                                        ; implicit-def: $vgpr14_vgpr15
	s_wait_alu 0xfffe
	s_cbranch_vccz .LBB160_60
; %bb.51:                               ;   in Loop: Header=BB160_4 Depth=1
	v_add_co_u32 v4, vcc_lo, v0, v63
	s_wait_alu 0xfffd
	v_add_co_ci_u32_e64 v5, null, v1, v64, vcc_lo
	s_lshl_b64 s[18:19], s[44:45], 3
	v_mov_b32_e32 v8, 0
	s_wait_alu 0xfffe
	v_add_co_u32 v4, vcc_lo, v4, s18
	s_wait_alu 0xfffd
	v_add_co_ci_u32_e64 v5, null, s19, v5, vcc_lo
	v_dual_mov_b32 v9, 0 :: v_dual_mov_b32 v6, 0
	s_delay_alu instid0(VALU_DEP_3) | instskip(SKIP_1) | instid1(VALU_DEP_3)
	v_add_co_u32 v4, vcc_lo, 0xfffffef8, v4
	s_wait_alu 0xfffd
	v_add_co_ci_u32_e64 v5, null, -1, v5, vcc_lo
	v_mov_b32_e32 v7, 0
	s_delay_alu instid0(VALU_DEP_3) | instskip(NEXT) | instid1(VALU_DEP_3)
	v_cndmask_b32_e64 v4, v4, v2, s1
	v_cndmask_b32_e64 v5, v5, v3, s1
	s_and_saveexec_b32 s18, s12
	s_cbranch_execz .LBB160_53
; %bb.52:                               ;   in Loop: Header=BB160_4 Depth=1
	flat_load_b64 v[6:7], v[4:5]
.LBB160_53:                             ;   in Loop: Header=BB160_4 Depth=1
	s_wait_alu 0xfffe
	s_or_b32 exec_lo, exec_lo, s18
	s_wait_loadcnt_dscnt 0x0
	ds_store_b64 v165, v[6:7]
	s_and_saveexec_b32 s18, s13
	s_cbranch_execz .LBB160_55
; %bb.54:                               ;   in Loop: Header=BB160_4 Depth=1
	v_add_co_u32 v6, vcc_lo, v4, s50
	s_wait_alu 0xfffd
	v_add_co_ci_u32_e64 v7, null, s51, v5, vcc_lo
	flat_load_b64 v[8:9], v[6:7]
.LBB160_55:                             ;   in Loop: Header=BB160_4 Depth=1
	s_wait_alu 0xfffe
	s_or_b32 exec_lo, exec_lo, s18
	v_mov_b32_e32 v6, 0
	v_dual_mov_b32 v7, 0 :: v_dual_mov_b32 v10, 0
	v_mov_b32_e32 v11, 0
	s_wait_loadcnt_dscnt 0x0
	ds_store_b64 v165, v[8:9] offset:2112
	s_and_saveexec_b32 s18, s14
	s_cbranch_execz .LBB160_57
; %bb.56:                               ;   in Loop: Header=BB160_4 Depth=1
	v_add_co_u32 v8, vcc_lo, v4, s52
	s_wait_alu 0xfffd
	v_add_co_ci_u32_e64 v9, null, s53, v5, vcc_lo
	flat_load_b64 v[10:11], v[8:9]
.LBB160_57:                             ;   in Loop: Header=BB160_4 Depth=1
	s_wait_alu 0xfffe
	s_or_b32 exec_lo, exec_lo, s18
	s_wait_loadcnt_dscnt 0x0
	ds_store_b64 v165, v[10:11] offset:4224
	s_and_saveexec_b32 s18, s15
	s_cbranch_execz .LBB160_59
; %bb.58:                               ;   in Loop: Header=BB160_4 Depth=1
	v_add_co_u32 v6, vcc_lo, v4, s54
	s_wait_alu 0xfffd
	v_add_co_ci_u32_e64 v7, null, s55, v5, vcc_lo
	flat_load_b64 v[6:7], v[6:7]
.LBB160_59:                             ;   in Loop: Header=BB160_4 Depth=1
	s_wait_alu 0xfffe
	s_or_b32 exec_lo, exec_lo, s18
	v_add_co_u32 v4, vcc_lo, v4, v166
	s_wait_alu 0xfffd
	v_add_co_ci_u32_e64 v5, null, 0, v5, vcc_lo
	s_lshl_b64 s[18:19], s[56:57], 3
	s_wait_loadcnt_dscnt 0x0
	ds_store_b64 v165, v[6:7] offset:6336
	s_wait_alu 0xfffe
	v_add_co_u32 v4, vcc_lo, v4, s18
	s_wait_alu 0xfffd
	v_add_co_ci_u32_e64 v5, null, s19, v5, vcc_lo
	s_mov_b32 s18, 0
	v_add_co_u32 v4, vcc_lo, v4, 8
	s_wait_alu 0xfffd
	v_add_co_ci_u32_e64 v5, null, 0, v5, vcc_lo
	s_delay_alu instid0(VALU_DEP_2) | instskip(NEXT) | instid1(VALU_DEP_2)
	v_cndmask_b32_e64 v14, v4, v2, s1
	v_cndmask_b32_e64 v15, v5, v3, s1
.LBB160_60:                             ;   in Loop: Header=BB160_4 Depth=1
	s_wait_alu 0xfffe
	s_and_b32 vcc_lo, exec_lo, s18
	s_wait_alu 0xfffe
	s_cbranch_vccz .LBB160_62
; %bb.61:                               ;   in Loop: Header=BB160_4 Depth=1
	v_add_co_u32 v4, vcc_lo, v0, s50
	s_wait_alu 0xfffd
	v_add_co_ci_u32_e64 v5, null, s51, v1, vcc_lo
	v_dual_mov_b32 v15, v3 :: v_dual_mov_b32 v14, v2
	s_delay_alu instid0(VALU_DEP_3) | instskip(SKIP_1) | instid1(VALU_DEP_3)
	v_add_co_u32 v6, vcc_lo, v4, s50
	s_wait_alu 0xfffd
	v_add_co_ci_u32_e64 v7, null, s51, v5, vcc_lo
	s_delay_alu instid0(VALU_DEP_2) | instskip(SKIP_1) | instid1(VALU_DEP_2)
	v_add_co_u32 v8, vcc_lo, v6, s50
	s_wait_alu 0xfffd
	v_add_co_ci_u32_e64 v9, null, s51, v7, vcc_lo
	s_clause 0x3
	flat_load_b64 v[0:1], v[0:1] offset:-256
	flat_load_b64 v[4:5], v[4:5] offset:-256
	;; [unrolled: 1-line block ×4, first 2 shown]
	s_wait_loadcnt_dscnt 0x303
	ds_store_b64 v165, v[0:1]
	s_wait_loadcnt_dscnt 0x203
	ds_store_b64 v165, v[4:5] offset:2112
	s_wait_loadcnt_dscnt 0x103
	ds_store_b64 v165, v[6:7] offset:4224
	;; [unrolled: 2-line block ×3, first 2 shown]
.LBB160_62:                             ;   in Loop: Header=BB160_4 Depth=1
	v_add_nc_u32_e32 v0, v103, v106
	v_add_nc_u32_e32 v2, v104, v106
	s_wait_loadcnt_dscnt 0x0
	s_barrier_signal -1
	s_barrier_wait -1
	global_inv scope:SCOPE_SE
	ds_load_b64 v[0:1], v0
	ds_load_b64 v[2:3], v2
	ds_load_b64 v[8:9], v131 offset:192
	s_wait_dscnt 0x1
	v_fma_f64 v[10:11], v[0:1], v[2:3], 0
	ds_load_2addr_b64 v[0:3], v130 offset0:8 offset1:16
	ds_load_2addr_b64 v[4:7], v131 offset0:8 offset1:16
	s_wait_dscnt 0x0
	v_fma_f64 v[0:1], v[0:1], v[4:5], v[10:11]
	s_delay_alu instid0(VALU_DEP_1)
	v_fma_f64 v[0:1], v[2:3], v[6:7], v[0:1]
	ds_load_b64 v[2:3], v130 offset:192
	s_wait_dscnt 0x0
	v_fma_f64 v[20:21], v[2:3], v[8:9], v[0:1]
	ds_load_b128 v[8:11], v104 offset:256
	ds_load_b128 v[0:3], v104 offset:272
	ds_load_2addr_b64 v[4:7], v168 offset1:33
	ds_load_b64 v[18:19], v167
	ds_load_b64 v[16:17], v168 offset:528
	s_wait_loadcnt_dscnt 0x0
	s_barrier_signal -1
	s_barrier_wait -1
	global_inv scope:SCOPE_SE
	ds_store_b64 v105, v[20:21]
	s_wait_loadcnt_dscnt 0x0
	s_barrier_signal -1
	s_barrier_wait -1
	global_inv scope:SCOPE_SE
	s_and_saveexec_b32 s18, s16
	s_cbranch_execz .LBB160_64
; %bb.63:                               ;   in Loop: Header=BB160_4 Depth=1
	ds_load_2addr_b64 v[20:23], v102 offset1:1
	ds_load_2addr_b64 v[24:27], v102 offset0:2 offset1:3
	s_wait_dscnt 0x1
	v_add_f64_e32 v[20:21], v[65:66], v[20:21]
	s_delay_alu instid0(VALU_DEP_1) | instskip(SKIP_1) | instid1(VALU_DEP_1)
	v_add_f64_e32 v[20:21], v[20:21], v[22:23]
	s_wait_dscnt 0x0
	v_add_f64_e32 v[20:21], v[20:21], v[24:25]
	s_delay_alu instid0(VALU_DEP_1) | instskip(SKIP_4) | instid1(VALU_DEP_1)
	v_add_f64_e32 v[28:29], v[20:21], v[26:27]
	ds_load_2addr_b64 v[20:23], v102 offset0:4 offset1:5
	ds_load_2addr_b64 v[24:27], v102 offset0:6 offset1:7
	s_wait_dscnt 0x1
	v_add_f64_e32 v[20:21], v[28:29], v[20:21]
	v_add_f64_e32 v[20:21], v[20:21], v[22:23]
	s_wait_dscnt 0x0
	s_delay_alu instid0(VALU_DEP_1) | instskip(NEXT) | instid1(VALU_DEP_1)
	v_add_f64_e32 v[20:21], v[20:21], v[24:25]
	v_add_f64_e32 v[65:66], v[20:21], v[26:27]
.LBB160_64:                             ;   in Loop: Header=BB160_4 Depth=1
	s_wait_alu 0xfffe
	s_or_b32 exec_lo, exec_lo, s18
	v_fma_f64 v[8:9], v[18:19], v[8:9], 0
	s_wait_loadcnt 0x0
	s_barrier_signal -1
	s_barrier_wait -1
	global_inv scope:SCOPE_SE
	v_fma_f64 v[4:5], v[4:5], v[10:11], v[8:9]
	s_delay_alu instid0(VALU_DEP_1) | instskip(NEXT) | instid1(VALU_DEP_1)
	v_fma_f64 v[0:1], v[6:7], v[0:1], v[4:5]
	v_fma_f64 v[0:1], v[16:17], v[2:3], v[0:1]
	ds_store_b64 v105, v[0:1]
	s_wait_loadcnt_dscnt 0x0
	s_barrier_signal -1
	s_barrier_wait -1
	global_inv scope:SCOPE_SE
	s_and_saveexec_b32 s18, s10
	s_cbranch_execz .LBB160_66
; %bb.65:                               ;   in Loop: Header=BB160_4 Depth=1
	ds_load_2addr_b64 v[0:3], v102 offset1:1
	ds_load_2addr_b64 v[4:7], v102 offset0:2 offset1:3
	s_wait_dscnt 0x1
	v_add_f64_e32 v[0:1], v[65:66], v[0:1]
	s_delay_alu instid0(VALU_DEP_1) | instskip(SKIP_1) | instid1(VALU_DEP_1)
	v_add_f64_e32 v[0:1], v[0:1], v[2:3]
	s_wait_dscnt 0x0
	v_add_f64_e32 v[0:1], v[0:1], v[4:5]
	s_delay_alu instid0(VALU_DEP_1) | instskip(SKIP_4) | instid1(VALU_DEP_1)
	v_add_f64_e32 v[8:9], v[0:1], v[6:7]
	ds_load_2addr_b64 v[0:3], v102 offset0:4 offset1:5
	ds_load_2addr_b64 v[4:7], v102 offset0:6 offset1:7
	s_wait_dscnt 0x1
	v_add_f64_e32 v[0:1], v[8:9], v[0:1]
	v_add_f64_e32 v[0:1], v[0:1], v[2:3]
	s_wait_dscnt 0x0
	s_delay_alu instid0(VALU_DEP_1) | instskip(NEXT) | instid1(VALU_DEP_1)
	v_add_f64_e32 v[0:1], v[0:1], v[4:5]
	v_add_f64_e32 v[65:66], v[0:1], v[6:7]
.LBB160_66:                             ;   in Loop: Header=BB160_4 Depth=1
	s_wait_alu 0xfffe
	s_or_b32 exec_lo, exec_lo, s18
	s_mul_u64 s[18:19], s[46:47], s[34:35]
	s_and_not1_b32 vcc_lo, exec_lo, s43
	s_wait_alu 0xfffe
	s_lshl_b64 s[18:19], s[18:19], 3
	s_wait_loadcnt 0x0
	s_wait_alu 0xfffe
	s_add_nc_u64 s[68:69], s[48:49], s[18:19]
	s_barrier_signal -1
	s_barrier_wait -1
	global_inv scope:SCOPE_SE
	s_cbranch_vccnz .LBB160_123
; %bb.67:                               ;   in Loop: Header=BB160_4 Depth=1
	v_add_co_u32 v169, vcc_lo, v12, s66
	s_wait_alu 0xfffd
	v_add_co_ci_u32_e64 v170, null, s67, v13, vcc_lo
	v_add_co_u32 v171, vcc_lo, v14, v132
	s_wait_alu 0xfffd
	v_add_co_ci_u32_e64 v172, null, v15, v133, vcc_lo
	;; [unrolled: 3-line block ×17, first 2 shown]
	s_mov_b32 s19, ttmp9
	s_mov_b32 s70, s77
	s_wait_alu 0xfffe
	s_cmp_eq_u32 s75, s19
	s_cselect_b32 s78, s72, 0
	s_and_saveexec_b32 s18, s0
	s_cbranch_execz .LBB160_71
.LBB160_68:                             ;   in Loop: Header=BB160_4 Depth=1
	s_wait_alu 0xfffe
	v_cmp_gt_i32_e32 vcc_lo, s78, v99
	s_cmp_eq_u32 s78, 0
	v_mov_b32_e32 v0, 0
	v_mov_b32_e32 v1, 0
	s_cselect_b32 s71, -1, 0
	s_wait_alu 0xfffe
	s_or_b32 s71, s71, vcc_lo
	s_wait_alu 0xfffe
	s_and_saveexec_b32 s79, s71
	s_cbranch_execz .LBB160_70
; %bb.69:                               ;   in Loop: Header=BB160_4 Depth=1
	s_ashr_i32 s71, s70, 31
	s_wait_alu 0xfffe
	s_mul_u64 s[80:81], s[40:41], s[70:71]
	s_wait_alu 0xfffe
	s_lshl_b64 s[80:81], s[80:81], 3
	s_wait_alu 0xfffe
	v_add_co_u32 v0, vcc_lo, v169, s80
	s_wait_alu 0xfffd
	v_add_co_ci_u32_e64 v1, null, s81, v170, vcc_lo
	flat_load_b64 v[0:1], v[0:1]
.LBB160_70:                             ;   in Loop: Header=BB160_4 Depth=1
	s_wait_alu 0xfffe
	s_or_b32 exec_lo, exec_lo, s79
	s_wait_loadcnt_dscnt 0x0
	ds_store_b64 v108, v[0:1]
.LBB160_71:                             ;   Parent Loop BB160_4 Depth=1
                                        ; =>  This Inner Loop Header: Depth=2
	s_wait_alu 0xfffe
	s_or_b32 exec_lo, exec_lo, s18
	s_cmp_eq_u32 s78, 0
	v_add_co_u32 v0, vcc_lo, v177, v100
	s_cselect_b32 s71, -1, 0
	s_cmp_lg_u32 s78, 0
	s_wait_alu 0xfffd
	v_add_co_ci_u32_e64 v1, null, 0, v178, vcc_lo
	s_cselect_b32 s18, -1, 0
	s_mov_b32 s79, -1
	s_wait_alu 0xfffe
	s_and_b32 vcc_lo, exec_lo, s18
	s_wait_loadcnt_dscnt 0x0
	s_barrier_signal -1
	s_barrier_wait -1
	global_inv scope:SCOPE_SE
                                        ; implicit-def: $vgpr73_vgpr74
                                        ; implicit-def: $vgpr71_vgpr72
                                        ; implicit-def: $vgpr69_vgpr70
                                        ; implicit-def: $vgpr67_vgpr68
	s_wait_alu 0xfffe
	s_cbranch_vccz .LBB160_81
; %bb.72:                               ;   in Loop: Header=BB160_71 Depth=2
	v_mov_b32_e32 v69, 0
	v_dual_mov_b32 v70, 0 :: v_dual_mov_b32 v67, 0
	v_mov_b32_e32 v68, 0
	s_mov_b32 s79, exec_lo
	v_cmpx_gt_i32_e64 s78, v107
	s_cbranch_execz .LBB160_74
; %bb.73:                               ;   in Loop: Header=BB160_71 Depth=2
	flat_load_b64 v[67:68], v[0:1]
.LBB160_74:                             ;   in Loop: Header=BB160_71 Depth=2
	s_wait_alu 0xfffe
	s_or_b32 exec_lo, exec_lo, s79
	s_delay_alu instid0(SALU_CYCLE_1)
	s_mov_b32 s79, exec_lo
	v_cmpx_gt_i32_e64 s78, v114
	s_cbranch_execz .LBB160_76
; %bb.75:                               ;   in Loop: Header=BB160_71 Depth=2
	v_add_co_u32 v2, vcc_lo, v175, v100
	s_wait_alu 0xfffd
	v_add_co_ci_u32_e64 v3, null, 0, v176, vcc_lo
	flat_load_b64 v[69:70], v[2:3]
.LBB160_76:                             ;   in Loop: Header=BB160_71 Depth=2
	s_wait_alu 0xfffe
	s_or_b32 exec_lo, exec_lo, s79
	v_mov_b32_e32 v73, 0
	v_dual_mov_b32 v74, 0 :: v_dual_mov_b32 v71, 0
	v_mov_b32_e32 v72, 0
	s_mov_b32 s79, exec_lo
	v_cmpx_gt_i32_e64 s78, v115
	s_cbranch_execz .LBB160_78
; %bb.77:                               ;   in Loop: Header=BB160_71 Depth=2
	v_add_co_u32 v2, vcc_lo, v171, v100
	s_wait_alu 0xfffd
	v_add_co_ci_u32_e64 v3, null, 0, v172, vcc_lo
	flat_load_b64 v[71:72], v[2:3]
.LBB160_78:                             ;   in Loop: Header=BB160_71 Depth=2
	s_wait_alu 0xfffe
	s_or_b32 exec_lo, exec_lo, s79
	s_delay_alu instid0(SALU_CYCLE_1)
	s_mov_b32 s79, exec_lo
	v_cmpx_gt_i32_e64 s78, v116
	s_cbranch_execz .LBB160_80
; %bb.79:                               ;   in Loop: Header=BB160_71 Depth=2
	v_add_co_u32 v2, vcc_lo, v173, v100
	s_wait_alu 0xfffd
	v_add_co_ci_u32_e64 v3, null, 0, v174, vcc_lo
	flat_load_b64 v[73:74], v[2:3]
.LBB160_80:                             ;   in Loop: Header=BB160_71 Depth=2
	s_wait_alu 0xfffe
	s_or_b32 exec_lo, exec_lo, s79
	s_mov_b32 s79, 0
.LBB160_81:                             ;   in Loop: Header=BB160_71 Depth=2
	s_wait_alu 0xfffe
	s_and_b32 vcc_lo, exec_lo, s79
	s_wait_alu 0xfffe
	s_cbranch_vccz .LBB160_83
; %bb.82:                               ;   in Loop: Header=BB160_71 Depth=2
	v_add_co_u32 v2, vcc_lo, v175, v100
	s_wait_alu 0xfffd
	v_add_co_ci_u32_e64 v3, null, 0, v176, vcc_lo
	v_add_co_u32 v4, vcc_lo, v171, v100
	s_wait_alu 0xfffd
	v_add_co_ci_u32_e64 v5, null, 0, v172, vcc_lo
	;; [unrolled: 3-line block ×3, first 2 shown]
	s_wait_loadcnt_dscnt 0x0
	flat_load_b64 v[67:68], v[0:1]
	flat_load_b64 v[69:70], v[2:3]
	;; [unrolled: 1-line block ×4, first 2 shown]
.LBB160_83:                             ;   in Loop: Header=BB160_71 Depth=2
	ds_load_b64 v[4:5], v101
	ds_load_b128 v[0:3], v109
	v_add_co_u32 v16, vcc_lo, v185, v100
	v_cndmask_b32_e64 v44, 0, 1, s18
	s_wait_alu 0xfffd
	v_add_co_ci_u32_e64 v17, null, 0, v186, vcc_lo
	s_and_not1_b32 vcc_lo, exec_lo, s18
	s_mov_b32 s18, -1
                                        ; implicit-def: $vgpr81_vgpr82
                                        ; implicit-def: $vgpr79_vgpr80
                                        ; implicit-def: $vgpr77_vgpr78
                                        ; implicit-def: $vgpr75_vgpr76
	s_wait_loadcnt_dscnt 0x1
	v_mul_f64_e32 v[8:9], v[67:68], v[4:5]
	v_mul_f64_e32 v[10:11], v[69:70], v[4:5]
	;; [unrolled: 1-line block ×4, first 2 shown]
	ds_load_b128 v[4:7], v109 offset:16
	ds_store_2addr_b64 v110, v[8:9], v[10:11] offset1:67
	ds_store_2addr_b64 v110, v[12:13], v[14:15] offset0:134 offset1:201
	s_wait_dscnt 0x0
	s_barrier_signal -1
	s_barrier_wait -1
	global_inv scope:SCOPE_SE
	ds_load_2addr_b64 v[12:15], v111 offset1:1
	ds_load_2addr_b64 v[8:11], v111 offset0:2 offset1:3
	s_wait_loadcnt_dscnt 0x0
	s_barrier_signal -1
	s_barrier_wait -1
	global_inv scope:SCOPE_SE
	s_wait_alu 0xfffe
	s_cbranch_vccnz .LBB160_93
; %bb.84:                               ;   in Loop: Header=BB160_71 Depth=2
	v_mov_b32_e32 v77, 0
	v_dual_mov_b32 v78, 0 :: v_dual_mov_b32 v75, 0
	v_mov_b32_e32 v76, 0
	s_mov_b32 s18, exec_lo
	v_cmpx_gt_i32_e64 s78, v117
	s_cbranch_execz .LBB160_86
; %bb.85:                               ;   in Loop: Header=BB160_71 Depth=2
	flat_load_b64 v[75:76], v[16:17]
.LBB160_86:                             ;   in Loop: Header=BB160_71 Depth=2
	s_wait_alu 0xfffe
	s_or_b32 exec_lo, exec_lo, s18
	s_delay_alu instid0(SALU_CYCLE_1)
	s_mov_b32 s18, exec_lo
	v_cmpx_gt_i32_e64 s78, v118
	s_cbranch_execz .LBB160_88
; %bb.87:                               ;   in Loop: Header=BB160_71 Depth=2
	v_add_co_u32 v18, vcc_lo, v183, v100
	s_wait_alu 0xfffd
	v_add_co_ci_u32_e64 v19, null, 0, v184, vcc_lo
	flat_load_b64 v[77:78], v[18:19]
.LBB160_88:                             ;   in Loop: Header=BB160_71 Depth=2
	s_wait_alu 0xfffe
	s_or_b32 exec_lo, exec_lo, s18
	v_mov_b32_e32 v81, 0
	v_dual_mov_b32 v82, 0 :: v_dual_mov_b32 v79, 0
	v_mov_b32_e32 v80, 0
	s_mov_b32 s18, exec_lo
	v_cmpx_gt_i32_e64 s78, v119
	s_cbranch_execz .LBB160_90
; %bb.89:                               ;   in Loop: Header=BB160_71 Depth=2
	v_add_co_u32 v18, vcc_lo, v179, v100
	s_wait_alu 0xfffd
	v_add_co_ci_u32_e64 v19, null, 0, v180, vcc_lo
	flat_load_b64 v[79:80], v[18:19]
.LBB160_90:                             ;   in Loop: Header=BB160_71 Depth=2
	s_wait_alu 0xfffe
	s_or_b32 exec_lo, exec_lo, s18
	s_delay_alu instid0(SALU_CYCLE_1)
	s_mov_b32 s18, exec_lo
	v_cmpx_gt_i32_e64 s78, v120
	s_cbranch_execz .LBB160_92
; %bb.91:                               ;   in Loop: Header=BB160_71 Depth=2
	v_add_co_u32 v18, vcc_lo, v181, v100
	s_wait_alu 0xfffd
	v_add_co_ci_u32_e64 v19, null, 0, v182, vcc_lo
	flat_load_b64 v[81:82], v[18:19]
.LBB160_92:                             ;   in Loop: Header=BB160_71 Depth=2
	s_wait_alu 0xfffe
	s_or_b32 exec_lo, exec_lo, s18
	s_mov_b32 s18, 0
.LBB160_93:                             ;   in Loop: Header=BB160_71 Depth=2
	s_wait_alu 0xfffe
	s_and_b32 vcc_lo, exec_lo, s18
	s_wait_alu 0xfffe
	s_cbranch_vccz .LBB160_95
; %bb.94:                               ;   in Loop: Header=BB160_71 Depth=2
	v_add_co_u32 v18, vcc_lo, v183, v100
	s_wait_alu 0xfffd
	v_add_co_ci_u32_e64 v19, null, 0, v184, vcc_lo
	v_add_co_u32 v20, vcc_lo, v179, v100
	s_wait_alu 0xfffd
	v_add_co_ci_u32_e64 v21, null, 0, v180, vcc_lo
	;; [unrolled: 3-line block ×3, first 2 shown]
	s_wait_loadcnt_dscnt 0x0
	flat_load_b64 v[75:76], v[16:17]
	flat_load_b64 v[77:78], v[18:19]
	;; [unrolled: 1-line block ×4, first 2 shown]
.LBB160_95:                             ;   in Loop: Header=BB160_71 Depth=2
	ds_load_b64 v[20:21], v101
	ds_load_b128 v[16:19], v109 offset:128
	v_cmp_ne_u32_e32 vcc_lo, 1, v44
                                        ; implicit-def: $vgpr89_vgpr90
                                        ; implicit-def: $vgpr87_vgpr88
                                        ; implicit-def: $vgpr85_vgpr86
                                        ; implicit-def: $vgpr83_vgpr84
	s_and_b32 vcc_lo, exec_lo, vcc_lo
	s_wait_loadcnt_dscnt 0x1
	v_mul_f64_e32 v[24:25], v[75:76], v[20:21]
	v_mul_f64_e32 v[26:27], v[77:78], v[20:21]
	v_mul_f64_e32 v[28:29], v[79:80], v[20:21]
	v_mul_f64_e32 v[30:31], v[81:82], v[20:21]
	ds_load_b128 v[20:23], v109 offset:144
	ds_store_2addr_b64 v110, v[24:25], v[26:27] offset1:67
	ds_store_2addr_b64 v110, v[28:29], v[30:31] offset0:134 offset1:201
	s_wait_dscnt 0x0
	s_barrier_signal -1
	s_barrier_wait -1
	global_inv scope:SCOPE_SE
	ds_load_2addr_b64 v[32:35], v111 offset1:1
	ds_load_2addr_b64 v[24:27], v111 offset0:2 offset1:3
	v_add_co_u32 v28, s18, v193, v100
	s_wait_alu 0xf1ff
	v_add_co_ci_u32_e64 v29, null, 0, v194, s18
	s_mov_b32 s18, -1
	s_wait_loadcnt_dscnt 0x0
	s_barrier_signal -1
	s_barrier_wait -1
	global_inv scope:SCOPE_SE
	s_wait_alu 0xfffe
	s_cbranch_vccnz .LBB160_105
; %bb.96:                               ;   in Loop: Header=BB160_71 Depth=2
	v_mov_b32_e32 v85, 0
	v_dual_mov_b32 v86, 0 :: v_dual_mov_b32 v83, 0
	v_mov_b32_e32 v84, 0
	s_mov_b32 s18, exec_lo
	v_cmpx_gt_i32_e64 s78, v121
	s_cbranch_execz .LBB160_98
; %bb.97:                               ;   in Loop: Header=BB160_71 Depth=2
	flat_load_b64 v[83:84], v[28:29]
.LBB160_98:                             ;   in Loop: Header=BB160_71 Depth=2
	s_wait_alu 0xfffe
	s_or_b32 exec_lo, exec_lo, s18
	s_delay_alu instid0(SALU_CYCLE_1)
	s_mov_b32 s18, exec_lo
	v_cmpx_gt_i32_e64 s78, v122
	s_cbranch_execz .LBB160_100
; %bb.99:                               ;   in Loop: Header=BB160_71 Depth=2
	v_add_co_u32 v30, vcc_lo, v191, v100
	s_wait_alu 0xfffd
	v_add_co_ci_u32_e64 v31, null, 0, v192, vcc_lo
	flat_load_b64 v[85:86], v[30:31]
.LBB160_100:                            ;   in Loop: Header=BB160_71 Depth=2
	s_wait_alu 0xfffe
	s_or_b32 exec_lo, exec_lo, s18
	v_mov_b32_e32 v89, 0
	v_dual_mov_b32 v90, 0 :: v_dual_mov_b32 v87, 0
	v_mov_b32_e32 v88, 0
	s_mov_b32 s18, exec_lo
	v_cmpx_gt_i32_e64 s78, v123
	s_cbranch_execz .LBB160_102
; %bb.101:                              ;   in Loop: Header=BB160_71 Depth=2
	v_add_co_u32 v30, vcc_lo, v187, v100
	s_wait_alu 0xfffd
	v_add_co_ci_u32_e64 v31, null, 0, v188, vcc_lo
	flat_load_b64 v[87:88], v[30:31]
.LBB160_102:                            ;   in Loop: Header=BB160_71 Depth=2
	s_wait_alu 0xfffe
	s_or_b32 exec_lo, exec_lo, s18
	s_delay_alu instid0(SALU_CYCLE_1)
	s_mov_b32 s18, exec_lo
	v_cmpx_gt_i32_e64 s78, v124
	s_cbranch_execz .LBB160_104
; %bb.103:                              ;   in Loop: Header=BB160_71 Depth=2
	v_add_co_u32 v30, vcc_lo, v189, v100
	s_wait_alu 0xfffd
	v_add_co_ci_u32_e64 v31, null, 0, v190, vcc_lo
	flat_load_b64 v[89:90], v[30:31]
.LBB160_104:                            ;   in Loop: Header=BB160_71 Depth=2
	s_wait_alu 0xfffe
	s_or_b32 exec_lo, exec_lo, s18
	s_mov_b32 s18, 0
.LBB160_105:                            ;   in Loop: Header=BB160_71 Depth=2
	s_wait_alu 0xfffe
	s_and_b32 vcc_lo, exec_lo, s18
	s_wait_alu 0xfffe
	s_cbranch_vccz .LBB160_107
; %bb.106:                              ;   in Loop: Header=BB160_71 Depth=2
	v_add_co_u32 v30, vcc_lo, v191, v100
	s_wait_alu 0xfffd
	v_add_co_ci_u32_e64 v31, null, 0, v192, vcc_lo
	v_add_co_u32 v36, vcc_lo, v187, v100
	s_wait_alu 0xfffd
	v_add_co_ci_u32_e64 v37, null, 0, v188, vcc_lo
	;; [unrolled: 3-line block ×3, first 2 shown]
	s_wait_loadcnt_dscnt 0x0
	flat_load_b64 v[83:84], v[28:29]
	flat_load_b64 v[85:86], v[30:31]
	;; [unrolled: 1-line block ×4, first 2 shown]
.LBB160_107:                            ;   in Loop: Header=BB160_71 Depth=2
	ds_load_b64 v[36:37], v101
	ds_load_b128 v[28:31], v109 offset:256
	v_cmp_ne_u32_e32 vcc_lo, 1, v44
	v_add_co_u32 v44, s18, v201, v100
                                        ; implicit-def: $vgpr93_vgpr94
                                        ; implicit-def: $vgpr97_vgpr98
                                        ; implicit-def: $vgpr95_vgpr96
                                        ; implicit-def: $vgpr91_vgpr92
	s_and_b32 vcc_lo, exec_lo, vcc_lo
	s_wait_loadcnt_dscnt 0x1
	v_mul_f64_e32 v[40:41], v[83:84], v[36:37]
	v_mul_f64_e32 v[42:43], v[85:86], v[36:37]
	;; [unrolled: 1-line block ×4, first 2 shown]
	ds_load_b128 v[36:39], v109 offset:272
	ds_store_2addr_b64 v110, v[40:41], v[42:43] offset1:67
	ds_store_2addr_b64 v110, v[45:46], v[47:48] offset0:134 offset1:201
	s_wait_dscnt 0x0
	s_barrier_signal -1
	s_barrier_wait -1
	global_inv scope:SCOPE_SE
	ds_load_2addr_b64 v[48:51], v111 offset1:1
	ds_load_2addr_b64 v[40:43], v111 offset0:2 offset1:3
	s_wait_alu 0xf1ff
	v_add_co_ci_u32_e64 v45, null, 0, v202, s18
	s_mov_b32 s18, -1
	s_wait_loadcnt_dscnt 0x0
	s_barrier_signal -1
	s_barrier_wait -1
	global_inv scope:SCOPE_SE
	s_wait_alu 0xfffe
	s_cbranch_vccnz .LBB160_117
; %bb.108:                              ;   in Loop: Header=BB160_71 Depth=2
	v_mov_b32_e32 v95, 0
	v_dual_mov_b32 v96, 0 :: v_dual_mov_b32 v91, 0
	v_mov_b32_e32 v92, 0
	s_mov_b32 s18, exec_lo
	v_cmpx_gt_i32_e64 s78, v125
	s_cbranch_execz .LBB160_110
; %bb.109:                              ;   in Loop: Header=BB160_71 Depth=2
	flat_load_b64 v[91:92], v[44:45]
.LBB160_110:                            ;   in Loop: Header=BB160_71 Depth=2
	s_wait_alu 0xfffe
	s_or_b32 exec_lo, exec_lo, s18
	s_delay_alu instid0(SALU_CYCLE_1)
	s_mov_b32 s18, exec_lo
	v_cmpx_gt_i32_e64 s78, v126
	s_cbranch_execz .LBB160_112
; %bb.111:                              ;   in Loop: Header=BB160_71 Depth=2
	v_add_co_u32 v46, vcc_lo, v199, v100
	s_wait_alu 0xfffd
	v_add_co_ci_u32_e64 v47, null, 0, v200, vcc_lo
	flat_load_b64 v[95:96], v[46:47]
.LBB160_112:                            ;   in Loop: Header=BB160_71 Depth=2
	s_wait_alu 0xfffe
	s_or_b32 exec_lo, exec_lo, s18
	v_mov_b32_e32 v93, 0
	v_dual_mov_b32 v94, 0 :: v_dual_mov_b32 v97, 0
	v_mov_b32_e32 v98, 0
	s_mov_b32 s18, exec_lo
	v_cmpx_gt_i32_e64 s78, v127
	s_cbranch_execz .LBB160_114
; %bb.113:                              ;   in Loop: Header=BB160_71 Depth=2
	v_add_co_u32 v46, vcc_lo, v195, v100
	s_wait_alu 0xfffd
	v_add_co_ci_u32_e64 v47, null, 0, v196, vcc_lo
	flat_load_b64 v[97:98], v[46:47]
.LBB160_114:                            ;   in Loop: Header=BB160_71 Depth=2
	s_wait_alu 0xfffe
	s_or_b32 exec_lo, exec_lo, s18
	s_delay_alu instid0(SALU_CYCLE_1)
	s_mov_b32 s18, exec_lo
	v_cmpx_gt_i32_e64 s78, v128
	s_cbranch_execz .LBB160_116
; %bb.115:                              ;   in Loop: Header=BB160_71 Depth=2
	v_add_co_u32 v46, vcc_lo, v197, v100
	s_wait_alu 0xfffd
	v_add_co_ci_u32_e64 v47, null, 0, v198, vcc_lo
	flat_load_b64 v[93:94], v[46:47]
.LBB160_116:                            ;   in Loop: Header=BB160_71 Depth=2
	s_wait_alu 0xfffe
	s_or_b32 exec_lo, exec_lo, s18
	s_mov_b32 s18, 0
.LBB160_117:                            ;   in Loop: Header=BB160_71 Depth=2
	s_wait_alu 0xfffe
	s_and_b32 vcc_lo, exec_lo, s18
	s_wait_alu 0xfffe
	s_cbranch_vccz .LBB160_119
; %bb.118:                              ;   in Loop: Header=BB160_71 Depth=2
	v_add_co_u32 v46, vcc_lo, v199, v100
	s_wait_alu 0xfffd
	v_add_co_ci_u32_e64 v47, null, 0, v200, vcc_lo
	v_add_co_u32 v52, vcc_lo, v195, v100
	s_wait_alu 0xfffd
	v_add_co_ci_u32_e64 v53, null, 0, v196, vcc_lo
	;; [unrolled: 3-line block ×3, first 2 shown]
	s_wait_loadcnt_dscnt 0x0
	flat_load_b64 v[91:92], v[44:45]
	flat_load_b64 v[95:96], v[46:47]
	;; [unrolled: 1-line block ×4, first 2 shown]
.LBB160_119:                            ;   in Loop: Header=BB160_71 Depth=2
	ds_load_b64 v[44:45], v101
	ds_load_b128 v[52:55], v109 offset:384
	v_add_f64_e32 v[32:33], 0, v[32:33]
	v_add_f64_e32 v[12:13], 0, v[12:13]
	;; [unrolled: 1-line block ×3, first 2 shown]
	v_cmp_gt_i32_e32 vcc_lo, s78, v99
	s_or_b32 s18, s71, vcc_lo
	s_wait_alu 0xfffe
	s_and_b32 s71, s17, s18
	s_wait_loadcnt_dscnt 0x1
	v_mul_f64_e32 v[203:204], v[91:92], v[44:45]
	v_mul_f64_e32 v[205:206], v[95:96], v[44:45]
	;; [unrolled: 1-line block ×4, first 2 shown]
	ds_load_b128 v[44:47], v109 offset:400
	ds_store_2addr_b64 v110, v[203:204], v[205:206] offset1:67
	ds_store_2addr_b64 v110, v[207:208], v[209:210] offset0:134 offset1:201
	s_wait_dscnt 0x0
	s_barrier_signal -1
	s_barrier_wait -1
	global_inv scope:SCOPE_SE
	ds_load_2addr_b64 v[203:206], v111 offset1:1
	ds_load_2addr_b64 v[207:210], v111 offset0:2 offset1:3
	v_add_f64_e32 v[32:33], v[32:33], v[34:35]
	v_add_f64_e32 v[12:13], v[12:13], v[14:15]
	;; [unrolled: 1-line block ×3, first 2 shown]
	s_wait_loadcnt_dscnt 0x0
	s_barrier_signal -1
	s_barrier_wait -1
	global_inv scope:SCOPE_SE
	v_add_f64_e32 v[203:204], 0, v[203:204]
	v_add_f64_e32 v[24:25], v[32:33], v[24:25]
	v_add_f64_e32 v[8:9], v[12:13], v[8:9]
	v_add_f64_e32 v[34:35], v[48:49], v[40:41]
	s_delay_alu instid0(VALU_DEP_4) | instskip(NEXT) | instid1(VALU_DEP_4)
	v_add_f64_e32 v[14:15], v[203:204], v[205:206]
	v_add_f64_e32 v[24:25], v[24:25], v[26:27]
	s_delay_alu instid0(VALU_DEP_4) | instskip(NEXT) | instid1(VALU_DEP_3)
	v_add_f64_e32 v[8:9], v[8:9], v[10:11]
	v_add_f64_e32 v[12:13], v[14:15], v[207:208]
	;; [unrolled: 1-line block ×3, first 2 shown]
	s_delay_alu instid0(VALU_DEP_2)
	v_add_f64_e32 v[10:11], v[12:13], v[209:210]
	ds_store_2addr_b64 v164, v[8:9], v[24:25] offset1:16
	ds_store_2addr_b64 v164, v[14:15], v[10:11] offset0:32 offset1:48
	s_wait_loadcnt_dscnt 0x0
	s_barrier_signal -1
	s_barrier_wait -1
	global_inv scope:SCOPE_SE
	s_wait_alu 0xfffe
	s_and_saveexec_b32 s18, s71
	s_cbranch_execz .LBB160_121
; %bb.120:                              ;   in Loop: Header=BB160_71 Depth=2
	ds_load_2addr_b64 v[8:11], v112 offset1:1
	ds_load_2addr_b64 v[12:15], v112 offset0:2 offset1:3
	s_wait_dscnt 0x1
	v_add_f64_e32 v[8:9], v[8:9], v[10:11]
	s_wait_dscnt 0x0
	s_delay_alu instid0(VALU_DEP_1) | instskip(NEXT) | instid1(VALU_DEP_1)
	v_add_f64_e32 v[8:9], v[8:9], v[12:13]
	v_add_f64_e32 v[24:25], v[8:9], v[14:15]
	ds_load_2addr_b64 v[8:11], v112 offset0:4 offset1:5
	ds_load_2addr_b64 v[12:15], v112 offset0:6 offset1:7
	s_wait_dscnt 0x1
	v_add_f64_e32 v[8:9], v[24:25], v[8:9]
	s_delay_alu instid0(VALU_DEP_1) | instskip(SKIP_1) | instid1(VALU_DEP_1)
	v_add_f64_e32 v[8:9], v[8:9], v[10:11]
	s_wait_dscnt 0x0
	v_add_f64_e32 v[8:9], v[8:9], v[12:13]
	s_delay_alu instid0(VALU_DEP_1) | instskip(SKIP_4) | instid1(VALU_DEP_1)
	v_add_f64_e32 v[24:25], v[8:9], v[14:15]
	ds_load_2addr_b64 v[8:11], v112 offset0:8 offset1:9
	ds_load_2addr_b64 v[12:15], v112 offset0:10 offset1:11
	s_wait_dscnt 0x1
	v_add_f64_e32 v[8:9], v[24:25], v[8:9]
	v_add_f64_e32 v[8:9], v[8:9], v[10:11]
	s_wait_dscnt 0x0
	s_delay_alu instid0(VALU_DEP_1) | instskip(NEXT) | instid1(VALU_DEP_1)
	v_add_f64_e32 v[8:9], v[8:9], v[12:13]
	v_add_f64_e32 v[12:13], v[8:9], v[14:15]
	ds_load_2addr_b64 v[8:11], v112 offset0:12 offset1:13
	ds_load_b64 v[14:15], v112 offset:112
	s_wait_dscnt 0x1
	v_add_f64_e32 v[8:9], v[12:13], v[8:9]
	s_delay_alu instid0(VALU_DEP_1) | instskip(SKIP_4) | instid1(VALU_DEP_1)
	v_add_f64_e32 v[8:9], v[8:9], v[10:11]
	ds_load_b64 v[10:11], v113
	s_wait_dscnt 0x1
	v_add_f64_e32 v[8:9], v[8:9], v[14:15]
	s_wait_dscnt 0x0
	v_add_f64_e32 v[8:9], v[8:9], v[10:11]
	v_add_nc_u32_e32 v10, s70, v99
	s_delay_alu instid0(VALU_DEP_1) | instskip(NEXT) | instid1(VALU_DEP_1)
	v_ashrrev_i32_e32 v11, 31, v10
	v_lshlrev_b64_e32 v[10:11], 3, v[10:11]
	s_delay_alu instid0(VALU_DEP_1) | instskip(SKIP_1) | instid1(VALU_DEP_2)
	v_add_co_u32 v10, vcc_lo, s68, v10
	s_wait_alu 0xfffd
	v_add_co_ci_u32_e64 v11, null, s69, v11, vcc_lo
	global_store_b64 v[10:11], v[8:9], off
.LBB160_121:                            ;   in Loop: Header=BB160_71 Depth=2
	s_wait_alu 0xfffe
	s_or_b32 exec_lo, exec_lo, s18
	v_fma_f64 v[0:1], v[67:68], v[0:1], v[65:66]
	v_add_co_u32 v171, vcc_lo, v171, s58
	s_wait_alu 0xfffd
	v_add_co_ci_u32_e64 v172, null, s59, v172, vcc_lo
	v_add_co_u32 v173, vcc_lo, v173, s58
	s_wait_alu 0xfffd
	v_add_co_ci_u32_e64 v174, null, s59, v174, vcc_lo
	;; [unrolled: 3-line block ×9, first 2 shown]
	v_add_co_u32 v189, vcc_lo, v189, s58
	v_fma_f64 v[0:1], v[69:70], v[2:3], v[0:1]
	s_wait_alu 0xfffd
	v_add_co_ci_u32_e64 v190, null, s59, v190, vcc_lo
	v_add_co_u32 v191, vcc_lo, v191, s58
	s_wait_alu 0xfffd
	v_add_co_ci_u32_e64 v192, null, s59, v192, vcc_lo
	v_add_co_u32 v193, vcc_lo, v193, s58
	;; [unrolled: 3-line block ×6, first 2 shown]
	s_wait_alu 0xfffd
	v_add_co_ci_u32_e64 v202, null, s59, v202, vcc_lo
	s_add_co_i32 s18, s19, 1
	s_add_co_i32 s19, s19, 2
	;; [unrolled: 1-line block ×3, first 2 shown]
	s_wait_alu 0xfffe
	s_cmp_ge_u32 s19, s42
	s_wait_loadcnt 0x0
	s_wait_storecnt 0x0
	s_barrier_signal -1
	s_barrier_wait -1
	global_inv scope:SCOPE_SE
	v_fma_f64 v[0:1], v[71:72], v[4:5], v[0:1]
	s_delay_alu instid0(VALU_DEP_1) | instskip(NEXT) | instid1(VALU_DEP_1)
	v_fma_f64 v[0:1], v[73:74], v[6:7], v[0:1]
	v_fma_f64 v[0:1], v[75:76], v[16:17], v[0:1]
	s_delay_alu instid0(VALU_DEP_1) | instskip(NEXT) | instid1(VALU_DEP_1)
	v_fma_f64 v[0:1], v[77:78], v[18:19], v[0:1]
	;; [unrolled: 3-line block ×6, first 2 shown]
	v_fma_f64 v[0:1], v[97:98], v[44:45], v[0:1]
	s_delay_alu instid0(VALU_DEP_1)
	v_fma_f64 v[65:66], v[93:94], v[46:47], v[0:1]
	s_cbranch_scc1 .LBB160_123
; %bb.122:                              ;   in Loop: Header=BB160_71 Depth=2
	s_mov_b32 s19, s18
	s_wait_alu 0xfffe
	s_cmp_eq_u32 s75, s19
	s_cselect_b32 s78, s72, 0
	s_and_saveexec_b32 s18, s0
	s_cbranch_execnz .LBB160_68
	s_branch .LBB160_71
.LBB160_123:                            ;   in Loop: Header=BB160_4 Depth=1
	ds_store_b64 v129, v[65:66]
	s_wait_loadcnt_dscnt 0x0
	s_barrier_signal -1
	s_barrier_wait -1
	global_inv scope:SCOPE_SE
	s_and_saveexec_b32 s18, s76
	s_cbranch_execz .LBB160_2
; %bb.124:                              ;   in Loop: Header=BB160_4 Depth=1
	ds_load_2addr_b64 v[0:3], v100 offset1:67
	s_wait_dscnt 0x0
	v_add_f64_e32 v[4:5], v[0:1], v[2:3]
	ds_load_2addr_b64 v[0:3], v100 offset0:134 offset1:201
	s_wait_dscnt 0x0
	v_add_f64_e32 v[0:1], v[4:5], v[0:1]
	s_delay_alu instid0(VALU_DEP_1)
	v_add_f64_e32 v[0:1], v[0:1], v[2:3]
	s_wait_alu 0xfffe
	v_add_co_u32 v2, vcc_lo, s68, v61
	s_wait_alu 0xfffd
	v_add_co_ci_u32_e64 v3, null, s69, v62, vcc_lo
	global_store_b64 v[2:3], v[0:1], off
	s_branch .LBB160_2
.LBB160_125:                            ;   in Loop: Header=BB160_4 Depth=1
	ds_load_b64 v[2:3], v167
	s_wait_dscnt 0x0
	ds_store_b64 v103, v[2:3]
	s_wait_alu 0xfffe
	s_or_b32 exec_lo, exec_lo, s18
	s_and_saveexec_b32 s18, s7
	s_cbranch_execz .LBB160_26
.LBB160_126:                            ;   in Loop: Header=BB160_4 Depth=1
	ds_load_b64 v[2:3], v168
	s_wait_dscnt 0x0
	ds_store_b64 v103, v[2:3] offset:8
	s_wait_alu 0xfffe
	s_or_b32 exec_lo, exec_lo, s18
	s_and_saveexec_b32 s18, s8
	s_cbranch_execz .LBB160_27
.LBB160_127:                            ;   in Loop: Header=BB160_4 Depth=1
	ds_load_b64 v[2:3], v168 offset:264
	s_wait_dscnt 0x0
	ds_store_b64 v103, v[2:3] offset:16
	s_wait_alu 0xfffe
	s_or_b32 exec_lo, exec_lo, s18
	s_and_saveexec_b32 s18, s9
	s_cbranch_execnz .LBB160_28
	s_branch .LBB160_29
.LBB160_128:                            ;   in Loop: Header=BB160_4 Depth=1
	ds_load_b64 v[2:3], v167
	s_wait_dscnt 0x0
	ds_store_b64 v103, v[2:3]
	s_wait_alu 0xfffe
	s_or_b32 exec_lo, exec_lo, s18
	s_and_saveexec_b32 s18, s7
	s_cbranch_execz .LBB160_45
.LBB160_129:                            ;   in Loop: Header=BB160_4 Depth=1
	ds_load_b64 v[2:3], v168
	s_wait_dscnt 0x0
	ds_store_b64 v103, v[2:3] offset:8
	s_wait_alu 0xfffe
	s_or_b32 exec_lo, exec_lo, s18
	s_and_saveexec_b32 s18, s8
	s_cbranch_execz .LBB160_46
.LBB160_130:                            ;   in Loop: Header=BB160_4 Depth=1
	ds_load_b64 v[2:3], v168 offset:264
	s_wait_dscnt 0x0
	ds_store_b64 v103, v[2:3] offset:16
	s_wait_alu 0xfffe
	s_or_b32 exec_lo, exec_lo, s18
	s_and_saveexec_b32 s18, s9
	s_cbranch_execnz .LBB160_47
	s_branch .LBB160_48
.LBB160_131:
	s_nop 0
	s_sendmsg sendmsg(MSG_DEALLOC_VGPRS)
	s_endpgm
	.section	.rodata,"a",@progbits
	.p2align	6, 0x0
	.amdhsa_kernel _ZL26rocblas_hemvn_kernel_upperILb0ELi64ELi4ELi33ELi32ELi16ElPKdPKS1_PdEviT6_lT7_lT5_lS6_lS7_lS5_lT8_i
		.amdhsa_group_segment_fixed_size 9600
		.amdhsa_private_segment_fixed_size 0
		.amdhsa_kernarg_size 376
		.amdhsa_user_sgpr_count 2
		.amdhsa_user_sgpr_dispatch_ptr 0
		.amdhsa_user_sgpr_queue_ptr 0
		.amdhsa_user_sgpr_kernarg_segment_ptr 1
		.amdhsa_user_sgpr_dispatch_id 0
		.amdhsa_user_sgpr_private_segment_size 0
		.amdhsa_wavefront_size32 1
		.amdhsa_uses_dynamic_stack 0
		.amdhsa_enable_private_segment 0
		.amdhsa_system_sgpr_workgroup_id_x 1
		.amdhsa_system_sgpr_workgroup_id_y 0
		.amdhsa_system_sgpr_workgroup_id_z 1
		.amdhsa_system_sgpr_workgroup_info 0
		.amdhsa_system_vgpr_workitem_id 1
		.amdhsa_next_free_vgpr 211
		.amdhsa_next_free_sgpr 82
		.amdhsa_reserve_vcc 1
		.amdhsa_float_round_mode_32 0
		.amdhsa_float_round_mode_16_64 0
		.amdhsa_float_denorm_mode_32 3
		.amdhsa_float_denorm_mode_16_64 3
		.amdhsa_fp16_overflow 0
		.amdhsa_workgroup_processor_mode 1
		.amdhsa_memory_ordered 1
		.amdhsa_forward_progress 1
		.amdhsa_inst_pref_size 75
		.amdhsa_round_robin_scheduling 0
		.amdhsa_exception_fp_ieee_invalid_op 0
		.amdhsa_exception_fp_denorm_src 0
		.amdhsa_exception_fp_ieee_div_zero 0
		.amdhsa_exception_fp_ieee_overflow 0
		.amdhsa_exception_fp_ieee_underflow 0
		.amdhsa_exception_fp_ieee_inexact 0
		.amdhsa_exception_int_div_zero 0
	.end_amdhsa_kernel
	.section	.text._ZL26rocblas_hemvn_kernel_upperILb0ELi64ELi4ELi33ELi32ELi16ElPKdPKS1_PdEviT6_lT7_lT5_lS6_lS7_lS5_lT8_i,"axG",@progbits,_ZL26rocblas_hemvn_kernel_upperILb0ELi64ELi4ELi33ELi32ELi16ElPKdPKS1_PdEviT6_lT7_lT5_lS6_lS7_lS5_lT8_i,comdat
.Lfunc_end160:
	.size	_ZL26rocblas_hemvn_kernel_upperILb0ELi64ELi4ELi33ELi32ELi16ElPKdPKS1_PdEviT6_lT7_lT5_lS6_lS7_lS5_lT8_i, .Lfunc_end160-_ZL26rocblas_hemvn_kernel_upperILb0ELi64ELi4ELi33ELi32ELi16ElPKdPKS1_PdEviT6_lT7_lT5_lS6_lS7_lS5_lT8_i
                                        ; -- End function
	.set _ZL26rocblas_hemvn_kernel_upperILb0ELi64ELi4ELi33ELi32ELi16ElPKdPKS1_PdEviT6_lT7_lT5_lS6_lS7_lS5_lT8_i.num_vgpr, 211
	.set _ZL26rocblas_hemvn_kernel_upperILb0ELi64ELi4ELi33ELi32ELi16ElPKdPKS1_PdEviT6_lT7_lT5_lS6_lS7_lS5_lT8_i.num_agpr, 0
	.set _ZL26rocblas_hemvn_kernel_upperILb0ELi64ELi4ELi33ELi32ELi16ElPKdPKS1_PdEviT6_lT7_lT5_lS6_lS7_lS5_lT8_i.numbered_sgpr, 82
	.set _ZL26rocblas_hemvn_kernel_upperILb0ELi64ELi4ELi33ELi32ELi16ElPKdPKS1_PdEviT6_lT7_lT5_lS6_lS7_lS5_lT8_i.num_named_barrier, 0
	.set _ZL26rocblas_hemvn_kernel_upperILb0ELi64ELi4ELi33ELi32ELi16ElPKdPKS1_PdEviT6_lT7_lT5_lS6_lS7_lS5_lT8_i.private_seg_size, 0
	.set _ZL26rocblas_hemvn_kernel_upperILb0ELi64ELi4ELi33ELi32ELi16ElPKdPKS1_PdEviT6_lT7_lT5_lS6_lS7_lS5_lT8_i.uses_vcc, 1
	.set _ZL26rocblas_hemvn_kernel_upperILb0ELi64ELi4ELi33ELi32ELi16ElPKdPKS1_PdEviT6_lT7_lT5_lS6_lS7_lS5_lT8_i.uses_flat_scratch, 1
	.set _ZL26rocblas_hemvn_kernel_upperILb0ELi64ELi4ELi33ELi32ELi16ElPKdPKS1_PdEviT6_lT7_lT5_lS6_lS7_lS5_lT8_i.has_dyn_sized_stack, 0
	.set _ZL26rocblas_hemvn_kernel_upperILb0ELi64ELi4ELi33ELi32ELi16ElPKdPKS1_PdEviT6_lT7_lT5_lS6_lS7_lS5_lT8_i.has_recursion, 0
	.set _ZL26rocblas_hemvn_kernel_upperILb0ELi64ELi4ELi33ELi32ELi16ElPKdPKS1_PdEviT6_lT7_lT5_lS6_lS7_lS5_lT8_i.has_indirect_call, 0
	.section	.AMDGPU.csdata,"",@progbits
; Kernel info:
; codeLenInByte = 9592
; TotalNumSgprs: 84
; NumVgprs: 211
; ScratchSize: 0
; MemoryBound: 0
; FloatMode: 240
; IeeeMode: 1
; LDSByteSize: 9600 bytes/workgroup (compile time only)
; SGPRBlocks: 0
; VGPRBlocks: 26
; NumSGPRsForWavesPerEU: 84
; NumVGPRsForWavesPerEU: 211
; Occupancy: 7
; WaveLimiterHint : 1
; COMPUTE_PGM_RSRC2:SCRATCH_EN: 0
; COMPUTE_PGM_RSRC2:USER_SGPR: 2
; COMPUTE_PGM_RSRC2:TRAP_HANDLER: 0
; COMPUTE_PGM_RSRC2:TGID_X_EN: 1
; COMPUTE_PGM_RSRC2:TGID_Y_EN: 0
; COMPUTE_PGM_RSRC2:TGID_Z_EN: 1
; COMPUTE_PGM_RSRC2:TIDIG_COMP_CNT: 1
	.section	.text._ZL36rocblas_hemvn_kernel_upper_block_sumILi64ElPKdPKPddEviT1_lS5_lT2_lT0_lPT3_i,"axG",@progbits,_ZL36rocblas_hemvn_kernel_upper_block_sumILi64ElPKdPKPddEviT1_lS5_lT2_lT0_lPT3_i,comdat
	.globl	_ZL36rocblas_hemvn_kernel_upper_block_sumILi64ElPKdPKPddEviT1_lS5_lT2_lT0_lPT3_i ; -- Begin function _ZL36rocblas_hemvn_kernel_upper_block_sumILi64ElPKdPKPddEviT1_lS5_lT2_lT0_lPT3_i
	.p2align	8
	.type	_ZL36rocblas_hemvn_kernel_upper_block_sumILi64ElPKdPKPddEviT1_lS5_lT2_lT0_lPT3_i,@function
_ZL36rocblas_hemvn_kernel_upper_block_sumILi64ElPKdPKPddEviT1_lS5_lT2_lT0_lPT3_i: ; @_ZL36rocblas_hemvn_kernel_upper_block_sumILi64ElPKdPKPddEviT1_lS5_lT2_lT0_lPT3_i
; %bb.0:
	s_load_b32 s22, s[0:1], 0x50
	s_lshr_b32 s2, ttmp7, 16
	s_wait_kmcnt 0x0
	s_cmp_ge_u32 s2, s22
	s_cbranch_scc1 .LBB161_24
; %bb.1:
	s_clause 0x1
	s_load_b128 s[12:15], s[0:1], 0x30
	s_load_b32 s18, s[0:1], 0x0
	v_lshl_or_b32 v0, ttmp9, 6, v0
	s_clause 0x2
	s_load_b64 s[20:21], s[0:1], 0x48
	s_load_b64 s[16:17], s[0:1], 0x28
	s_load_b256 s[4:11], s[0:1], 0x8
	v_mov_b32_e32 v12, 0
	s_mov_b32 s3, 0
	v_ashrrev_i32_e32 v1, 31, v0
	s_delay_alu instid0(VALU_DEP_1)
	v_lshlrev_b64_e32 v[4:5], 3, v[0:1]
	s_wait_kmcnt 0x0
	v_mul_lo_u32 v6, s14, v1
	v_mul_lo_u32 v7, s15, v0
	v_mad_co_u64_u32 v[2:3], null, s14, v0, 0
	s_add_nc_u64 s[14:15], s[0:1], 0x58
	v_cmp_gt_i32_e64 s0, s18, v0
	v_add_co_u32 v0, vcc_lo, s20, v4
	s_ashr_i32 s19, s18, 31
	v_add_co_ci_u32_e64 v1, null, s21, v5, vcc_lo
	v_add3_u32 v3, v3, v6, v7
	s_cmp_gt_i32 ttmp9, -1
	s_cselect_b32 s23, -1, 0
	s_add_co_i32 s24, ttmp9, 1
	s_delay_alu instid0(VALU_DEP_1)
	v_lshlrev_b64_e32 v[2:3], 3, v[2:3]
	s_wait_alu 0xfffe
	s_lshl_b64 s[18:19], s[18:19], 3
	s_lshl_b64 s[12:13], s[12:13], 3
	s_branch .LBB161_4
.LBB161_2:                              ;   in Loop: Header=BB161_4 Depth=1
	s_or_b32 exec_lo, exec_lo, s25
.LBB161_3:                              ;   in Loop: Header=BB161_4 Depth=1
	s_add_co_i32 s2, s2, 0x10000
	s_wait_alu 0xfffe
	s_cmp_lt_u32 s2, s22
	s_cbranch_scc0 .LBB161_24
.LBB161_4:                              ; =>This Loop Header: Depth=1
                                        ;     Child Loop BB161_15 Depth 2
	s_mul_u64 s[20:21], s[6:7], s[2:3]
	s_mul_u64 s[26:27], s[10:11], s[2:3]
	s_wait_alu 0xfffe
	s_lshl_b64 s[20:21], s[20:21], 3
	s_lshl_b64 s[26:27], s[26:27], 3
	s_wait_alu 0xfffe
	s_add_nc_u64 s[20:21], s[4:5], s[20:21]
	s_add_nc_u64 s[26:27], s[8:9], s[26:27]
	s_clause 0x1
	global_load_b64 v[4:5], v12, s[20:21]
	global_load_b64 v[6:7], v12, s[26:27]
	s_wait_loadcnt 0x1
	v_cmp_eq_f64_e32 vcc_lo, 0, v[4:5]
	s_wait_loadcnt 0x0
	v_cmp_eq_f64_e64 s1, 1.0, v[6:7]
	s_and_b32 s1, vcc_lo, s1
	s_wait_alu 0xfffe
	s_and_b32 vcc_lo, exec_lo, s1
	s_wait_alu 0xfffe
	s_cbranch_vccnz .LBB161_3
; %bb.5:                                ;   in Loop: Header=BB161_4 Depth=1
	v_cmp_neq_f64_e32 vcc_lo, 0, v[4:5]
	s_lshl_b64 s[20:21], s[2:3], 3
	s_wait_alu 0xfffe
	s_add_nc_u64 s[20:21], s[16:17], s[20:21]
	s_load_b64 s[20:21], s[20:21], 0x0
	s_wait_kmcnt 0x0
	s_add_nc_u64 s[20:21], s[20:21], s[12:13]
	s_cbranch_vccnz .LBB161_10
; %bb.6:                                ;   in Loop: Header=BB161_4 Depth=1
	s_mov_b32 s25, 0
	s_mov_b32 s1, 0
                                        ; implicit-def: $vgpr8_vgpr9
	s_and_saveexec_b32 s26, s0
	s_cbranch_execz .LBB161_11
; %bb.7:                                ;   in Loop: Header=BB161_4 Depth=1
	v_cmp_eq_f64_e32 vcc_lo, 0, v[6:7]
	v_mov_b32_e32 v8, 0
	v_mov_b32_e32 v9, 0
	s_cbranch_vccnz .LBB161_9
; %bb.8:                                ;   in Loop: Header=BB161_4 Depth=1
	s_wait_alu 0xfffe
	v_add_co_u32 v8, vcc_lo, s20, v2
	s_wait_alu 0xfffd
	v_add_co_ci_u32_e64 v9, null, s21, v3, vcc_lo
	flat_load_b64 v[8:9], v[8:9]
	s_wait_loadcnt_dscnt 0x0
	v_mul_f64_e32 v[8:9], v[6:7], v[8:9]
.LBB161_9:                              ;   in Loop: Header=BB161_4 Depth=1
	s_mov_b32 s1, exec_lo
	s_wait_alu 0xfffe
	s_or_b32 exec_lo, exec_lo, s26
	s_delay_alu instid0(SALU_CYCLE_1)
	s_and_b32 vcc_lo, exec_lo, s25
	s_wait_alu 0xfffe
	s_cbranch_vccnz .LBB161_12
	s_branch .LBB161_21
.LBB161_10:                             ;   in Loop: Header=BB161_4 Depth=1
	s_mov_b32 s1, 0
                                        ; implicit-def: $vgpr8_vgpr9
	s_cbranch_execnz .LBB161_12
	s_branch .LBB161_21
.LBB161_11:                             ;   in Loop: Header=BB161_4 Depth=1
	s_wait_alu 0xfffe
	s_or_b32 exec_lo, exec_lo, s26
	s_delay_alu instid0(SALU_CYCLE_1)
	s_and_b32 vcc_lo, exec_lo, s25
	s_wait_alu 0xfffe
	s_cbranch_vccz .LBB161_21
.LBB161_12:                             ;   in Loop: Header=BB161_4 Depth=1
                                        ; implicit-def: $vgpr8_vgpr9
	s_and_saveexec_b32 s25, s0
	s_cbranch_execz .LBB161_20
; %bb.13:                               ;   in Loop: Header=BB161_4 Depth=1
	v_mov_b32_e32 v10, 0
	v_mov_b32_e32 v11, 0
	s_and_not1_b32 vcc_lo, exec_lo, s23
	s_wait_alu 0xfffe
	s_cbranch_vccnz .LBB161_16
; %bb.14:                               ;   in Loop: Header=BB161_4 Depth=1
	s_load_b32 s26, s[14:15], 0x0
	s_mov_b32 s27, s3
	s_wait_kmcnt 0x0
	s_wait_alu 0xfffe
	s_mul_u64 s[26:27], s[18:19], s[26:27]
	s_wait_alu 0xfffe
	v_mad_co_u64_u32 v[8:9], null, s26, s2, v[0:1]
	s_mov_b32 s26, s24
	v_mad_co_u64_u32 v[9:10], null, s27, s2, v[9:10]
	v_mov_b32_e32 v10, 0
	v_mov_b32_e32 v11, 0
.LBB161_15:                             ;   Parent Loop BB161_4 Depth=1
                                        ; =>  This Inner Loop Header: Depth=2
	global_load_b64 v[13:14], v[8:9], off
	v_add_co_u32 v8, vcc_lo, v8, s18
	s_wait_alu 0xfffd
	v_add_co_ci_u32_e64 v9, null, s19, v9, vcc_lo
	s_wait_alu 0xfffe
	s_add_co_i32 s26, s26, -1
	s_wait_alu 0xfffe
	s_cmp_eq_u32 s26, 0
	s_wait_loadcnt 0x0
	v_add_f64_e32 v[10:11], v[10:11], v[13:14]
	s_cbranch_scc0 .LBB161_15
.LBB161_16:                             ;   in Loop: Header=BB161_4 Depth=1
	v_cmp_eq_f64_e32 vcc_lo, 0, v[6:7]
	s_cbranch_vccz .LBB161_23
; %bb.17:                               ;   in Loop: Header=BB161_4 Depth=1
	s_delay_alu instid0(VALU_DEP_2)
	v_mul_f64_e32 v[8:9], v[4:5], v[10:11]
	s_cbranch_execnz .LBB161_19
.LBB161_18:                             ;   in Loop: Header=BB161_4 Depth=1
	v_add_co_u32 v8, vcc_lo, s20, v2
	s_wait_alu 0xfffd
	v_add_co_ci_u32_e64 v9, null, s21, v3, vcc_lo
	flat_load_b64 v[8:9], v[8:9]
	s_wait_loadcnt_dscnt 0x0
	v_mul_f64_e32 v[6:7], v[6:7], v[8:9]
	s_delay_alu instid0(VALU_DEP_1)
	v_fma_f64 v[8:9], v[4:5], v[10:11], v[6:7]
.LBB161_19:                             ;   in Loop: Header=BB161_4 Depth=1
	s_or_b32 s1, s1, exec_lo
.LBB161_20:                             ;   in Loop: Header=BB161_4 Depth=1
	s_or_b32 exec_lo, exec_lo, s25
.LBB161_21:                             ;   in Loop: Header=BB161_4 Depth=1
	s_wait_alu 0xfffe
	s_and_saveexec_b32 s25, s1
	s_cbranch_execz .LBB161_2
; %bb.22:                               ;   in Loop: Header=BB161_4 Depth=1
	v_add_co_u32 v4, vcc_lo, s20, v2
	s_wait_alu 0xfffd
	v_add_co_ci_u32_e64 v5, null, s21, v3, vcc_lo
	flat_store_b64 v[4:5], v[8:9]
	s_branch .LBB161_2
.LBB161_23:                             ;   in Loop: Header=BB161_4 Depth=1
                                        ; implicit-def: $vgpr8_vgpr9
	s_branch .LBB161_18
.LBB161_24:
	s_endpgm
	.section	.rodata,"a",@progbits
	.p2align	6, 0x0
	.amdhsa_kernel _ZL36rocblas_hemvn_kernel_upper_block_sumILi64ElPKdPKPddEviT1_lS5_lT2_lT0_lPT3_i
		.amdhsa_group_segment_fixed_size 0
		.amdhsa_private_segment_fixed_size 0
		.amdhsa_kernarg_size 344
		.amdhsa_user_sgpr_count 2
		.amdhsa_user_sgpr_dispatch_ptr 0
		.amdhsa_user_sgpr_queue_ptr 0
		.amdhsa_user_sgpr_kernarg_segment_ptr 1
		.amdhsa_user_sgpr_dispatch_id 0
		.amdhsa_user_sgpr_private_segment_size 0
		.amdhsa_wavefront_size32 1
		.amdhsa_uses_dynamic_stack 0
		.amdhsa_enable_private_segment 0
		.amdhsa_system_sgpr_workgroup_id_x 1
		.amdhsa_system_sgpr_workgroup_id_y 0
		.amdhsa_system_sgpr_workgroup_id_z 1
		.amdhsa_system_sgpr_workgroup_info 0
		.amdhsa_system_vgpr_workitem_id 0
		.amdhsa_next_free_vgpr 15
		.amdhsa_next_free_sgpr 28
		.amdhsa_reserve_vcc 1
		.amdhsa_float_round_mode_32 0
		.amdhsa_float_round_mode_16_64 0
		.amdhsa_float_denorm_mode_32 3
		.amdhsa_float_denorm_mode_16_64 3
		.amdhsa_fp16_overflow 0
		.amdhsa_workgroup_processor_mode 1
		.amdhsa_memory_ordered 1
		.amdhsa_forward_progress 1
		.amdhsa_inst_pref_size 7
		.amdhsa_round_robin_scheduling 0
		.amdhsa_exception_fp_ieee_invalid_op 0
		.amdhsa_exception_fp_denorm_src 0
		.amdhsa_exception_fp_ieee_div_zero 0
		.amdhsa_exception_fp_ieee_overflow 0
		.amdhsa_exception_fp_ieee_underflow 0
		.amdhsa_exception_fp_ieee_inexact 0
		.amdhsa_exception_int_div_zero 0
	.end_amdhsa_kernel
	.section	.text._ZL36rocblas_hemvn_kernel_upper_block_sumILi64ElPKdPKPddEviT1_lS5_lT2_lT0_lPT3_i,"axG",@progbits,_ZL36rocblas_hemvn_kernel_upper_block_sumILi64ElPKdPKPddEviT1_lS5_lT2_lT0_lPT3_i,comdat
.Lfunc_end161:
	.size	_ZL36rocblas_hemvn_kernel_upper_block_sumILi64ElPKdPKPddEviT1_lS5_lT2_lT0_lPT3_i, .Lfunc_end161-_ZL36rocblas_hemvn_kernel_upper_block_sumILi64ElPKdPKPddEviT1_lS5_lT2_lT0_lPT3_i
                                        ; -- End function
	.set _ZL36rocblas_hemvn_kernel_upper_block_sumILi64ElPKdPKPddEviT1_lS5_lT2_lT0_lPT3_i.num_vgpr, 15
	.set _ZL36rocblas_hemvn_kernel_upper_block_sumILi64ElPKdPKPddEviT1_lS5_lT2_lT0_lPT3_i.num_agpr, 0
	.set _ZL36rocblas_hemvn_kernel_upper_block_sumILi64ElPKdPKPddEviT1_lS5_lT2_lT0_lPT3_i.numbered_sgpr, 28
	.set _ZL36rocblas_hemvn_kernel_upper_block_sumILi64ElPKdPKPddEviT1_lS5_lT2_lT0_lPT3_i.num_named_barrier, 0
	.set _ZL36rocblas_hemvn_kernel_upper_block_sumILi64ElPKdPKPddEviT1_lS5_lT2_lT0_lPT3_i.private_seg_size, 0
	.set _ZL36rocblas_hemvn_kernel_upper_block_sumILi64ElPKdPKPddEviT1_lS5_lT2_lT0_lPT3_i.uses_vcc, 1
	.set _ZL36rocblas_hemvn_kernel_upper_block_sumILi64ElPKdPKPddEviT1_lS5_lT2_lT0_lPT3_i.uses_flat_scratch, 0
	.set _ZL36rocblas_hemvn_kernel_upper_block_sumILi64ElPKdPKPddEviT1_lS5_lT2_lT0_lPT3_i.has_dyn_sized_stack, 0
	.set _ZL36rocblas_hemvn_kernel_upper_block_sumILi64ElPKdPKPddEviT1_lS5_lT2_lT0_lPT3_i.has_recursion, 0
	.set _ZL36rocblas_hemvn_kernel_upper_block_sumILi64ElPKdPKPddEviT1_lS5_lT2_lT0_lPT3_i.has_indirect_call, 0
	.section	.AMDGPU.csdata,"",@progbits
; Kernel info:
; codeLenInByte = 792
; TotalNumSgprs: 30
; NumVgprs: 15
; ScratchSize: 0
; MemoryBound: 0
; FloatMode: 240
; IeeeMode: 1
; LDSByteSize: 0 bytes/workgroup (compile time only)
; SGPRBlocks: 0
; VGPRBlocks: 1
; NumSGPRsForWavesPerEU: 30
; NumVGPRsForWavesPerEU: 15
; Occupancy: 16
; WaveLimiterHint : 1
; COMPUTE_PGM_RSRC2:SCRATCH_EN: 0
; COMPUTE_PGM_RSRC2:USER_SGPR: 2
; COMPUTE_PGM_RSRC2:TRAP_HANDLER: 0
; COMPUTE_PGM_RSRC2:TGID_X_EN: 1
; COMPUTE_PGM_RSRC2:TGID_Y_EN: 0
; COMPUTE_PGM_RSRC2:TGID_Z_EN: 1
; COMPUTE_PGM_RSRC2:TIDIG_COMP_CNT: 0
	.section	.text._ZL26rocblas_hemvn_kernel_upperILb0ELi64ELi4ELi33ELi32ELi16EiPKdPKS1_PdEviT6_lT7_lT5_lS6_lS7_lS5_lT8_i,"axG",@progbits,_ZL26rocblas_hemvn_kernel_upperILb0ELi64ELi4ELi33ELi32ELi16EiPKdPKS1_PdEviT6_lT7_lT5_lS6_lS7_lS5_lT8_i,comdat
	.globl	_ZL26rocblas_hemvn_kernel_upperILb0ELi64ELi4ELi33ELi32ELi16EiPKdPKS1_PdEviT6_lT7_lT5_lS6_lS7_lS5_lT8_i ; -- Begin function _ZL26rocblas_hemvn_kernel_upperILb0ELi64ELi4ELi33ELi32ELi16EiPKdPKS1_PdEviT6_lT7_lT5_lS6_lS7_lS5_lT8_i
	.p2align	8
	.type	_ZL26rocblas_hemvn_kernel_upperILb0ELi64ELi4ELi33ELi32ELi16EiPKdPKS1_PdEviT6_lT7_lT5_lS6_lS7_lS5_lT8_i,@function
_ZL26rocblas_hemvn_kernel_upperILb0ELi64ELi4ELi33ELi32ELi16EiPKdPKS1_PdEviT6_lT7_lT5_lS6_lS7_lS5_lT8_i: ; @_ZL26rocblas_hemvn_kernel_upperILb0ELi64ELi4ELi33ELi32ELi16EiPKdPKS1_PdEviT6_lT7_lT5_lS6_lS7_lS5_lT8_i
; %bb.0:
	s_clause 0x1
	s_load_b64 s[2:3], s[0:1], 0x84
	s_load_b32 s33, s[0:1], 0x70
	s_lshr_b32 s34, ttmp7, 16
	s_wait_kmcnt 0x0
	s_lshr_b32 s4, s2, 16
	s_and_b32 s2, s2, 0xffff
	s_and_b32 s3, s3, 0xffff
	s_mul_i32 s2, s4, s2
	s_delay_alu instid0(SALU_CYCLE_1) | instskip(NEXT) | instid1(SALU_CYCLE_1)
	s_mul_i32 s2, s2, s3
	s_cmp_lg_u32 s2, 0x100
	s_cselect_b32 s2, -1, 0
	s_cmp_ge_u32 s34, s33
	s_cselect_b32 s3, -1, 0
	s_delay_alu instid0(SALU_CYCLE_1) | instskip(NEXT) | instid1(SALU_CYCLE_1)
	s_or_b32 s2, s2, s3
	s_and_b32 vcc_lo, exec_lo, s2
	s_cbranch_vccnz .LBB162_131
; %bb.1:
	s_load_b32 s4, s[0:1], 0x0
	s_add_nc_u64 s[6:7], s[0:1], 0x78
	s_load_b32 s18, s[0:1], 0x28
	s_load_b32 s40, s[6:7], 0x0
	s_clause 0x4
	s_load_b256 s[20:27], s[0:1], 0x8
	s_load_b128 s[28:31], s[0:1], 0x38
	s_load_b32 s56, s[0:1], 0x48
	s_load_b64 s[6:7], s[0:1], 0x68
	s_load_b128 s[36:39], s[0:1], 0x58
	s_lshl_b32 s90, ttmp9, 6
	v_and_b32_e32 v48, 0x3ff, v0
	v_bfe_u32 v3, v0, 10, 10
	s_mov_b32 s35, 0
	s_mov_b32 s2, ttmp9
	s_mov_b32 s41, s35
	v_dual_mov_b32 v100, 0 :: v_dual_and_b32 v1, 31, v0
	v_lshl_add_u32 v12, v3, 6, v48
                                        ; implicit-def: $vgpr208 : SGPR spill to VGPR lane
	v_add_nc_u32_e32 v2, s90, v48
	v_lshlrev_b32_e32 v105, 2, v3
	v_lshlrev_b32_e32 v98, 3, v48
	;; [unrolled: 1-line block ×3, first 2 shown]
	s_wait_kmcnt 0x0
	s_ashr_i32 s19, s18, 31
	s_add_co_i32 s1, s40, -1
	v_lshrrev_b32_e32 v10, 5, v12
	s_mul_i32 s92, s18, s90
	s_ashr_i32 s5, s4, 31
	s_mul_i32 s50, s18, 24
	s_lshr_b32 s0, s5, 26
	v_add_nc_u32_e32 v11, 8, v10
	s_add_co_i32 s0, s4, s0
	v_add_nc_u32_e32 v13, 16, v10
	s_and_not1_b32 s0, s0, 63
	v_mad_co_u64_u32 v[6:7], null, s18, v10, v[1:2]
	s_sub_co_i32 s100, s4, s0
	s_cmp_eq_u32 ttmp9, s1
	v_lshlrev_b32_e32 v17, 2, v10
	s_cselect_b32 s42, s100, 0
	v_mul_u32_u24_e32 v15, 0x108, v10
	s_cmp_lg_u32 s42, 0
	v_add_nc_u32_e32 v16, 24, v10
	s_cselect_b32 s101, -1, 0
	s_cmp_eq_u32 s42, 0
	v_mul_u32_u24_e32 v19, 0x420, v10
	s_cselect_b32 s1, -1, 0
	s_ashr_i32 s3, ttmp9, 31
	v_lshlrev_b32_e32 v23, 3, v10
	s_mul_u64 s[2:3], s[4:5], s[2:3]
	s_mul_u64 s[4:5], s[40:41], s[4:5]
	s_lshl_b64 s[2:3], s[2:3], 3
	v_writelane_b32 v208, s4, 0
	s_add_nc_u64 s[46:47], s[6:7], s[2:3]
	v_sub_co_u32 v8, s2, 0, v1
	s_delay_alu instid0(VALU_DEP_1)
	v_sub_co_ci_u32_e64 v9, null, 0, 0, s2
	v_writelane_b32 v208, s5, 1
	v_cmp_gt_i32_e64 s2, s42, v10
	v_cmp_eq_u32_e64 s16, 1, v10
	v_mul_i32_i24_e32 v106, 0xffffffe8, v10
	v_ashrrev_i32_e32 v7, 31, v6
	v_cmp_gt_u32_e64 s6, v17, v1
	s_wait_alu 0xf1ff
	v_writelane_b32 v208, s2, 2
	v_cmp_gt_i32_e64 s2, s42, v11
	v_or_b32_e32 v20, 1, v17
	v_cmp_ge_u32_e64 s7, v17, v1
	v_or_b32_e32 v21, 2, v17
	v_or_b32_e32 v17, 3, v17
	s_wait_alu 0xf1ff
	v_writelane_b32 v208, s2, 3
	v_cmp_gt_i32_e64 s2, s42, v13
	v_cmp_gt_i32_e32 vcc_lo, s42, v48
	s_lshl_b32 s48, s18, 3
	v_cmp_gt_u32_e64 s9, v17, v1
	v_or_b32_e32 v17, 32, v1
	v_writelane_b32 v208, s2, 4
	s_sub_co_i32 s2, s42, 32
	s_lshl_b32 s76, s18, 4
	s_wait_alu 0xfffe
	v_cmp_gt_i32_e64 s12, s2, v10
	v_cmp_gt_i32_e64 s13, s2, v11
	v_mad_co_u64_u32 v[10:11], null, s18, v105, v[48:49]
	v_cmp_gt_i32_e64 s14, s2, v13
	v_lshrrev_b32_e32 v13, 4, v12
	v_lshlrev_b64_e32 v[49:50], 3, v[6:7]
	v_cmp_gt_i32_e64 s5, s42, v16
	s_lshl_b32 s62, s18, 5
	v_cmp_gt_i32_e64 s11, s42, v17
	v_ashrrev_i32_e32 v11, 31, v10
	v_cmp_gt_i32_e64 s15, s2, v16
	s_mul_i32 s2, s56, s90
	v_and_b32_e32 v16, 15, v0
	v_lshlrev_b32_e32 v17, 5, v13
	s_or_b32 s41, s1, vcc_lo
	s_add_co_i32 s4, ttmp9, 1
	v_lshlrev_b64_e32 v[6:7], 3, v[10:11]
	v_sub_co_u32 v132, vcc_lo, 0, v49
	s_ashr_i32 s91, s90, 31
	s_ashr_i32 s93, s92, 31
	;; [unrolled: 1-line block ×7, first 2 shown]
	s_wait_alu 0xfffe
	s_ashr_i32 s3, s2, 31
	v_and_b32_e32 v18, 0x7fe0, v12
	v_cmp_gt_u32_e64 s10, 32, v12
	s_cmp_lt_u32 s4, s40
	v_cmp_gt_u32_e64 s17, 64, v12
	v_sub_co_ci_u32_e64 v133, null, 0, v50, vcc_lo
	v_add_co_u32 v12, vcc_lo, s62, v10
	v_mul_lo_u32 v4, s56, v2
	s_cselect_b32 s102, -1, 0
	s_lshl_b32 s104, s56, 6
	v_mad_u32_u24 v110, 0x218, v16, v17
	v_mul_i32_i24_e32 v17, 0xffffffe8, v13
	s_mul_i32 s56, s56, s4
	s_wait_alu 0xfffd
	v_add_co_ci_u32_e64 v13, null, s63, v11, vcc_lo
	s_wait_alu 0xfffe
	s_sub_nc_u64 s[94:95], 0, s[2:3]
	s_lshl_b32 s2, s56, 6
	s_lshl_b64 s[56:57], s[62:63], 3
	v_sub_co_u32 v134, vcc_lo, v6, v49
	s_add_nc_u64 s[62:63], s[62:63], s[76:77]
	s_wait_alu 0xfffd
	v_sub_co_ci_u32_e64 v135, null, v7, v50, vcc_lo
	s_wait_alu 0xfffe
	v_add_co_u32 v10, vcc_lo, s62, v10
	v_lshlrev_b64_e32 v[6:7], 3, v[12:13]
	s_wait_alu 0xfffd
	v_add_co_ci_u32_e64 v11, null, s63, v11, vcc_lo
	v_and_b32_e32 v0, 48, v0
	s_lshl_b32 s64, s18, 1
	s_mul_i32 s66, s18, 3
	s_lshl_b64 s[54:55], s[18:19], 6
	s_lshl_b64 s[84:85], s[18:19], 3
	;; [unrolled: 1-line block ×3, first 2 shown]
	s_mul_u64 s[70:71], s[18:19], 24
	s_add_nc_u64 s[18:19], s[18:19], s[76:77]
	v_lshlrev_b64_e32 v[10:11], 3, v[10:11]
	s_wait_alu 0xfffe
	v_mad_co_u64_u32 v[51:52], null, s18, 24, v[6:7]
	v_lshlrev_b32_e32 v0, 3, v0
	v_add_co_u32 v136, vcc_lo, s70, v6
	s_wait_alu 0xfffd
	v_add_co_ci_u32_e64 v137, null, s71, v7, vcc_lo
	s_lshl_b64 s[82:83], s[76:77], 4
	v_add_co_u32 v138, vcc_lo, s70, v10
	v_add_nc_u32_e32 v99, 0x2380, v98
	v_mad_u32_u24 v111, 0x218, v16, v0
	s_wait_alu 0xfffd
	v_add_co_ci_u32_e64 v139, null, s71, v11, vcc_lo
	s_add_nc_u64 s[70:71], s[70:71], s[82:83]
	s_mul_u64 s[78:79], s[76:77], 24
	v_mov_b32_e32 v0, v52
	v_mad_co_i64_i32 v[52:53], null, s76, 24, v[6:7]
	s_wait_alu 0xfffe
	v_add_co_u32 v140, vcc_lo, s70, v6
	s_add_nc_u64 s[78:79], s[78:79], s[74:75]
	v_lshl_or_b32 v101, v1, 8, v14
	s_wait_alu 0xfffd
	v_add_co_ci_u32_e64 v141, null, s71, v7, vcc_lo
	v_add_co_u32 v142, vcc_lo, s78, v6
	s_ashr_i32 s65, s64, 31
	s_wait_alu 0xfffd
	v_add_co_ci_u32_e64 v143, null, s79, v7, vcc_lo
	v_mad_co_u64_u32 v[6:7], null, s19, 24, v[0:1]
	v_cmp_eq_u32_e64 s0, 0, v3
	v_ashrrev_i32_e32 v5, 31, v4
	v_lshl_add_u32 v108, v3, 5, 0x2180
	v_mad_u32_u24 v109, 0x860, v3, v98
	s_ashr_i32 s67, s66, 31
	v_mad_u32_u24 v128, 0x218, v3, v98
	v_ashrrev_i32_e32 v3, 31, v2
	s_lshl_b64 s[86:87], s[64:65], 3
	v_add_co_u32 v144, vcc_lo, v52, s84
	v_add_nc_u32_e32 v102, v101, v18
	v_mul_u32_u24_e32 v22, 33, v1
	v_mul_u32_u24_e32 v20, 0x108, v20
	v_add_nc_u32_e32 v103, 0x2380, v18
	v_or_b32_e32 v18, 0x78, v98
	s_lshl_b64 s[88:89], s[66:67], 3
	s_wait_alu 0xfffd
	v_add_co_ci_u32_e64 v145, null, s85, v53, vcc_lo
	v_add_co_u32 v146, vcc_lo, v52, s86
	s_wait_alu 0xfffd
	v_add_co_ci_u32_e64 v147, null, s87, v53, vcc_lo
	v_add_co_u32 v148, vcc_lo, v52, s88
	s_lshl_b64 s[68:69], s[76:77], 3
	v_lshlrev_b64_e32 v[54:55], 3, v[4:5]
	v_lshlrev_b64_e32 v[56:57], 3, v[8:9]
	;; [unrolled: 1-line block ×3, first 2 shown]
	v_cmp_gt_i32_e64 s1, s42, v1
	v_cmp_gt_u32_e64 s8, v21, v1
	v_lshl_add_u32 v104, v22, 3, v23
	v_add_nc_u32_e32 v107, 0x2180, v98
	v_mad_u32_u24 v112, 0x218, v16, v18
	v_or_b32_e32 v113, 1, v105
	v_or_b32_e32 v114, 2, v105
	;; [unrolled: 1-line block ×3, first 2 shown]
	v_add_nc_u32_e32 v116, 16, v105
	v_add_nc_u32_e32 v117, 17, v105
	;; [unrolled: 1-line block ×15, first 2 shown]
	s_wait_alu 0xfffd
	v_add_co_ci_u32_e64 v149, null, s89, v53, vcc_lo
	v_mov_b32_e32 v150, v6
	v_add_nc_u32_e32 v151, v14, v15
	v_add_nc_u32_e32 v152, v14, v19
	v_add_nc_u32_e32 v153, v14, v20
	v_add_nc_u32_e32 v154, v110, v17
	v_lshlrev_b32_e32 v155, 3, v1
	s_add_nc_u64 s[58:59], s[74:75], s[56:57]
	s_add_nc_u64 s[62:63], s[84:85], s[56:57]
	;; [unrolled: 1-line block ×4, first 2 shown]
	s_add_co_i32 s103, s40, -2
	s_and_b32 vcc_hi, s0, s41
	s_sub_nc_u64 s[52:53], 0, s[42:43]
	s_lshl_b64 s[60:61], s[76:77], 5
	s_add_nc_u64 s[64:65], s[56:57], s[86:87]
	s_add_nc_u64 s[66:67], s[56:57], s[88:89]
	;; [unrolled: 1-line block ×3, first 2 shown]
	s_wait_alu 0xfffe
	s_add_nc_u64 s[72:73], s[62:63], s[68:69]
	s_add_nc_u64 s[76:77], s[74:75], s[86:87]
	;; [unrolled: 1-line block ×7, first 2 shown]
	s_lshl_b64 s[90:91], s[90:91], 3
	s_lshl_b64 s[92:93], s[92:93], 3
	;; [unrolled: 1-line block ×5, first 2 shown]
	s_branch .LBB162_4
.LBB162_2:                              ;   in Loop: Header=BB162_4 Depth=1
	s_wait_alu 0xfffe
	s_or_b32 exec_lo, exec_lo, s3
.LBB162_3:                              ;   in Loop: Header=BB162_4 Depth=1
	s_add_co_i32 s34, s34, 0x10000
	s_delay_alu instid0(SALU_CYCLE_1)
	s_cmp_lt_u32 s34, s33
	s_cbranch_scc0 .LBB162_131
.LBB162_4:                              ; =>This Loop Header: Depth=1
                                        ;     Child Loop BB162_71 Depth 2
	s_mul_u64 s[18:19], s[22:23], s[34:35]
	s_mul_u64 s[96:97], s[38:39], s[34:35]
	s_wait_alu 0xfffe
	s_lshl_b64 s[18:19], s[18:19], 3
	s_lshl_b64 s[96:97], s[96:97], 3
	s_wait_alu 0xfffe
	s_add_nc_u64 s[18:19], s[20:21], s[18:19]
	s_add_nc_u64 s[96:97], s[36:37], s[96:97]
	s_clause 0x1
	global_load_b64 v[0:1], v100, s[18:19]
	global_load_b64 v[2:3], v100, s[96:97]
	s_wait_loadcnt 0x1
	v_cmp_eq_f64_e64 s18, 0, v[0:1]
	s_wait_loadcnt 0x0
	v_cmp_eq_f64_e32 vcc_lo, 1.0, v[2:3]
	s_wait_alu 0xfffe
	s_and_b32 s3, s18, vcc_lo
	s_wait_alu 0xfffe
	s_and_b32 vcc_lo, exec_lo, s3
	s_wait_alu 0xfffe
	s_cbranch_vccnz .LBB162_3
; %bb.5:                                ;   in Loop: Header=BB162_4 Depth=1
	s_and_b32 vcc_lo, exec_lo, s18
	s_wait_alu 0xfffe
	s_cbranch_vccz .LBB162_7
; %bb.6:                                ;   in Loop: Header=BB162_4 Depth=1
	s_cbranch_execnz .LBB162_3
	s_branch .LBB162_8
.LBB162_7:                              ;   in Loop: Header=BB162_4 Depth=1
.LBB162_8:                              ;   in Loop: Header=BB162_4 Depth=1
	s_lshl_b64 s[18:19], s[34:35], 3
	s_wait_alu 0xfffe
	s_add_nc_u64 s[96:97], s[28:29], s[18:19]
	s_add_nc_u64 s[18:19], s[24:25], s[18:19]
	s_clause 0x1
	global_load_b64 v[2:3], v100, s[96:97]
	global_load_b64 v[0:1], v100, s[18:19]
	s_wait_loadcnt 0x1
	v_add_co_u32 v2, vcc_lo, v2, s30
	s_wait_alu 0xfffd
	v_add_co_ci_u32_e64 v3, null, s31, v3, vcc_lo
	s_delay_alu instid0(VALU_DEP_2) | instskip(SKIP_1) | instid1(VALU_DEP_2)
	v_add_co_u32 v12, vcc_lo, v2, v54
	s_wait_alu 0xfffd
	v_add_co_ci_u32_e64 v13, null, v3, v55, vcc_lo
	s_and_saveexec_b32 s3, s0
	s_cbranch_execz .LBB162_12
; %bb.9:                                ;   in Loop: Header=BB162_4 Depth=1
	v_mov_b32_e32 v2, 0
	v_mov_b32_e32 v3, 0
	s_and_saveexec_b32 s4, s41
	s_cbranch_execz .LBB162_11
; %bb.10:                               ;   in Loop: Header=BB162_4 Depth=1
	flat_load_b64 v[2:3], v[12:13]
.LBB162_11:                             ;   in Loop: Header=BB162_4 Depth=1
	s_wait_alu 0xfffe
	s_or_b32 exec_lo, exec_lo, s4
	s_wait_loadcnt_dscnt 0x0
	ds_store_b64 v99, v[2:3]
.LBB162_12:                             ;   in Loop: Header=BB162_4 Depth=1
	s_wait_alu 0xfffe
	s_or_b32 exec_lo, exec_lo, s3
	s_wait_loadcnt 0x0
	v_add_co_u32 v0, vcc_lo, v0, s26
	s_wait_alu 0xfffd
	v_add_co_ci_u32_e64 v1, null, s27, v1, vcc_lo
	s_mov_b32 s3, -1
	v_add_co_u32 v0, vcc_lo, v0, s90
	s_wait_alu 0xfffd
	v_add_co_ci_u32_e64 v1, null, s91, v1, vcc_lo
	s_delay_alu instid0(VALU_DEP_2) | instskip(SKIP_1) | instid1(VALU_DEP_2)
	v_add_co_u32 v0, vcc_lo, v0, v49
	s_wait_alu 0xfffd
	v_add_co_ci_u32_e64 v1, null, v1, v50, vcc_lo
	s_delay_alu instid0(VALU_DEP_2) | instskip(SKIP_1) | instid1(VALU_DEP_2)
	v_add_co_u32 v2, vcc_lo, v0, s92
	s_wait_alu 0xfffd
	v_add_co_ci_u32_e64 v3, null, s93, v1, vcc_lo
	s_and_b32 vcc_lo, exec_lo, s101
                                        ; implicit-def: $vgpr0_vgpr1
	s_wait_alu 0xfffe
	s_cbranch_vccz .LBB162_22
; %bb.13:                               ;   in Loop: Header=BB162_4 Depth=1
	v_add_co_u32 v0, vcc_lo, v2, v56
	s_wait_alu 0xfffd
	v_add_co_ci_u32_e64 v1, null, v3, v57, vcc_lo
	s_lshl_b64 s[18:19], s[42:43], 3
	v_mov_b32_e32 v6, 0
	s_wait_alu 0xfffe
	v_add_co_u32 v0, vcc_lo, v0, s18
	s_wait_alu 0xfffd
	v_add_co_ci_u32_e64 v1, null, s19, v1, vcc_lo
	v_dual_mov_b32 v7, 0 :: v_dual_mov_b32 v4, 0
	s_delay_alu instid0(VALU_DEP_3) | instskip(SKIP_1) | instid1(VALU_DEP_3)
	v_add_co_u32 v0, vcc_lo, v0, -8
	s_wait_alu 0xfffd
	v_add_co_ci_u32_e64 v1, null, -1, v1, vcc_lo
	v_mov_b32_e32 v5, 0
	s_delay_alu instid0(VALU_DEP_3) | instskip(NEXT) | instid1(VALU_DEP_3)
	v_cndmask_b32_e64 v0, v0, v2, s1
	v_cndmask_b32_e64 v1, v1, v3, s1
	s_mov_b32 s3, exec_lo
	v_readlane_b32 s4, v208, 2
	s_wait_alu 0xfffe
	s_and_b32 s4, s3, s4
	s_wait_alu 0xfffe
	s_mov_b32 exec_lo, s4
	s_cbranch_execz .LBB162_15
; %bb.14:                               ;   in Loop: Header=BB162_4 Depth=1
	flat_load_b64 v[4:5], v[0:1]
.LBB162_15:                             ;   in Loop: Header=BB162_4 Depth=1
	s_or_b32 exec_lo, exec_lo, s3
	s_wait_loadcnt_dscnt 0x0
	ds_store_b64 v151, v[4:5]
	s_mov_b32 s3, exec_lo
	v_readlane_b32 s4, v208, 3
	s_wait_alu 0xfffe
	s_and_b32 s4, s3, s4
	s_wait_alu 0xfffe
	s_mov_b32 exec_lo, s4
	s_cbranch_execz .LBB162_17
; %bb.16:                               ;   in Loop: Header=BB162_4 Depth=1
	s_lshl_b64 s[18:19], s[48:49], 3
	s_wait_alu 0xfffe
	v_add_co_u32 v4, vcc_lo, v0, s18
	s_wait_alu 0xfffd
	v_add_co_ci_u32_e64 v5, null, s19, v1, vcc_lo
	flat_load_b64 v[6:7], v[4:5]
.LBB162_17:                             ;   in Loop: Header=BB162_4 Depth=1
	s_or_b32 exec_lo, exec_lo, s3
	v_mov_b32_e32 v4, 0
	v_dual_mov_b32 v5, 0 :: v_dual_mov_b32 v8, 0
	v_mov_b32_e32 v9, 0
	s_wait_loadcnt_dscnt 0x0
	ds_store_b64 v151, v[6:7] offset:2112
	s_mov_b32 s3, exec_lo
	v_readlane_b32 s4, v208, 4
	s_wait_alu 0xfffe
	s_and_b32 s4, s3, s4
	s_wait_alu 0xfffe
	s_mov_b32 exec_lo, s4
	s_cbranch_execz .LBB162_19
; %bb.18:                               ;   in Loop: Header=BB162_4 Depth=1
	v_add_co_u32 v6, vcc_lo, v0, s68
	s_wait_alu 0xfffd
	v_add_co_ci_u32_e64 v7, null, s69, v1, vcc_lo
	flat_load_b64 v[8:9], v[6:7]
.LBB162_19:                             ;   in Loop: Header=BB162_4 Depth=1
	s_or_b32 exec_lo, exec_lo, s3
	s_wait_loadcnt_dscnt 0x0
	ds_store_b64 v151, v[8:9] offset:4224
	s_and_saveexec_b32 s3, s5
	s_cbranch_execz .LBB162_21
; %bb.20:                               ;   in Loop: Header=BB162_4 Depth=1
	s_lshl_b64 s[18:19], s[50:51], 3
	s_wait_alu 0xfffe
	v_add_co_u32 v4, vcc_lo, v0, s18
	s_wait_alu 0xfffd
	v_add_co_ci_u32_e64 v5, null, s19, v1, vcc_lo
	flat_load_b64 v[4:5], v[4:5]
.LBB162_21:                             ;   in Loop: Header=BB162_4 Depth=1
	s_wait_alu 0xfffe
	s_or_b32 exec_lo, exec_lo, s3
	v_add_co_u32 v0, vcc_lo, v0, v155
	s_wait_alu 0xfffd
	v_add_co_ci_u32_e64 v1, null, 0, v1, vcc_lo
	s_lshl_b64 s[18:19], s[52:53], 3
	s_mov_b32 s3, 0
	s_wait_alu 0xfffe
	v_add_co_u32 v0, vcc_lo, v0, s18
	s_wait_alu 0xfffd
	v_add_co_ci_u32_e64 v1, null, s19, v1, vcc_lo
	s_wait_loadcnt_dscnt 0x0
	ds_store_b64 v151, v[4:5] offset:6336
	v_add_co_u32 v0, vcc_lo, v0, 8
	s_wait_alu 0xfffd
	v_add_co_ci_u32_e64 v1, null, 0, v1, vcc_lo
	s_delay_alu instid0(VALU_DEP_2) | instskip(NEXT) | instid1(VALU_DEP_2)
	v_cndmask_b32_e64 v0, v0, v2, s1
	v_cndmask_b32_e64 v1, v1, v3, s1
.LBB162_22:                             ;   in Loop: Header=BB162_4 Depth=1
	s_and_b32 vcc_lo, exec_lo, s3
	s_wait_alu 0xfffe
	s_cbranch_vccz .LBB162_24
; %bb.23:                               ;   in Loop: Header=BB162_4 Depth=1
	s_lshl_b64 s[18:19], s[48:49], 3
	s_wait_alu 0xfffe
	v_add_co_u32 v0, vcc_lo, v2, s18
	s_wait_alu 0xfffd
	v_add_co_ci_u32_e64 v1, null, s19, v3, vcc_lo
	s_delay_alu instid0(VALU_DEP_2) | instskip(SKIP_1) | instid1(VALU_DEP_2)
	v_add_co_u32 v4, vcc_lo, v0, s54
	s_wait_alu 0xfffd
	v_add_co_ci_u32_e64 v5, null, s55, v1, vcc_lo
	s_delay_alu instid0(VALU_DEP_2) | instskip(SKIP_1) | instid1(VALU_DEP_2)
	v_add_co_u32 v6, vcc_lo, v4, s54
	s_wait_alu 0xfffd
	v_add_co_ci_u32_e64 v7, null, s55, v5, vcc_lo
	s_clause 0x3
	flat_load_b64 v[8:9], v[2:3]
	flat_load_b64 v[10:11], v[0:1]
	;; [unrolled: 1-line block ×4, first 2 shown]
	v_dual_mov_b32 v0, v2 :: v_dual_mov_b32 v1, v3
	s_wait_loadcnt_dscnt 0x303
	ds_store_b64 v151, v[8:9]
	s_wait_loadcnt_dscnt 0x203
	ds_store_b64 v151, v[10:11] offset:2112
	s_wait_loadcnt_dscnt 0x103
	ds_store_b64 v151, v[4:5] offset:4224
	;; [unrolled: 2-line block ×3, first 2 shown]
.LBB162_24:                             ;   in Loop: Header=BB162_4 Depth=1
	s_wait_dscnt 0x0
	s_barrier_signal -1
	s_barrier_wait -1
	global_inv scope:SCOPE_SE
	s_and_saveexec_b32 s3, s6
	s_cbranch_execnz .LBB162_125
; %bb.25:                               ;   in Loop: Header=BB162_4 Depth=1
	s_wait_alu 0xfffe
	s_or_b32 exec_lo, exec_lo, s3
	s_and_saveexec_b32 s3, s7
	s_cbranch_execnz .LBB162_126
.LBB162_26:                             ;   in Loop: Header=BB162_4 Depth=1
	s_wait_alu 0xfffe
	s_or_b32 exec_lo, exec_lo, s3
	s_and_saveexec_b32 s3, s8
	s_cbranch_execnz .LBB162_127
.LBB162_27:                             ;   in Loop: Header=BB162_4 Depth=1
	s_wait_alu 0xfffe
	s_or_b32 exec_lo, exec_lo, s3
	s_and_saveexec_b32 s3, s9
	s_cbranch_execz .LBB162_29
.LBB162_28:                             ;   in Loop: Header=BB162_4 Depth=1
	ds_load_b64 v[2:3], v153 offset:528
	s_wait_dscnt 0x0
	ds_store_b64 v102, v[2:3] offset:24
.LBB162_29:                             ;   in Loop: Header=BB162_4 Depth=1
	s_wait_alu 0xfffe
	s_or_b32 exec_lo, exec_lo, s3
	s_wait_loadcnt_dscnt 0x0
	s_barrier_signal -1
	s_barrier_wait -1
	global_inv scope:SCOPE_SE
	ds_load_b64 v[10:11], v152
	ds_load_b128 v[2:5], v103
	ds_load_b128 v[6:9], v103 offset:16
	ds_load_b64 v[18:19], v153 offset:528
	ds_load_2addr_b64 v[14:17], v153 offset1:33
	v_mov_b32_e32 v60, 0
	v_mov_b32_e32 v61, 0
	s_wait_loadcnt_dscnt 0x0
	s_barrier_signal -1
	s_barrier_wait -1
	global_inv scope:SCOPE_SE
	v_fma_f64 v[2:3], v[10:11], v[2:3], 0
	s_delay_alu instid0(VALU_DEP_1) | instskip(NEXT) | instid1(VALU_DEP_1)
	v_fma_f64 v[2:3], v[14:15], v[4:5], v[2:3]
	v_fma_f64 v[2:3], v[16:17], v[6:7], v[2:3]
	s_delay_alu instid0(VALU_DEP_1)
	v_fma_f64 v[2:3], v[18:19], v[8:9], v[2:3]
	ds_store_b64 v104, v[2:3]
	s_wait_loadcnt_dscnt 0x0
	s_barrier_signal -1
	s_barrier_wait -1
	global_inv scope:SCOPE_SE
	s_and_saveexec_b32 s3, s10
	s_cbranch_execz .LBB162_31
; %bb.30:                               ;   in Loop: Header=BB162_4 Depth=1
	ds_load_2addr_b64 v[2:5], v101 offset1:1
	ds_load_2addr_b64 v[6:9], v101 offset0:2 offset1:3
	s_wait_dscnt 0x1
	v_add_f64_e32 v[2:3], v[2:3], v[4:5]
	s_wait_dscnt 0x0
	s_delay_alu instid0(VALU_DEP_1) | instskip(NEXT) | instid1(VALU_DEP_1)
	v_add_f64_e32 v[2:3], v[2:3], v[6:7]
	v_add_f64_e32 v[10:11], v[2:3], v[8:9]
	ds_load_2addr_b64 v[2:5], v101 offset0:4 offset1:5
	ds_load_2addr_b64 v[6:9], v101 offset0:6 offset1:7
	s_wait_dscnt 0x1
	v_add_f64_e32 v[2:3], v[10:11], v[2:3]
	s_delay_alu instid0(VALU_DEP_1) | instskip(SKIP_1) | instid1(VALU_DEP_1)
	v_add_f64_e32 v[2:3], v[2:3], v[4:5]
	s_wait_dscnt 0x0
	v_add_f64_e32 v[2:3], v[2:3], v[6:7]
	s_delay_alu instid0(VALU_DEP_1)
	v_add_f64_e32 v[60:61], v[2:3], v[8:9]
.LBB162_31:                             ;   in Loop: Header=BB162_4 Depth=1
	s_wait_alu 0xfffe
	s_or_b32 exec_lo, exec_lo, s3
	v_add_co_u32 v4, vcc_lo, v0, s56
	s_wait_alu 0xfffd
	v_add_co_ci_u32_e64 v5, null, s57, v1, vcc_lo
	s_mov_b32 s3, -1
	v_add_co_u32 v2, vcc_lo, 0x100, v4
	s_wait_alu 0xfffd
	v_add_co_ci_u32_e64 v3, null, 0, v5, vcc_lo
	s_and_b32 vcc_lo, exec_lo, s101
	s_wait_loadcnt 0x0
	s_barrier_signal -1
	s_barrier_wait -1
	global_inv scope:SCOPE_SE
                                        ; implicit-def: $vgpr0_vgpr1
	s_wait_alu 0xfffe
	s_cbranch_vccz .LBB162_41
; %bb.32:                               ;   in Loop: Header=BB162_4 Depth=1
	v_add_co_u32 v0, vcc_lo, v4, v56
	s_wait_alu 0xfffd
	v_add_co_ci_u32_e64 v1, null, v5, v57, vcc_lo
	s_lshl_b64 s[18:19], s[42:43], 3
	v_mov_b32_e32 v8, 0
	s_wait_alu 0xfffe
	v_add_co_u32 v0, vcc_lo, v0, s18
	s_wait_alu 0xfffd
	v_add_co_ci_u32_e64 v1, null, s19, v1, vcc_lo
	v_dual_mov_b32 v9, 0 :: v_dual_mov_b32 v6, 0
	s_delay_alu instid0(VALU_DEP_3) | instskip(SKIP_1) | instid1(VALU_DEP_3)
	v_add_co_u32 v0, vcc_lo, v0, -8
	s_wait_alu 0xfffd
	v_add_co_ci_u32_e64 v1, null, -1, v1, vcc_lo
	v_mov_b32_e32 v7, 0
	s_delay_alu instid0(VALU_DEP_3) | instskip(NEXT) | instid1(VALU_DEP_3)
	v_cndmask_b32_e64 v0, v0, v2, s11
	v_cndmask_b32_e64 v1, v1, v3, s11
	s_and_saveexec_b32 s3, s12
	s_cbranch_execz .LBB162_34
; %bb.33:                               ;   in Loop: Header=BB162_4 Depth=1
	flat_load_b64 v[6:7], v[0:1]
.LBB162_34:                             ;   in Loop: Header=BB162_4 Depth=1
	s_wait_alu 0xfffe
	s_or_b32 exec_lo, exec_lo, s3
	s_wait_loadcnt_dscnt 0x0
	ds_store_b64 v151, v[6:7]
	s_and_saveexec_b32 s3, s13
	s_cbranch_execz .LBB162_36
; %bb.35:                               ;   in Loop: Header=BB162_4 Depth=1
	s_lshl_b64 s[18:19], s[48:49], 3
	s_wait_alu 0xfffe
	v_add_co_u32 v6, vcc_lo, v0, s18
	s_wait_alu 0xfffd
	v_add_co_ci_u32_e64 v7, null, s19, v1, vcc_lo
	flat_load_b64 v[8:9], v[6:7]
.LBB162_36:                             ;   in Loop: Header=BB162_4 Depth=1
	s_wait_alu 0xfffe
	s_or_b32 exec_lo, exec_lo, s3
	v_mov_b32_e32 v6, 0
	v_dual_mov_b32 v7, 0 :: v_dual_mov_b32 v10, 0
	v_mov_b32_e32 v11, 0
	s_wait_loadcnt_dscnt 0x0
	ds_store_b64 v151, v[8:9] offset:2112
	s_and_saveexec_b32 s3, s14
	s_cbranch_execz .LBB162_38
; %bb.37:                               ;   in Loop: Header=BB162_4 Depth=1
	v_add_co_u32 v8, vcc_lo, v0, s68
	s_wait_alu 0xfffd
	v_add_co_ci_u32_e64 v9, null, s69, v1, vcc_lo
	flat_load_b64 v[10:11], v[8:9]
.LBB162_38:                             ;   in Loop: Header=BB162_4 Depth=1
	s_wait_alu 0xfffe
	s_or_b32 exec_lo, exec_lo, s3
	s_wait_loadcnt_dscnt 0x0
	ds_store_b64 v151, v[10:11] offset:4224
	s_and_saveexec_b32 s3, s15
	s_cbranch_execz .LBB162_40
; %bb.39:                               ;   in Loop: Header=BB162_4 Depth=1
	s_lshl_b64 s[18:19], s[50:51], 3
	s_wait_alu 0xfffe
	v_add_co_u32 v6, vcc_lo, v0, s18
	s_wait_alu 0xfffd
	v_add_co_ci_u32_e64 v7, null, s19, v1, vcc_lo
	flat_load_b64 v[6:7], v[6:7]
.LBB162_40:                             ;   in Loop: Header=BB162_4 Depth=1
	s_wait_alu 0xfffe
	s_or_b32 exec_lo, exec_lo, s3
	v_add_co_u32 v0, vcc_lo, v0, v155
	s_wait_alu 0xfffd
	v_add_co_ci_u32_e64 v1, null, 0, v1, vcc_lo
	s_lshl_b64 s[18:19], s[52:53], 3
	s_mov_b32 s3, 0
	s_wait_alu 0xfffe
	v_add_co_u32 v0, vcc_lo, v0, s18
	s_wait_alu 0xfffd
	v_add_co_ci_u32_e64 v1, null, s19, v1, vcc_lo
	s_wait_loadcnt_dscnt 0x0
	ds_store_b64 v151, v[6:7] offset:6336
	v_add_co_u32 v0, vcc_lo, 0x108, v0
	s_wait_alu 0xfffd
	v_add_co_ci_u32_e64 v1, null, 0, v1, vcc_lo
	s_delay_alu instid0(VALU_DEP_2) | instskip(NEXT) | instid1(VALU_DEP_2)
	v_cndmask_b32_e64 v0, v0, v2, s11
	v_cndmask_b32_e64 v1, v1, v3, s11
.LBB162_41:                             ;   in Loop: Header=BB162_4 Depth=1
	s_and_b32 vcc_lo, exec_lo, s3
	s_wait_alu 0xfffe
	s_cbranch_vccz .LBB162_43
; %bb.42:                               ;   in Loop: Header=BB162_4 Depth=1
	s_lshl_b64 s[18:19], s[48:49], 3
	s_wait_alu 0xfffe
	v_add_co_u32 v0, vcc_lo, v4, s18
	s_wait_alu 0xfffd
	v_add_co_ci_u32_e64 v1, null, s19, v5, vcc_lo
	s_delay_alu instid0(VALU_DEP_2) | instskip(SKIP_1) | instid1(VALU_DEP_2)
	v_add_co_u32 v6, vcc_lo, v0, s54
	s_wait_alu 0xfffd
	v_add_co_ci_u32_e64 v7, null, s55, v1, vcc_lo
	s_delay_alu instid0(VALU_DEP_2) | instskip(SKIP_1) | instid1(VALU_DEP_2)
	v_add_co_u32 v8, vcc_lo, v6, s54
	s_wait_alu 0xfffd
	v_add_co_ci_u32_e64 v9, null, s55, v7, vcc_lo
	s_clause 0x3
	flat_load_b64 v[4:5], v[4:5] offset:256
	flat_load_b64 v[10:11], v[0:1] offset:256
	;; [unrolled: 1-line block ×4, first 2 shown]
	v_dual_mov_b32 v0, v2 :: v_dual_mov_b32 v1, v3
	s_wait_loadcnt_dscnt 0x303
	ds_store_b64 v151, v[4:5]
	s_wait_loadcnt_dscnt 0x203
	ds_store_b64 v151, v[10:11] offset:2112
	s_wait_loadcnt_dscnt 0x103
	ds_store_b64 v151, v[6:7] offset:4224
	;; [unrolled: 2-line block ×3, first 2 shown]
.LBB162_43:                             ;   in Loop: Header=BB162_4 Depth=1
	s_wait_loadcnt_dscnt 0x0
	s_barrier_signal -1
	s_barrier_wait -1
	global_inv scope:SCOPE_SE
	s_and_saveexec_b32 s3, s6
	s_cbranch_execnz .LBB162_128
; %bb.44:                               ;   in Loop: Header=BB162_4 Depth=1
	s_wait_alu 0xfffe
	s_or_b32 exec_lo, exec_lo, s3
	s_and_saveexec_b32 s3, s7
	s_cbranch_execnz .LBB162_129
.LBB162_45:                             ;   in Loop: Header=BB162_4 Depth=1
	s_wait_alu 0xfffe
	s_or_b32 exec_lo, exec_lo, s3
	s_and_saveexec_b32 s3, s8
	s_cbranch_execnz .LBB162_130
.LBB162_46:                             ;   in Loop: Header=BB162_4 Depth=1
	s_wait_alu 0xfffe
	s_or_b32 exec_lo, exec_lo, s3
	s_and_saveexec_b32 s3, s9
	s_cbranch_execz .LBB162_48
.LBB162_47:                             ;   in Loop: Header=BB162_4 Depth=1
	ds_load_b64 v[2:3], v153 offset:528
	s_wait_dscnt 0x0
	ds_store_b64 v102, v[2:3] offset:24
.LBB162_48:                             ;   in Loop: Header=BB162_4 Depth=1
	s_wait_alu 0xfffe
	s_or_b32 exec_lo, exec_lo, s3
	s_wait_loadcnt_dscnt 0x0
	s_barrier_signal -1
	s_barrier_wait -1
	global_inv scope:SCOPE_SE
	ds_load_b64 v[10:11], v152
	ds_load_b128 v[2:5], v103 offset:256
	ds_load_b128 v[6:9], v103 offset:272
	ds_load_b64 v[18:19], v153 offset:528
	ds_load_2addr_b64 v[14:17], v153 offset1:33
	s_wait_loadcnt_dscnt 0x0
	s_barrier_signal -1
	s_barrier_wait -1
	global_inv scope:SCOPE_SE
	v_fma_f64 v[2:3], v[10:11], v[2:3], 0
	s_delay_alu instid0(VALU_DEP_1) | instskip(NEXT) | instid1(VALU_DEP_1)
	v_fma_f64 v[2:3], v[14:15], v[4:5], v[2:3]
	v_fma_f64 v[2:3], v[16:17], v[6:7], v[2:3]
	s_delay_alu instid0(VALU_DEP_1)
	v_fma_f64 v[2:3], v[18:19], v[8:9], v[2:3]
	ds_store_b64 v104, v[2:3]
	s_wait_loadcnt_dscnt 0x0
	s_barrier_signal -1
	s_barrier_wait -1
	global_inv scope:SCOPE_SE
	s_and_saveexec_b32 s3, s16
	s_cbranch_execz .LBB162_50
; %bb.49:                               ;   in Loop: Header=BB162_4 Depth=1
	ds_load_2addr_b64 v[2:5], v101 offset1:1
	ds_load_2addr_b64 v[6:9], v101 offset0:2 offset1:3
	s_wait_dscnt 0x1
	v_add_f64_e32 v[2:3], v[2:3], v[4:5]
	s_wait_dscnt 0x0
	s_delay_alu instid0(VALU_DEP_1) | instskip(NEXT) | instid1(VALU_DEP_1)
	v_add_f64_e32 v[2:3], v[2:3], v[6:7]
	v_add_f64_e32 v[10:11], v[2:3], v[8:9]
	ds_load_2addr_b64 v[2:5], v101 offset0:4 offset1:5
	ds_load_2addr_b64 v[6:9], v101 offset0:6 offset1:7
	s_wait_dscnt 0x1
	v_add_f64_e32 v[2:3], v[10:11], v[2:3]
	s_delay_alu instid0(VALU_DEP_1) | instskip(SKIP_1) | instid1(VALU_DEP_1)
	v_add_f64_e32 v[2:3], v[2:3], v[4:5]
	s_wait_dscnt 0x0
	v_add_f64_e32 v[2:3], v[2:3], v[6:7]
	s_delay_alu instid0(VALU_DEP_1)
	v_add_f64_e32 v[60:61], v[2:3], v[8:9]
.LBB162_50:                             ;   in Loop: Header=BB162_4 Depth=1
	s_wait_alu 0xfffe
	s_or_b32 exec_lo, exec_lo, s3
	v_add_co_u32 v2, vcc_lo, 0xffffff00, v0
	s_wait_alu 0xfffd
	v_add_co_ci_u32_e64 v3, null, -1, v1, vcc_lo
	s_and_b32 vcc_lo, exec_lo, s101
	s_mov_b32 s3, -1
	s_wait_loadcnt 0x0
	s_barrier_signal -1
	s_barrier_wait -1
	global_inv scope:SCOPE_SE
                                        ; implicit-def: $vgpr14_vgpr15
	s_wait_alu 0xfffe
	s_cbranch_vccz .LBB162_60
; %bb.51:                               ;   in Loop: Header=BB162_4 Depth=1
	v_add_co_u32 v4, vcc_lo, v0, v56
	s_wait_alu 0xfffd
	v_add_co_ci_u32_e64 v5, null, v1, v57, vcc_lo
	s_lshl_b64 s[18:19], s[42:43], 3
	v_mov_b32_e32 v8, 0
	s_wait_alu 0xfffe
	v_add_co_u32 v4, vcc_lo, v4, s18
	s_wait_alu 0xfffd
	v_add_co_ci_u32_e64 v5, null, s19, v5, vcc_lo
	v_dual_mov_b32 v9, 0 :: v_dual_mov_b32 v6, 0
	s_delay_alu instid0(VALU_DEP_3) | instskip(SKIP_1) | instid1(VALU_DEP_3)
	v_add_co_u32 v4, vcc_lo, 0xfffffef8, v4
	s_wait_alu 0xfffd
	v_add_co_ci_u32_e64 v5, null, -1, v5, vcc_lo
	v_mov_b32_e32 v7, 0
	s_delay_alu instid0(VALU_DEP_3) | instskip(NEXT) | instid1(VALU_DEP_3)
	v_cndmask_b32_e64 v4, v4, v2, s1
	v_cndmask_b32_e64 v5, v5, v3, s1
	s_and_saveexec_b32 s3, s12
	s_cbranch_execz .LBB162_53
; %bb.52:                               ;   in Loop: Header=BB162_4 Depth=1
	flat_load_b64 v[6:7], v[4:5]
.LBB162_53:                             ;   in Loop: Header=BB162_4 Depth=1
	s_wait_alu 0xfffe
	s_or_b32 exec_lo, exec_lo, s3
	s_wait_loadcnt_dscnt 0x0
	ds_store_b64 v151, v[6:7]
	s_and_saveexec_b32 s3, s13
	s_cbranch_execz .LBB162_55
; %bb.54:                               ;   in Loop: Header=BB162_4 Depth=1
	s_lshl_b64 s[18:19], s[48:49], 3
	s_wait_alu 0xfffe
	v_add_co_u32 v6, vcc_lo, v4, s18
	s_wait_alu 0xfffd
	v_add_co_ci_u32_e64 v7, null, s19, v5, vcc_lo
	flat_load_b64 v[8:9], v[6:7]
.LBB162_55:                             ;   in Loop: Header=BB162_4 Depth=1
	s_wait_alu 0xfffe
	s_or_b32 exec_lo, exec_lo, s3
	v_mov_b32_e32 v6, 0
	v_dual_mov_b32 v7, 0 :: v_dual_mov_b32 v10, 0
	v_mov_b32_e32 v11, 0
	s_wait_loadcnt_dscnt 0x0
	ds_store_b64 v151, v[8:9] offset:2112
	s_and_saveexec_b32 s3, s14
	s_cbranch_execz .LBB162_57
; %bb.56:                               ;   in Loop: Header=BB162_4 Depth=1
	v_add_co_u32 v8, vcc_lo, v4, s68
	s_wait_alu 0xfffd
	v_add_co_ci_u32_e64 v9, null, s69, v5, vcc_lo
	flat_load_b64 v[10:11], v[8:9]
.LBB162_57:                             ;   in Loop: Header=BB162_4 Depth=1
	s_wait_alu 0xfffe
	s_or_b32 exec_lo, exec_lo, s3
	s_wait_loadcnt_dscnt 0x0
	ds_store_b64 v151, v[10:11] offset:4224
	s_and_saveexec_b32 s3, s15
	s_cbranch_execz .LBB162_59
; %bb.58:                               ;   in Loop: Header=BB162_4 Depth=1
	s_lshl_b64 s[18:19], s[50:51], 3
	s_wait_alu 0xfffe
	v_add_co_u32 v6, vcc_lo, v4, s18
	s_wait_alu 0xfffd
	v_add_co_ci_u32_e64 v7, null, s19, v5, vcc_lo
	flat_load_b64 v[6:7], v[6:7]
.LBB162_59:                             ;   in Loop: Header=BB162_4 Depth=1
	s_wait_alu 0xfffe
	s_or_b32 exec_lo, exec_lo, s3
	v_add_co_u32 v4, vcc_lo, v4, v155
	s_wait_alu 0xfffd
	v_add_co_ci_u32_e64 v5, null, 0, v5, vcc_lo
	s_lshl_b64 s[18:19], s[52:53], 3
	s_mov_b32 s3, 0
	s_wait_alu 0xfffe
	v_add_co_u32 v4, vcc_lo, v4, s18
	s_wait_alu 0xfffd
	v_add_co_ci_u32_e64 v5, null, s19, v5, vcc_lo
	s_wait_loadcnt_dscnt 0x0
	ds_store_b64 v151, v[6:7] offset:6336
	v_add_co_u32 v4, vcc_lo, v4, 8
	s_wait_alu 0xfffd
	v_add_co_ci_u32_e64 v5, null, 0, v5, vcc_lo
	s_delay_alu instid0(VALU_DEP_2) | instskip(NEXT) | instid1(VALU_DEP_2)
	v_cndmask_b32_e64 v14, v4, v2, s1
	v_cndmask_b32_e64 v15, v5, v3, s1
.LBB162_60:                             ;   in Loop: Header=BB162_4 Depth=1
	s_and_b32 vcc_lo, exec_lo, s3
	s_wait_alu 0xfffe
	s_cbranch_vccz .LBB162_62
; %bb.61:                               ;   in Loop: Header=BB162_4 Depth=1
	s_lshl_b64 s[18:19], s[48:49], 3
	v_dual_mov_b32 v15, v3 :: v_dual_mov_b32 v14, v2
	s_wait_alu 0xfffe
	v_add_co_u32 v4, vcc_lo, v0, s18
	s_wait_alu 0xfffd
	v_add_co_ci_u32_e64 v5, null, s19, v1, vcc_lo
	s_delay_alu instid0(VALU_DEP_2) | instskip(SKIP_1) | instid1(VALU_DEP_2)
	v_add_co_u32 v6, vcc_lo, v4, s54
	s_wait_alu 0xfffd
	v_add_co_ci_u32_e64 v7, null, s55, v5, vcc_lo
	s_delay_alu instid0(VALU_DEP_2) | instskip(SKIP_1) | instid1(VALU_DEP_2)
	v_add_co_u32 v8, vcc_lo, v6, s54
	s_wait_alu 0xfffd
	v_add_co_ci_u32_e64 v9, null, s55, v7, vcc_lo
	s_clause 0x3
	flat_load_b64 v[0:1], v[0:1] offset:-256
	flat_load_b64 v[4:5], v[4:5] offset:-256
	;; [unrolled: 1-line block ×4, first 2 shown]
	s_wait_loadcnt_dscnt 0x303
	ds_store_b64 v151, v[0:1]
	s_wait_loadcnt_dscnt 0x203
	ds_store_b64 v151, v[4:5] offset:2112
	s_wait_loadcnt_dscnt 0x103
	ds_store_b64 v151, v[6:7] offset:4224
	;; [unrolled: 2-line block ×3, first 2 shown]
.LBB162_62:                             ;   in Loop: Header=BB162_4 Depth=1
	v_add_nc_u32_e32 v0, v102, v106
	v_add_nc_u32_e32 v2, v103, v106
	s_wait_loadcnt_dscnt 0x0
	s_barrier_signal -1
	s_barrier_wait -1
	global_inv scope:SCOPE_SE
	ds_load_b64 v[0:1], v0
	ds_load_b64 v[2:3], v2
	s_wait_dscnt 0x0
	v_fma_f64 v[8:9], v[0:1], v[2:3], 0
	ds_load_2addr_b64 v[0:3], v129 offset0:8 offset1:16
	ds_load_2addr_b64 v[4:7], v130 offset0:8 offset1:16
	s_wait_dscnt 0x0
	v_fma_f64 v[0:1], v[0:1], v[4:5], v[8:9]
	s_delay_alu instid0(VALU_DEP_1)
	v_fma_f64 v[0:1], v[2:3], v[6:7], v[0:1]
	ds_load_b64 v[2:3], v129 offset:192
	ds_load_b64 v[4:5], v130 offset:192
	ds_load_b64 v[18:19], v152
	ds_load_b64 v[16:17], v153 offset:528
	s_wait_dscnt 0x2
	v_fma_f64 v[20:21], v[2:3], v[4:5], v[0:1]
	ds_load_b128 v[8:11], v103 offset:256
	ds_load_b128 v[0:3], v103 offset:272
	ds_load_2addr_b64 v[4:7], v153 offset1:33
	s_wait_loadcnt_dscnt 0x0
	s_barrier_signal -1
	s_barrier_wait -1
	global_inv scope:SCOPE_SE
	ds_store_b64 v104, v[20:21]
	s_wait_loadcnt_dscnt 0x0
	s_barrier_signal -1
	s_barrier_wait -1
	global_inv scope:SCOPE_SE
	s_and_saveexec_b32 s3, s16
	s_cbranch_execz .LBB162_64
; %bb.63:                               ;   in Loop: Header=BB162_4 Depth=1
	ds_load_2addr_b64 v[20:23], v101 offset1:1
	ds_load_2addr_b64 v[24:27], v101 offset0:2 offset1:3
	s_wait_dscnt 0x1
	v_add_f64_e32 v[20:21], v[60:61], v[20:21]
	s_delay_alu instid0(VALU_DEP_1) | instskip(SKIP_1) | instid1(VALU_DEP_1)
	v_add_f64_e32 v[20:21], v[20:21], v[22:23]
	s_wait_dscnt 0x0
	v_add_f64_e32 v[20:21], v[20:21], v[24:25]
	s_delay_alu instid0(VALU_DEP_1) | instskip(SKIP_4) | instid1(VALU_DEP_1)
	v_add_f64_e32 v[28:29], v[20:21], v[26:27]
	ds_load_2addr_b64 v[20:23], v101 offset0:4 offset1:5
	ds_load_2addr_b64 v[24:27], v101 offset0:6 offset1:7
	s_wait_dscnt 0x1
	v_add_f64_e32 v[20:21], v[28:29], v[20:21]
	v_add_f64_e32 v[20:21], v[20:21], v[22:23]
	s_wait_dscnt 0x0
	s_delay_alu instid0(VALU_DEP_1) | instskip(NEXT) | instid1(VALU_DEP_1)
	v_add_f64_e32 v[20:21], v[20:21], v[24:25]
	v_add_f64_e32 v[60:61], v[20:21], v[26:27]
.LBB162_64:                             ;   in Loop: Header=BB162_4 Depth=1
	s_wait_alu 0xfffe
	s_or_b32 exec_lo, exec_lo, s3
	v_fma_f64 v[8:9], v[18:19], v[8:9], 0
	s_wait_loadcnt 0x0
	s_barrier_signal -1
	s_barrier_wait -1
	global_inv scope:SCOPE_SE
	v_fma_f64 v[4:5], v[4:5], v[10:11], v[8:9]
	s_delay_alu instid0(VALU_DEP_1) | instskip(NEXT) | instid1(VALU_DEP_1)
	v_fma_f64 v[0:1], v[6:7], v[0:1], v[4:5]
	v_fma_f64 v[0:1], v[16:17], v[2:3], v[0:1]
	ds_store_b64 v104, v[0:1]
	s_wait_loadcnt_dscnt 0x0
	s_barrier_signal -1
	s_barrier_wait -1
	global_inv scope:SCOPE_SE
	s_and_saveexec_b32 s3, s10
	s_cbranch_execz .LBB162_66
; %bb.65:                               ;   in Loop: Header=BB162_4 Depth=1
	ds_load_2addr_b64 v[0:3], v101 offset1:1
	ds_load_2addr_b64 v[4:7], v101 offset0:2 offset1:3
	s_wait_dscnt 0x1
	v_add_f64_e32 v[0:1], v[60:61], v[0:1]
	s_delay_alu instid0(VALU_DEP_1) | instskip(SKIP_1) | instid1(VALU_DEP_1)
	v_add_f64_e32 v[0:1], v[0:1], v[2:3]
	s_wait_dscnt 0x0
	v_add_f64_e32 v[0:1], v[0:1], v[4:5]
	s_delay_alu instid0(VALU_DEP_1) | instskip(SKIP_4) | instid1(VALU_DEP_1)
	v_add_f64_e32 v[8:9], v[0:1], v[6:7]
	ds_load_2addr_b64 v[0:3], v101 offset0:4 offset1:5
	ds_load_2addr_b64 v[4:7], v101 offset0:6 offset1:7
	s_wait_dscnt 0x1
	v_add_f64_e32 v[0:1], v[8:9], v[0:1]
	v_add_f64_e32 v[0:1], v[0:1], v[2:3]
	s_wait_dscnt 0x0
	s_delay_alu instid0(VALU_DEP_1) | instskip(NEXT) | instid1(VALU_DEP_1)
	v_add_f64_e32 v[0:1], v[0:1], v[4:5]
	v_add_f64_e32 v[60:61], v[0:1], v[6:7]
.LBB162_66:                             ;   in Loop: Header=BB162_4 Depth=1
	s_wait_alu 0xfffe
	s_or_b32 exec_lo, exec_lo, s3
	v_readlane_b32 s18, v208, 0
	v_readlane_b32 s19, v208, 1
	s_and_not1_b32 vcc_lo, exec_lo, s102
	s_wait_loadcnt 0x0
	s_barrier_signal -1
	s_barrier_wait -1
	s_mul_u64 s[18:19], s[18:19], s[34:35]
	global_inv scope:SCOPE_SE
	s_wait_alu 0xfffe
	s_lshl_b64 s[18:19], s[18:19], 3
	s_wait_alu 0xfffe
	s_add_nc_u64 s[96:97], s[46:47], s[18:19]
	s_cbranch_vccnz .LBB162_123
; %bb.67:                               ;   in Loop: Header=BB162_4 Depth=1
	v_add_co_u32 v156, vcc_lo, v12, s94
	s_wait_alu 0xfffd
	v_add_co_ci_u32_e64 v157, null, s95, v13, vcc_lo
	v_add_co_u32 v158, vcc_lo, v14, s56
	s_wait_alu 0xfffd
	v_add_co_ci_u32_e64 v159, null, s57, v15, vcc_lo
	;; [unrolled: 3-line block ×25, first 2 shown]
	v_mov_b32_e32 v62, v131
	s_mov_b32 s19, ttmp9
	s_mov_b32 s98, s2
	s_wait_alu 0xfffe
	s_cmp_eq_u32 s103, s19
	s_cselect_b32 s3, s100, 0
	s_and_saveexec_b32 s18, s0
	s_cbranch_execz .LBB162_71
.LBB162_68:                             ;   in Loop: Header=BB162_4 Depth=1
	s_wait_alu 0xfffe
	v_cmp_gt_i32_e32 vcc_lo, s3, v48
	s_cmp_eq_u32 s3, 0
	v_mov_b32_e32 v0, 0
	v_mov_b32_e32 v1, 0
	s_cselect_b32 s4, -1, 0
	s_wait_alu 0xfffe
	s_or_b32 s44, s4, vcc_lo
	s_wait_alu 0xfffe
	s_and_saveexec_b32 s4, s44
	s_cbranch_execz .LBB162_70
; %bb.69:                               ;   in Loop: Header=BB162_4 Depth=1
	s_ashr_i32 s99, s98, 31
	s_delay_alu instid0(SALU_CYCLE_1)
	s_lshl_b64 s[44:45], s[98:99], 3
	s_wait_alu 0xfffe
	v_add_co_u32 v0, vcc_lo, v156, s44
	s_wait_alu 0xfffd
	v_add_co_ci_u32_e64 v1, null, s45, v157, vcc_lo
	flat_load_b64 v[0:1], v[0:1]
.LBB162_70:                             ;   in Loop: Header=BB162_4 Depth=1
	s_wait_alu 0xfffe
	s_or_b32 exec_lo, exec_lo, s4
	s_wait_loadcnt_dscnt 0x0
	ds_store_b64 v107, v[0:1]
.LBB162_71:                             ;   Parent Loop BB162_4 Depth=1
                                        ; =>  This Inner Loop Header: Depth=2
	s_wait_alu 0xfffe
	s_or_b32 exec_lo, exec_lo, s18
	s_cmp_eq_u32 s3, 0
	v_add_co_u32 v0, vcc_lo, v158, v134
	s_cselect_b32 s99, -1, 0
	s_cmp_lg_u32 s3, 0
	s_wait_alu 0xfffd
	v_add_co_ci_u32_e64 v1, null, v159, v135, vcc_lo
	s_cselect_b32 s18, -1, 0
	s_mov_b32 s4, -1
	s_wait_alu 0xfffe
	s_and_b32 vcc_lo, exec_lo, s18
	s_wait_loadcnt_dscnt 0x0
	s_barrier_signal -1
	s_barrier_wait -1
	global_inv scope:SCOPE_SE
                                        ; implicit-def: $vgpr70_vgpr71
                                        ; implicit-def: $vgpr68_vgpr69
                                        ; implicit-def: $vgpr66_vgpr67
                                        ; implicit-def: $vgpr64_vgpr65
	s_wait_alu 0xfffe
	s_cbranch_vccz .LBB162_81
; %bb.72:                               ;   in Loop: Header=BB162_71 Depth=2
	v_mov_b32_e32 v66, 0
	v_dual_mov_b32 v67, 0 :: v_dual_mov_b32 v64, 0
	v_mov_b32_e32 v65, 0
	s_mov_b32 s4, exec_lo
	v_cmpx_gt_i32_e64 s3, v105
	s_cbranch_execz .LBB162_74
; %bb.73:                               ;   in Loop: Header=BB162_71 Depth=2
	flat_load_b64 v[64:65], v[0:1]
.LBB162_74:                             ;   in Loop: Header=BB162_71 Depth=2
	s_wait_alu 0xfffe
	s_or_b32 exec_lo, exec_lo, s4
	s_delay_alu instid0(SALU_CYCLE_1)
	s_mov_b32 s4, exec_lo
	v_cmpx_gt_i32_e64 s3, v113
	s_cbranch_execz .LBB162_76
; %bb.75:                               ;   in Loop: Header=BB162_71 Depth=2
	v_add_co_u32 v2, vcc_lo, v164, v134
	s_wait_alu 0xfffd
	v_add_co_ci_u32_e64 v3, null, v165, v135, vcc_lo
	flat_load_b64 v[66:67], v[2:3]
.LBB162_76:                             ;   in Loop: Header=BB162_71 Depth=2
	s_wait_alu 0xfffe
	s_or_b32 exec_lo, exec_lo, s4
	v_mov_b32_e32 v70, 0
	v_dual_mov_b32 v71, 0 :: v_dual_mov_b32 v68, 0
	v_mov_b32_e32 v69, 0
	s_mov_b32 s4, exec_lo
	v_cmpx_gt_i32_e64 s3, v114
	s_cbranch_execz .LBB162_78
; %bb.77:                               ;   in Loop: Header=BB162_71 Depth=2
	v_add_co_u32 v2, vcc_lo, v166, v134
	s_wait_alu 0xfffd
	v_add_co_ci_u32_e64 v3, null, v167, v135, vcc_lo
	flat_load_b64 v[68:69], v[2:3]
.LBB162_78:                             ;   in Loop: Header=BB162_71 Depth=2
	s_wait_alu 0xfffe
	s_or_b32 exec_lo, exec_lo, s4
	s_delay_alu instid0(SALU_CYCLE_1)
	s_mov_b32 s4, exec_lo
	v_cmpx_gt_i32_e64 s3, v115
	s_cbranch_execz .LBB162_80
; %bb.79:                               ;   in Loop: Header=BB162_71 Depth=2
	v_add_co_u32 v2, vcc_lo, v168, v134
	s_wait_alu 0xfffd
	v_add_co_ci_u32_e64 v3, null, v169, v135, vcc_lo
	flat_load_b64 v[70:71], v[2:3]
.LBB162_80:                             ;   in Loop: Header=BB162_71 Depth=2
	s_wait_alu 0xfffe
	s_or_b32 exec_lo, exec_lo, s4
	s_mov_b32 s4, 0
.LBB162_81:                             ;   in Loop: Header=BB162_71 Depth=2
	s_wait_alu 0xfffe
	s_and_b32 vcc_lo, exec_lo, s4
	s_wait_alu 0xfffe
	s_cbranch_vccz .LBB162_83
; %bb.82:                               ;   in Loop: Header=BB162_71 Depth=2
	v_add_co_u32 v2, vcc_lo, v164, v134
	s_wait_alu 0xfffd
	v_add_co_ci_u32_e64 v3, null, v165, v135, vcc_lo
	v_add_co_u32 v4, vcc_lo, v160, v134
	s_wait_alu 0xfffd
	v_add_co_ci_u32_e64 v5, null, v161, v135, vcc_lo
	;; [unrolled: 3-line block ×3, first 2 shown]
	s_wait_loadcnt_dscnt 0x0
	flat_load_b64 v[64:65], v[0:1]
	flat_load_b64 v[66:67], v[2:3]
	;; [unrolled: 1-line block ×4, first 2 shown]
.LBB162_83:                             ;   in Loop: Header=BB162_71 Depth=2
	ds_load_b64 v[4:5], v99
	ds_load_b128 v[0:3], v108
	v_add_co_u32 v12, vcc_lo, v176, v134
	v_cndmask_b32_e64 v32, 0, 1, s18
	s_wait_alu 0xfffd
	v_add_co_ci_u32_e64 v13, null, v177, v135, vcc_lo
	s_and_not1_b32 vcc_lo, exec_lo, s18
	s_mov_b32 s4, -1
                                        ; implicit-def: $vgpr78_vgpr79
                                        ; implicit-def: $vgpr76_vgpr77
                                        ; implicit-def: $vgpr74_vgpr75
                                        ; implicit-def: $vgpr72_vgpr73
	s_wait_loadcnt_dscnt 0x1
	v_mul_f64_e32 v[6:7], v[64:65], v[4:5]
	v_mul_f64_e32 v[8:9], v[66:67], v[4:5]
	ds_store_2addr_b64 v109, v[6:7], v[8:9] offset1:67
	v_mul_f64_e32 v[6:7], v[68:69], v[4:5]
	v_mul_f64_e32 v[4:5], v[70:71], v[4:5]
	ds_store_2addr_b64 v109, v[6:7], v[4:5] offset0:134 offset1:201
	ds_load_b128 v[4:7], v108 offset:16
	s_wait_dscnt 0x0
	s_barrier_signal -1
	s_barrier_wait -1
	global_inv scope:SCOPE_SE
	ds_load_2addr_b64 v[20:23], v110 offset1:1
	ds_load_2addr_b64 v[8:11], v110 offset0:2 offset1:3
	s_wait_loadcnt_dscnt 0x0
	s_barrier_signal -1
	s_barrier_wait -1
	global_inv scope:SCOPE_SE
	s_wait_alu 0xfffe
	s_cbranch_vccnz .LBB162_93
; %bb.84:                               ;   in Loop: Header=BB162_71 Depth=2
	v_mov_b32_e32 v74, 0
	v_dual_mov_b32 v75, 0 :: v_dual_mov_b32 v72, 0
	v_mov_b32_e32 v73, 0
	s_mov_b32 s4, exec_lo
	v_cmpx_gt_i32_e64 s3, v116
	s_cbranch_execz .LBB162_86
; %bb.85:                               ;   in Loop: Header=BB162_71 Depth=2
	flat_load_b64 v[72:73], v[12:13]
.LBB162_86:                             ;   in Loop: Header=BB162_71 Depth=2
	s_wait_alu 0xfffe
	s_or_b32 exec_lo, exec_lo, s4
	s_delay_alu instid0(SALU_CYCLE_1)
	s_mov_b32 s4, exec_lo
	v_cmpx_gt_i32_e64 s3, v117
	s_cbranch_execz .LBB162_88
; %bb.87:                               ;   in Loop: Header=BB162_71 Depth=2
	v_add_co_u32 v14, vcc_lo, v174, v134
	s_wait_alu 0xfffd
	v_add_co_ci_u32_e64 v15, null, v175, v135, vcc_lo
	flat_load_b64 v[74:75], v[14:15]
.LBB162_88:                             ;   in Loop: Header=BB162_71 Depth=2
	s_wait_alu 0xfffe
	s_or_b32 exec_lo, exec_lo, s4
	v_mov_b32_e32 v78, 0
	v_dual_mov_b32 v79, 0 :: v_dual_mov_b32 v76, 0
	v_mov_b32_e32 v77, 0
	s_mov_b32 s4, exec_lo
	v_cmpx_gt_i32_e64 s3, v118
	s_cbranch_execz .LBB162_90
; %bb.89:                               ;   in Loop: Header=BB162_71 Depth=2
	v_add_co_u32 v14, vcc_lo, v178, v134
	s_wait_alu 0xfffd
	v_add_co_ci_u32_e64 v15, null, v179, v135, vcc_lo
	flat_load_b64 v[76:77], v[14:15]
.LBB162_90:                             ;   in Loop: Header=BB162_71 Depth=2
	s_wait_alu 0xfffe
	s_or_b32 exec_lo, exec_lo, s4
	s_delay_alu instid0(SALU_CYCLE_1)
	s_mov_b32 s4, exec_lo
	v_cmpx_gt_i32_e64 s3, v119
	s_cbranch_execz .LBB162_92
; %bb.91:                               ;   in Loop: Header=BB162_71 Depth=2
	v_add_co_u32 v14, vcc_lo, v180, v134
	s_wait_alu 0xfffd
	v_add_co_ci_u32_e64 v15, null, v181, v135, vcc_lo
	flat_load_b64 v[78:79], v[14:15]
.LBB162_92:                             ;   in Loop: Header=BB162_71 Depth=2
	s_wait_alu 0xfffe
	s_or_b32 exec_lo, exec_lo, s4
	s_mov_b32 s4, 0
.LBB162_93:                             ;   in Loop: Header=BB162_71 Depth=2
	s_wait_alu 0xfffe
	s_and_b32 vcc_lo, exec_lo, s4
	s_wait_alu 0xfffe
	s_cbranch_vccz .LBB162_95
; %bb.94:                               ;   in Loop: Header=BB162_71 Depth=2
	v_add_co_u32 v14, vcc_lo, v174, v134
	s_wait_alu 0xfffd
	v_add_co_ci_u32_e64 v15, null, v175, v135, vcc_lo
	v_add_co_u32 v16, vcc_lo, v170, v134
	s_wait_alu 0xfffd
	v_add_co_ci_u32_e64 v17, null, v171, v135, vcc_lo
	v_add_co_u32 v18, vcc_lo, v172, v132
	s_wait_alu 0xfffd
	v_add_co_ci_u32_e64 v19, null, v173, v133, vcc_lo
	s_wait_loadcnt_dscnt 0x0
	flat_load_b64 v[72:73], v[12:13]
	flat_load_b64 v[74:75], v[14:15]
	;; [unrolled: 1-line block ×4, first 2 shown]
.LBB162_95:                             ;   in Loop: Header=BB162_71 Depth=2
	ds_load_b64 v[16:17], v99
	ds_load_b128 v[12:15], v108 offset:128
	v_cmp_ne_u32_e32 vcc_lo, 1, v32
	v_add_co_u32 v28, s18, v188, v134
	s_wait_alu 0xf1ff
	v_add_co_ci_u32_e64 v29, null, v189, v135, s18
	s_and_b32 vcc_lo, exec_lo, vcc_lo
	s_mov_b32 s4, -1
                                        ; implicit-def: $vgpr86_vgpr87
                                        ; implicit-def: $vgpr84_vgpr85
                                        ; implicit-def: $vgpr82_vgpr83
                                        ; implicit-def: $vgpr80_vgpr81
	s_wait_loadcnt_dscnt 0x1
	v_mul_f64_e32 v[18:19], v[72:73], v[16:17]
	v_mul_f64_e32 v[24:25], v[74:75], v[16:17]
	ds_store_2addr_b64 v109, v[18:19], v[24:25] offset1:67
	v_mul_f64_e32 v[18:19], v[76:77], v[16:17]
	v_mul_f64_e32 v[16:17], v[78:79], v[16:17]
	ds_store_2addr_b64 v109, v[18:19], v[16:17] offset0:134 offset1:201
	ds_load_b128 v[16:19], v108 offset:144
	s_wait_dscnt 0x0
	s_barrier_signal -1
	s_barrier_wait -1
	global_inv scope:SCOPE_SE
	ds_load_2addr_b64 v[36:39], v110 offset1:1
	ds_load_2addr_b64 v[24:27], v110 offset0:2 offset1:3
	s_wait_loadcnt_dscnt 0x0
	s_barrier_signal -1
	s_barrier_wait -1
	global_inv scope:SCOPE_SE
	s_wait_alu 0xfffe
	s_cbranch_vccnz .LBB162_105
; %bb.96:                               ;   in Loop: Header=BB162_71 Depth=2
	v_mov_b32_e32 v82, 0
	v_dual_mov_b32 v83, 0 :: v_dual_mov_b32 v80, 0
	v_mov_b32_e32 v81, 0
	s_mov_b32 s4, exec_lo
	v_cmpx_gt_i32_e64 s3, v120
	s_cbranch_execz .LBB162_98
; %bb.97:                               ;   in Loop: Header=BB162_71 Depth=2
	flat_load_b64 v[80:81], v[28:29]
.LBB162_98:                             ;   in Loop: Header=BB162_71 Depth=2
	s_wait_alu 0xfffe
	s_or_b32 exec_lo, exec_lo, s4
	s_delay_alu instid0(SALU_CYCLE_1)
	s_mov_b32 s4, exec_lo
	v_cmpx_gt_i32_e64 s3, v121
	s_cbranch_execz .LBB162_100
; %bb.99:                               ;   in Loop: Header=BB162_71 Depth=2
	v_add_co_u32 v30, vcc_lo, v186, v134
	s_wait_alu 0xfffd
	v_add_co_ci_u32_e64 v31, null, v187, v135, vcc_lo
	flat_load_b64 v[82:83], v[30:31]
.LBB162_100:                            ;   in Loop: Header=BB162_71 Depth=2
	s_wait_alu 0xfffe
	s_or_b32 exec_lo, exec_lo, s4
	v_mov_b32_e32 v86, 0
	v_dual_mov_b32 v87, 0 :: v_dual_mov_b32 v84, 0
	v_mov_b32_e32 v85, 0
	s_mov_b32 s4, exec_lo
	v_cmpx_gt_i32_e64 s3, v122
	s_cbranch_execz .LBB162_102
; %bb.101:                              ;   in Loop: Header=BB162_71 Depth=2
	v_add_co_u32 v30, vcc_lo, v190, v134
	s_wait_alu 0xfffd
	v_add_co_ci_u32_e64 v31, null, v191, v135, vcc_lo
	flat_load_b64 v[84:85], v[30:31]
.LBB162_102:                            ;   in Loop: Header=BB162_71 Depth=2
	s_wait_alu 0xfffe
	s_or_b32 exec_lo, exec_lo, s4
	s_delay_alu instid0(SALU_CYCLE_1)
	s_mov_b32 s4, exec_lo
	v_cmpx_gt_i32_e64 s3, v123
	s_cbranch_execz .LBB162_104
; %bb.103:                              ;   in Loop: Header=BB162_71 Depth=2
	v_add_co_u32 v30, vcc_lo, v192, v134
	s_wait_alu 0xfffd
	v_add_co_ci_u32_e64 v31, null, v193, v135, vcc_lo
	flat_load_b64 v[86:87], v[30:31]
.LBB162_104:                            ;   in Loop: Header=BB162_71 Depth=2
	s_wait_alu 0xfffe
	s_or_b32 exec_lo, exec_lo, s4
	s_mov_b32 s4, 0
.LBB162_105:                            ;   in Loop: Header=BB162_71 Depth=2
	s_wait_alu 0xfffe
	s_and_b32 vcc_lo, exec_lo, s4
	s_wait_alu 0xfffe
	s_cbranch_vccz .LBB162_107
; %bb.106:                              ;   in Loop: Header=BB162_71 Depth=2
	v_add_co_u32 v30, vcc_lo, v186, v134
	s_wait_alu 0xfffd
	v_add_co_ci_u32_e64 v31, null, v187, v135, vcc_lo
	v_add_co_u32 v33, vcc_lo, v182, v134
	s_wait_alu 0xfffd
	v_add_co_ci_u32_e64 v34, null, v183, v135, vcc_lo
	;; [unrolled: 3-line block ×3, first 2 shown]
	s_wait_loadcnt_dscnt 0x0
	flat_load_b64 v[80:81], v[28:29]
	flat_load_b64 v[82:83], v[30:31]
	;; [unrolled: 1-line block ×4, first 2 shown]
.LBB162_107:                            ;   in Loop: Header=BB162_71 Depth=2
	ds_load_b64 v[33:34], v99
	ds_load_b128 v[28:31], v108 offset:256
	v_cmp_ne_u32_e32 vcc_lo, 1, v32
	v_add_co_u32 v96, s18, v200, v132
	s_wait_alu 0xf1ff
	v_add_co_ci_u32_e64 v97, null, v201, v133, s18
	s_and_b32 vcc_lo, exec_lo, vcc_lo
	s_mov_b32 s4, -1
                                        ; implicit-def: $vgpr88_vgpr89
                                        ; implicit-def: $vgpr94_vgpr95
                                        ; implicit-def: $vgpr92_vgpr93
                                        ; implicit-def: $vgpr90_vgpr91
	s_wait_loadcnt_dscnt 0x1
	v_mul_f64_e32 v[40:41], v[80:81], v[33:34]
	v_mul_f64_e32 v[42:43], v[82:83], v[33:34]
	ds_store_2addr_b64 v109, v[40:41], v[42:43] offset1:67
	v_mul_f64_e32 v[40:41], v[84:85], v[33:34]
	v_mul_f64_e32 v[33:34], v[86:87], v[33:34]
	ds_store_2addr_b64 v109, v[40:41], v[33:34] offset0:134 offset1:201
	ds_load_b128 v[32:35], v108 offset:272
	s_wait_dscnt 0x0
	s_barrier_signal -1
	s_barrier_wait -1
	global_inv scope:SCOPE_SE
	ds_load_2addr_b64 v[44:47], v110 offset1:1
	ds_load_2addr_b64 v[40:43], v110 offset0:2 offset1:3
	s_wait_loadcnt_dscnt 0x0
	s_barrier_signal -1
	s_barrier_wait -1
	global_inv scope:SCOPE_SE
	s_wait_alu 0xfffe
	s_cbranch_vccnz .LBB162_117
; %bb.108:                              ;   in Loop: Header=BB162_71 Depth=2
	v_mov_b32_e32 v92, 0
	v_dual_mov_b32 v93, 0 :: v_dual_mov_b32 v90, 0
	v_mov_b32_e32 v91, 0
	s_mov_b32 s4, exec_lo
	v_cmpx_gt_i32_e64 s3, v124
	s_cbranch_execz .LBB162_110
; %bb.109:                              ;   in Loop: Header=BB162_71 Depth=2
	flat_load_b64 v[90:91], v[96:97]
.LBB162_110:                            ;   in Loop: Header=BB162_71 Depth=2
	s_wait_alu 0xfffe
	s_or_b32 exec_lo, exec_lo, s4
	s_delay_alu instid0(SALU_CYCLE_1)
	s_mov_b32 s4, exec_lo
	v_cmpx_gt_i32_e64 s3, v125
	s_cbranch_execz .LBB162_112
; %bb.111:                              ;   in Loop: Header=BB162_71 Depth=2
	v_add_co_u32 v88, vcc_lo, v198, v132
	s_wait_alu 0xfffd
	v_add_co_ci_u32_e64 v89, null, v199, v133, vcc_lo
	flat_load_b64 v[92:93], v[88:89]
.LBB162_112:                            ;   in Loop: Header=BB162_71 Depth=2
	s_wait_alu 0xfffe
	s_or_b32 exec_lo, exec_lo, s4
	v_mov_b32_e32 v88, 0
	v_dual_mov_b32 v89, 0 :: v_dual_mov_b32 v94, 0
	v_mov_b32_e32 v95, 0
	s_mov_b32 s4, exec_lo
	v_cmpx_gt_i32_e64 s3, v126
	s_cbranch_execz .LBB162_114
; %bb.113:                              ;   in Loop: Header=BB162_71 Depth=2
	v_add_co_u32 v94, vcc_lo, v202, v132
	s_wait_alu 0xfffd
	v_add_co_ci_u32_e64 v95, null, v203, v133, vcc_lo
	flat_load_b64 v[94:95], v[94:95]
.LBB162_114:                            ;   in Loop: Header=BB162_71 Depth=2
	s_wait_alu 0xfffe
	s_or_b32 exec_lo, exec_lo, s4
	s_delay_alu instid0(SALU_CYCLE_1)
	s_mov_b32 s4, exec_lo
	v_cmpx_gt_i32_e64 s3, v127
	s_cbranch_execz .LBB162_116
; %bb.115:                              ;   in Loop: Header=BB162_71 Depth=2
	v_add_co_u32 v88, vcc_lo, v204, v132
	s_wait_alu 0xfffd
	v_add_co_ci_u32_e64 v89, null, v205, v133, vcc_lo
	flat_load_b64 v[88:89], v[88:89]
.LBB162_116:                            ;   in Loop: Header=BB162_71 Depth=2
	s_wait_alu 0xfffe
	s_or_b32 exec_lo, exec_lo, s4
	s_mov_b32 s4, 0
.LBB162_117:                            ;   in Loop: Header=BB162_71 Depth=2
	s_wait_alu 0xfffe
	s_and_b32 vcc_lo, exec_lo, s4
	s_wait_alu 0xfffe
	s_cbranch_vccz .LBB162_119
; %bb.118:                              ;   in Loop: Header=BB162_71 Depth=2
	s_wait_loadcnt_dscnt 0x0
	v_add_co_u32 v88, vcc_lo, v198, v132
	s_wait_alu 0xfffd
	v_add_co_ci_u32_e64 v89, null, v199, v133, vcc_lo
	v_add_co_u32 v94, vcc_lo, v194, v132
	s_wait_alu 0xfffd
	v_add_co_ci_u32_e64 v95, null, v195, v133, vcc_lo
	v_add_co_u32 v206, vcc_lo, v196, v132
	s_wait_alu 0xfffd
	v_add_co_ci_u32_e64 v207, null, v197, v133, vcc_lo
	flat_load_b64 v[90:91], v[96:97]
	flat_load_b64 v[92:93], v[88:89]
	;; [unrolled: 1-line block ×4, first 2 shown]
.LBB162_119:                            ;   in Loop: Header=BB162_71 Depth=2
	v_add_f64_e32 v[44:45], 0, v[44:45]
	v_add_f64_e32 v[36:37], 0, v[36:37]
	;; [unrolled: 1-line block ×3, first 2 shown]
	v_cmp_gt_i32_e32 vcc_lo, s3, v48
	s_or_b32 s3, s99, vcc_lo
	s_wait_alu 0xfffe
	s_and_b32 s4, s17, s3
	s_delay_alu instid0(VALU_DEP_4) | instskip(NEXT) | instid1(VALU_DEP_4)
	v_add_f64_e32 v[44:45], v[44:45], v[46:47]
	v_add_f64_e32 v[46:47], v[36:37], v[38:39]
	s_delay_alu instid0(VALU_DEP_4)
	v_add_f64_e32 v[96:97], v[20:21], v[22:23]
	ds_load_b64 v[20:21], v99
	ds_load_b128 v[36:39], v108 offset:384
	s_wait_loadcnt_dscnt 0x1
	v_mul_f64_e32 v[22:23], v[90:91], v[20:21]
	v_mul_f64_e32 v[206:207], v[92:93], v[20:21]
	v_add_f64_e32 v[8:9], v[96:97], v[8:9]
	ds_store_2addr_b64 v109, v[22:23], v[206:207] offset1:67
	v_mul_f64_e32 v[22:23], v[94:95], v[20:21]
	v_mul_f64_e32 v[20:21], v[88:89], v[20:21]
	v_add_f64_e32 v[8:9], v[8:9], v[10:11]
	ds_store_2addr_b64 v109, v[22:23], v[20:21] offset0:134 offset1:201
	v_add_f64_e32 v[20:21], v[44:45], v[40:41]
	s_delay_alu instid0(VALU_DEP_1) | instskip(SKIP_1) | instid1(VALU_DEP_1)
	v_add_f64_e32 v[44:45], v[20:21], v[42:43]
	v_add_f64_e32 v[20:21], v[46:47], v[24:25]
	v_add_f64_e32 v[46:47], v[20:21], v[26:27]
	ds_load_b128 v[20:23], v108 offset:400
	s_wait_dscnt 0x0
	s_barrier_signal -1
	s_barrier_wait -1
	global_inv scope:SCOPE_SE
	ds_load_2addr_b64 v[24:27], v110 offset1:1
	ds_load_2addr_b64 v[40:43], v110 offset0:2 offset1:3
	s_wait_loadcnt_dscnt 0x0
	s_barrier_signal -1
	s_barrier_wait -1
	global_inv scope:SCOPE_SE
	v_add_f64_e32 v[24:25], 0, v[24:25]
	s_delay_alu instid0(VALU_DEP_1) | instskip(NEXT) | instid1(VALU_DEP_1)
	v_add_f64_e32 v[24:25], v[24:25], v[26:27]
	v_add_f64_e32 v[10:11], v[24:25], v[40:41]
	s_delay_alu instid0(VALU_DEP_1)
	v_add_f64_e32 v[10:11], v[10:11], v[42:43]
	ds_store_2addr_b64 v154, v[8:9], v[46:47] offset1:16
	ds_store_2addr_b64 v154, v[44:45], v[10:11] offset0:32 offset1:48
	s_wait_loadcnt_dscnt 0x0
	s_barrier_signal -1
	s_barrier_wait -1
	global_inv scope:SCOPE_SE
	s_wait_alu 0xfffe
	s_and_saveexec_b32 s3, s4
	s_cbranch_execz .LBB162_121
; %bb.120:                              ;   in Loop: Header=BB162_71 Depth=2
	ds_load_2addr_b64 v[8:11], v111 offset1:1
	ds_load_2addr_b64 v[24:27], v111 offset0:2 offset1:3
	v_ashrrev_i32_e32 v63, 31, v62
	s_wait_dscnt 0x1
	v_add_f64_e32 v[8:9], v[8:9], v[10:11]
	s_wait_dscnt 0x0
	s_delay_alu instid0(VALU_DEP_1) | instskip(NEXT) | instid1(VALU_DEP_1)
	v_add_f64_e32 v[8:9], v[8:9], v[24:25]
	v_add_f64_e32 v[40:41], v[8:9], v[26:27]
	ds_load_2addr_b64 v[8:11], v111 offset0:4 offset1:5
	ds_load_2addr_b64 v[24:27], v111 offset0:6 offset1:7
	s_wait_dscnt 0x1
	v_add_f64_e32 v[8:9], v[40:41], v[8:9]
	s_delay_alu instid0(VALU_DEP_1) | instskip(SKIP_1) | instid1(VALU_DEP_1)
	v_add_f64_e32 v[8:9], v[8:9], v[10:11]
	s_wait_dscnt 0x0
	v_add_f64_e32 v[8:9], v[8:9], v[24:25]
	s_delay_alu instid0(VALU_DEP_1) | instskip(SKIP_4) | instid1(VALU_DEP_1)
	v_add_f64_e32 v[40:41], v[8:9], v[26:27]
	ds_load_2addr_b64 v[8:11], v111 offset0:8 offset1:9
	ds_load_2addr_b64 v[24:27], v111 offset0:10 offset1:11
	s_wait_dscnt 0x1
	v_add_f64_e32 v[8:9], v[40:41], v[8:9]
	v_add_f64_e32 v[8:9], v[8:9], v[10:11]
	s_wait_dscnt 0x0
	s_delay_alu instid0(VALU_DEP_1) | instskip(NEXT) | instid1(VALU_DEP_1)
	v_add_f64_e32 v[8:9], v[8:9], v[24:25]
	v_add_f64_e32 v[24:25], v[8:9], v[26:27]
	ds_load_2addr_b64 v[8:11], v111 offset0:12 offset1:13
	ds_load_b64 v[26:27], v111 offset:112
	s_wait_dscnt 0x1
	v_add_f64_e32 v[8:9], v[24:25], v[8:9]
	s_delay_alu instid0(VALU_DEP_1) | instskip(SKIP_4) | instid1(VALU_DEP_1)
	v_add_f64_e32 v[8:9], v[8:9], v[10:11]
	ds_load_b64 v[10:11], v112
	s_wait_dscnt 0x1
	v_add_f64_e32 v[8:9], v[8:9], v[26:27]
	s_wait_dscnt 0x0
	v_add_f64_e32 v[8:9], v[8:9], v[10:11]
	v_lshlrev_b64_e32 v[10:11], 3, v[62:63]
	s_delay_alu instid0(VALU_DEP_1) | instskip(SKIP_1) | instid1(VALU_DEP_2)
	v_add_co_u32 v10, vcc_lo, s96, v10
	s_wait_alu 0xfffd
	v_add_co_ci_u32_e64 v11, null, s97, v11, vcc_lo
	global_store_b64 v[10:11], v[8:9], off
.LBB162_121:                            ;   in Loop: Header=BB162_71 Depth=2
	s_wait_alu 0xfffe
	s_or_b32 exec_lo, exec_lo, s3
	v_fma_f64 v[0:1], v[64:65], v[0:1], v[60:61]
	v_add_co_u32 v160, vcc_lo, v160, s60
	s_wait_alu 0xfffd
	v_add_co_ci_u32_e64 v161, null, s61, v161, vcc_lo
	v_add_co_u32 v162, vcc_lo, v162, s60
	s_wait_alu 0xfffd
	v_add_co_ci_u32_e64 v163, null, s61, v163, vcc_lo
	;; [unrolled: 3-line block ×9, first 2 shown]
	v_add_co_u32 v176, vcc_lo, v176, s60
	v_fma_f64 v[0:1], v[66:67], v[2:3], v[0:1]
	s_wait_alu 0xfffd
	v_add_co_ci_u32_e64 v177, null, s61, v177, vcc_lo
	v_add_co_u32 v178, vcc_lo, v178, s60
	s_wait_alu 0xfffd
	v_add_co_ci_u32_e64 v179, null, s61, v179, vcc_lo
	v_add_co_u32 v180, vcc_lo, v180, s60
	;; [unrolled: 3-line block ×9, first 2 shown]
	s_wait_alu 0xfffd
	v_add_co_ci_u32_e64 v195, null, s61, v195, vcc_lo
	v_fma_f64 v[0:1], v[68:69], v[4:5], v[0:1]
	v_add_co_u32 v196, vcc_lo, v196, s60
	s_wait_alu 0xfffd
	v_add_co_ci_u32_e64 v197, null, s61, v197, vcc_lo
	v_add_co_u32 v198, vcc_lo, v198, s60
	s_wait_alu 0xfffd
	v_add_co_ci_u32_e64 v199, null, s61, v199, vcc_lo
	;; [unrolled: 3-line block ×4, first 2 shown]
	v_add_co_u32 v204, vcc_lo, v204, s60
	v_add_nc_u32_e32 v62, 64, v62
	s_wait_alu 0xfffd
	v_add_co_ci_u32_e64 v205, null, s61, v205, vcc_lo
	s_add_co_i32 s4, s19, 2
	s_add_co_i32 s3, s19, 1
	;; [unrolled: 1-line block ×3, first 2 shown]
	s_wait_alu 0xfffe
	s_cmp_ge_u32 s4, s40
	s_wait_loadcnt 0x0
	s_wait_storecnt 0x0
	s_barrier_signal -1
	s_barrier_wait -1
	global_inv scope:SCOPE_SE
	v_fma_f64 v[0:1], v[70:71], v[6:7], v[0:1]
	s_delay_alu instid0(VALU_DEP_1) | instskip(NEXT) | instid1(VALU_DEP_1)
	v_fma_f64 v[0:1], v[72:73], v[12:13], v[0:1]
	v_fma_f64 v[0:1], v[74:75], v[14:15], v[0:1]
	s_delay_alu instid0(VALU_DEP_1) | instskip(NEXT) | instid1(VALU_DEP_1)
	v_fma_f64 v[0:1], v[76:77], v[16:17], v[0:1]
	;; [unrolled: 3-line block ×6, first 2 shown]
	v_fma_f64 v[60:61], v[88:89], v[22:23], v[0:1]
	s_cbranch_scc1 .LBB162_123
; %bb.122:                              ;   in Loop: Header=BB162_71 Depth=2
	s_mov_b32 s19, s3
	s_wait_alu 0xfffe
	s_cmp_eq_u32 s103, s19
	s_cselect_b32 s3, s100, 0
	s_and_saveexec_b32 s18, s0
	s_cbranch_execnz .LBB162_68
	s_branch .LBB162_71
.LBB162_123:                            ;   in Loop: Header=BB162_4 Depth=1
	ds_store_b64 v128, v[60:61]
	s_wait_loadcnt_dscnt 0x0
	s_barrier_signal -1
	s_barrier_wait -1
	global_inv scope:SCOPE_SE
	s_and_saveexec_b32 s3, vcc_hi
	s_cbranch_execz .LBB162_2
; %bb.124:                              ;   in Loop: Header=BB162_4 Depth=1
	ds_load_2addr_b64 v[0:3], v98 offset1:67
	s_wait_dscnt 0x0
	v_add_f64_e32 v[4:5], v[0:1], v[2:3]
	ds_load_2addr_b64 v[0:3], v98 offset0:134 offset1:201
	s_wait_dscnt 0x0
	v_add_f64_e32 v[0:1], v[4:5], v[0:1]
	s_delay_alu instid0(VALU_DEP_1)
	v_add_f64_e32 v[0:1], v[0:1], v[2:3]
	s_wait_alu 0xfffe
	v_add_co_u32 v2, vcc_lo, s96, v58
	s_wait_alu 0xfffd
	v_add_co_ci_u32_e64 v3, null, s97, v59, vcc_lo
	global_store_b64 v[2:3], v[0:1], off
	s_branch .LBB162_2
.LBB162_125:                            ;   in Loop: Header=BB162_4 Depth=1
	ds_load_b64 v[2:3], v152
	s_wait_dscnt 0x0
	ds_store_b64 v102, v[2:3]
	s_wait_alu 0xfffe
	s_or_b32 exec_lo, exec_lo, s3
	s_and_saveexec_b32 s3, s7
	s_cbranch_execz .LBB162_26
.LBB162_126:                            ;   in Loop: Header=BB162_4 Depth=1
	ds_load_b64 v[2:3], v153
	s_wait_dscnt 0x0
	ds_store_b64 v102, v[2:3] offset:8
	s_wait_alu 0xfffe
	s_or_b32 exec_lo, exec_lo, s3
	s_and_saveexec_b32 s3, s8
	s_cbranch_execz .LBB162_27
.LBB162_127:                            ;   in Loop: Header=BB162_4 Depth=1
	ds_load_b64 v[2:3], v153 offset:264
	s_wait_dscnt 0x0
	ds_store_b64 v102, v[2:3] offset:16
	s_wait_alu 0xfffe
	s_or_b32 exec_lo, exec_lo, s3
	s_and_saveexec_b32 s3, s9
	s_cbranch_execnz .LBB162_28
	s_branch .LBB162_29
.LBB162_128:                            ;   in Loop: Header=BB162_4 Depth=1
	ds_load_b64 v[2:3], v152
	s_wait_dscnt 0x0
	ds_store_b64 v102, v[2:3]
	s_wait_alu 0xfffe
	s_or_b32 exec_lo, exec_lo, s3
	s_and_saveexec_b32 s3, s7
	s_cbranch_execz .LBB162_45
.LBB162_129:                            ;   in Loop: Header=BB162_4 Depth=1
	ds_load_b64 v[2:3], v153
	s_wait_dscnt 0x0
	ds_store_b64 v102, v[2:3] offset:8
	s_wait_alu 0xfffe
	s_or_b32 exec_lo, exec_lo, s3
	s_and_saveexec_b32 s3, s8
	s_cbranch_execz .LBB162_46
.LBB162_130:                            ;   in Loop: Header=BB162_4 Depth=1
	ds_load_b64 v[2:3], v153 offset:264
	s_wait_dscnt 0x0
	ds_store_b64 v102, v[2:3] offset:16
	s_wait_alu 0xfffe
	s_or_b32 exec_lo, exec_lo, s3
	s_and_saveexec_b32 s3, s9
	s_cbranch_execnz .LBB162_47
	s_branch .LBB162_48
.LBB162_131:
	s_nop 0
	s_sendmsg sendmsg(MSG_DEALLOC_VGPRS)
	s_endpgm
	.section	.rodata,"a",@progbits
	.p2align	6, 0x0
	.amdhsa_kernel _ZL26rocblas_hemvn_kernel_upperILb0ELi64ELi4ELi33ELi32ELi16EiPKdPKS1_PdEviT6_lT7_lT5_lS6_lS7_lS5_lT8_i
		.amdhsa_group_segment_fixed_size 9600
		.amdhsa_private_segment_fixed_size 0
		.amdhsa_kernarg_size 376
		.amdhsa_user_sgpr_count 2
		.amdhsa_user_sgpr_dispatch_ptr 0
		.amdhsa_user_sgpr_queue_ptr 0
		.amdhsa_user_sgpr_kernarg_segment_ptr 1
		.amdhsa_user_sgpr_dispatch_id 0
		.amdhsa_user_sgpr_private_segment_size 0
		.amdhsa_wavefront_size32 1
		.amdhsa_uses_dynamic_stack 0
		.amdhsa_enable_private_segment 0
		.amdhsa_system_sgpr_workgroup_id_x 1
		.amdhsa_system_sgpr_workgroup_id_y 0
		.amdhsa_system_sgpr_workgroup_id_z 1
		.amdhsa_system_sgpr_workgroup_info 0
		.amdhsa_system_vgpr_workitem_id 1
		.amdhsa_next_free_vgpr 209
		.amdhsa_next_free_sgpr 105
		.amdhsa_reserve_vcc 1
		.amdhsa_float_round_mode_32 0
		.amdhsa_float_round_mode_16_64 0
		.amdhsa_float_denorm_mode_32 3
		.amdhsa_float_denorm_mode_16_64 3
		.amdhsa_fp16_overflow 0
		.amdhsa_workgroup_processor_mode 1
		.amdhsa_memory_ordered 1
		.amdhsa_forward_progress 1
		.amdhsa_inst_pref_size 76
		.amdhsa_round_robin_scheduling 0
		.amdhsa_exception_fp_ieee_invalid_op 0
		.amdhsa_exception_fp_denorm_src 0
		.amdhsa_exception_fp_ieee_div_zero 0
		.amdhsa_exception_fp_ieee_overflow 0
		.amdhsa_exception_fp_ieee_underflow 0
		.amdhsa_exception_fp_ieee_inexact 0
		.amdhsa_exception_int_div_zero 0
	.end_amdhsa_kernel
	.section	.text._ZL26rocblas_hemvn_kernel_upperILb0ELi64ELi4ELi33ELi32ELi16EiPKdPKS1_PdEviT6_lT7_lT5_lS6_lS7_lS5_lT8_i,"axG",@progbits,_ZL26rocblas_hemvn_kernel_upperILb0ELi64ELi4ELi33ELi32ELi16EiPKdPKS1_PdEviT6_lT7_lT5_lS6_lS7_lS5_lT8_i,comdat
.Lfunc_end162:
	.size	_ZL26rocblas_hemvn_kernel_upperILb0ELi64ELi4ELi33ELi32ELi16EiPKdPKS1_PdEviT6_lT7_lT5_lS6_lS7_lS5_lT8_i, .Lfunc_end162-_ZL26rocblas_hemvn_kernel_upperILb0ELi64ELi4ELi33ELi32ELi16EiPKdPKS1_PdEviT6_lT7_lT5_lS6_lS7_lS5_lT8_i
                                        ; -- End function
	.set _ZL26rocblas_hemvn_kernel_upperILb0ELi64ELi4ELi33ELi32ELi16EiPKdPKS1_PdEviT6_lT7_lT5_lS6_lS7_lS5_lT8_i.num_vgpr, 209
	.set _ZL26rocblas_hemvn_kernel_upperILb0ELi64ELi4ELi33ELi32ELi16EiPKdPKS1_PdEviT6_lT7_lT5_lS6_lS7_lS5_lT8_i.num_agpr, 0
	.set _ZL26rocblas_hemvn_kernel_upperILb0ELi64ELi4ELi33ELi32ELi16EiPKdPKS1_PdEviT6_lT7_lT5_lS6_lS7_lS5_lT8_i.numbered_sgpr, 105
	.set _ZL26rocblas_hemvn_kernel_upperILb0ELi64ELi4ELi33ELi32ELi16EiPKdPKS1_PdEviT6_lT7_lT5_lS6_lS7_lS5_lT8_i.num_named_barrier, 0
	.set _ZL26rocblas_hemvn_kernel_upperILb0ELi64ELi4ELi33ELi32ELi16EiPKdPKS1_PdEviT6_lT7_lT5_lS6_lS7_lS5_lT8_i.private_seg_size, 0
	.set _ZL26rocblas_hemvn_kernel_upperILb0ELi64ELi4ELi33ELi32ELi16EiPKdPKS1_PdEviT6_lT7_lT5_lS6_lS7_lS5_lT8_i.uses_vcc, 1
	.set _ZL26rocblas_hemvn_kernel_upperILb0ELi64ELi4ELi33ELi32ELi16EiPKdPKS1_PdEviT6_lT7_lT5_lS6_lS7_lS5_lT8_i.uses_flat_scratch, 1
	.set _ZL26rocblas_hemvn_kernel_upperILb0ELi64ELi4ELi33ELi32ELi16EiPKdPKS1_PdEviT6_lT7_lT5_lS6_lS7_lS5_lT8_i.has_dyn_sized_stack, 0
	.set _ZL26rocblas_hemvn_kernel_upperILb0ELi64ELi4ELi33ELi32ELi16EiPKdPKS1_PdEviT6_lT7_lT5_lS6_lS7_lS5_lT8_i.has_recursion, 0
	.set _ZL26rocblas_hemvn_kernel_upperILb0ELi64ELi4ELi33ELi32ELi16EiPKdPKS1_PdEviT6_lT7_lT5_lS6_lS7_lS5_lT8_i.has_indirect_call, 0
	.section	.AMDGPU.csdata,"",@progbits
; Kernel info:
; codeLenInByte = 9712
; TotalNumSgprs: 107
; NumVgprs: 209
; ScratchSize: 0
; MemoryBound: 0
; FloatMode: 240
; IeeeMode: 1
; LDSByteSize: 9600 bytes/workgroup (compile time only)
; SGPRBlocks: 0
; VGPRBlocks: 26
; NumSGPRsForWavesPerEU: 107
; NumVGPRsForWavesPerEU: 209
; Occupancy: 7
; WaveLimiterHint : 1
; COMPUTE_PGM_RSRC2:SCRATCH_EN: 0
; COMPUTE_PGM_RSRC2:USER_SGPR: 2
; COMPUTE_PGM_RSRC2:TRAP_HANDLER: 0
; COMPUTE_PGM_RSRC2:TGID_X_EN: 1
; COMPUTE_PGM_RSRC2:TGID_Y_EN: 0
; COMPUTE_PGM_RSRC2:TGID_Z_EN: 1
; COMPUTE_PGM_RSRC2:TIDIG_COMP_CNT: 1
	.section	.text._ZL36rocblas_hemvn_kernel_upper_block_sumILi64EiPKdPKPddEviT1_lS5_lT2_lT0_lPT3_i,"axG",@progbits,_ZL36rocblas_hemvn_kernel_upper_block_sumILi64EiPKdPKPddEviT1_lS5_lT2_lT0_lPT3_i,comdat
	.globl	_ZL36rocblas_hemvn_kernel_upper_block_sumILi64EiPKdPKPddEviT1_lS5_lT2_lT0_lPT3_i ; -- Begin function _ZL36rocblas_hemvn_kernel_upper_block_sumILi64EiPKdPKPddEviT1_lS5_lT2_lT0_lPT3_i
	.p2align	8
	.type	_ZL36rocblas_hemvn_kernel_upper_block_sumILi64EiPKdPKPddEviT1_lS5_lT2_lT0_lPT3_i,@function
_ZL36rocblas_hemvn_kernel_upper_block_sumILi64EiPKdPKPddEviT1_lS5_lT2_lT0_lPT3_i: ; @_ZL36rocblas_hemvn_kernel_upper_block_sumILi64EiPKdPKPddEviT1_lS5_lT2_lT0_lPT3_i
; %bb.0:
	s_load_b32 s22, s[0:1], 0x50
	s_lshr_b32 s2, ttmp7, 16
	s_wait_kmcnt 0x0
	s_cmp_ge_u32 s2, s22
	s_cbranch_scc1 .LBB163_24
; %bb.1:
	s_clause 0x2
	s_load_b32 s3, s[0:1], 0x38
	s_load_b32 s18, s[0:1], 0x0
	s_load_b64 s[20:21], s[0:1], 0x48
	v_lshl_or_b32 v0, ttmp9, 6, v0
	s_clause 0x1
	s_load_b128 s[12:15], s[0:1], 0x28
	s_load_b256 s[4:11], s[0:1], 0x8
	s_add_nc_u64 s[16:17], s[0:1], 0x58
	v_mov_b32_e32 v12, 0
	v_ashrrev_i32_e32 v1, 31, v0
	s_delay_alu instid0(VALU_DEP_1) | instskip(SKIP_3) | instid1(VALU_DEP_3)
	v_lshlrev_b64_e32 v[4:5], 3, v[0:1]
	s_wait_kmcnt 0x0
	v_mul_lo_u32 v2, s3, v0
	v_cmp_gt_i32_e64 s0, s18, v0
	v_add_co_u32 v0, vcc_lo, s20, v4
	s_ashr_i32 s19, s18, 31
	v_add_co_ci_u32_e64 v1, null, s21, v5, vcc_lo
	s_cmp_gt_i32 ttmp9, -1
	v_ashrrev_i32_e32 v3, 31, v2
	s_cselect_b32 s23, -1, 0
	s_add_co_i32 s24, ttmp9, 1
	s_wait_alu 0xfffe
	s_lshl_b64 s[18:19], s[18:19], 3
	s_mov_b32 s3, 0
	v_lshlrev_b64_e32 v[2:3], 3, v[2:3]
	s_lshl_b64 s[14:15], s[14:15], 3
	s_branch .LBB163_4
.LBB163_2:                              ;   in Loop: Header=BB163_4 Depth=1
	s_or_b32 exec_lo, exec_lo, s25
.LBB163_3:                              ;   in Loop: Header=BB163_4 Depth=1
	s_add_co_i32 s2, s2, 0x10000
	s_wait_alu 0xfffe
	s_cmp_lt_u32 s2, s22
	s_cbranch_scc0 .LBB163_24
.LBB163_4:                              ; =>This Loop Header: Depth=1
                                        ;     Child Loop BB163_15 Depth 2
	s_wait_alu 0xfffe
	s_mul_u64 s[20:21], s[6:7], s[2:3]
	s_mul_u64 s[26:27], s[10:11], s[2:3]
	s_wait_alu 0xfffe
	s_lshl_b64 s[20:21], s[20:21], 3
	s_lshl_b64 s[26:27], s[26:27], 3
	s_wait_alu 0xfffe
	s_add_nc_u64 s[20:21], s[4:5], s[20:21]
	s_add_nc_u64 s[26:27], s[8:9], s[26:27]
	s_clause 0x1
	global_load_b64 v[4:5], v12, s[20:21]
	global_load_b64 v[6:7], v12, s[26:27]
	s_wait_loadcnt 0x1
	v_cmp_eq_f64_e32 vcc_lo, 0, v[4:5]
	s_wait_loadcnt 0x0
	v_cmp_eq_f64_e64 s1, 1.0, v[6:7]
	s_and_b32 s1, vcc_lo, s1
	s_wait_alu 0xfffe
	s_and_b32 vcc_lo, exec_lo, s1
	s_wait_alu 0xfffe
	s_cbranch_vccnz .LBB163_3
; %bb.5:                                ;   in Loop: Header=BB163_4 Depth=1
	v_cmp_neq_f64_e32 vcc_lo, 0, v[4:5]
	s_lshl_b64 s[20:21], s[2:3], 3
	s_wait_alu 0xfffe
	s_add_nc_u64 s[20:21], s[12:13], s[20:21]
	s_load_b64 s[20:21], s[20:21], 0x0
	s_wait_kmcnt 0x0
	s_add_nc_u64 s[20:21], s[20:21], s[14:15]
	s_cbranch_vccnz .LBB163_10
; %bb.6:                                ;   in Loop: Header=BB163_4 Depth=1
	s_mov_b32 s25, 0
	s_mov_b32 s1, 0
                                        ; implicit-def: $vgpr8_vgpr9
	s_and_saveexec_b32 s26, s0
	s_cbranch_execz .LBB163_11
; %bb.7:                                ;   in Loop: Header=BB163_4 Depth=1
	v_cmp_eq_f64_e32 vcc_lo, 0, v[6:7]
	v_mov_b32_e32 v8, 0
	v_mov_b32_e32 v9, 0
	s_cbranch_vccnz .LBB163_9
; %bb.8:                                ;   in Loop: Header=BB163_4 Depth=1
	s_wait_alu 0xfffe
	v_add_co_u32 v8, vcc_lo, s20, v2
	s_wait_alu 0xfffd
	v_add_co_ci_u32_e64 v9, null, s21, v3, vcc_lo
	flat_load_b64 v[8:9], v[8:9]
	s_wait_loadcnt_dscnt 0x0
	v_mul_f64_e32 v[8:9], v[6:7], v[8:9]
.LBB163_9:                              ;   in Loop: Header=BB163_4 Depth=1
	s_mov_b32 s1, exec_lo
	s_wait_alu 0xfffe
	s_or_b32 exec_lo, exec_lo, s26
	s_delay_alu instid0(SALU_CYCLE_1)
	s_and_b32 vcc_lo, exec_lo, s25
	s_wait_alu 0xfffe
	s_cbranch_vccnz .LBB163_12
	s_branch .LBB163_21
.LBB163_10:                             ;   in Loop: Header=BB163_4 Depth=1
	s_mov_b32 s1, 0
                                        ; implicit-def: $vgpr8_vgpr9
	s_cbranch_execnz .LBB163_12
	s_branch .LBB163_21
.LBB163_11:                             ;   in Loop: Header=BB163_4 Depth=1
	s_wait_alu 0xfffe
	s_or_b32 exec_lo, exec_lo, s26
	s_delay_alu instid0(SALU_CYCLE_1)
	s_and_b32 vcc_lo, exec_lo, s25
	s_wait_alu 0xfffe
	s_cbranch_vccz .LBB163_21
.LBB163_12:                             ;   in Loop: Header=BB163_4 Depth=1
                                        ; implicit-def: $vgpr8_vgpr9
	s_and_saveexec_b32 s25, s0
	s_cbranch_execz .LBB163_20
; %bb.13:                               ;   in Loop: Header=BB163_4 Depth=1
	v_mov_b32_e32 v10, 0
	v_mov_b32_e32 v11, 0
	s_and_not1_b32 vcc_lo, exec_lo, s23
	s_wait_alu 0xfffe
	s_cbranch_vccnz .LBB163_16
; %bb.14:                               ;   in Loop: Header=BB163_4 Depth=1
	s_load_b32 s26, s[16:17], 0x0
	s_mov_b32 s27, s3
	s_wait_kmcnt 0x0
	s_wait_alu 0xfffe
	s_mul_u64 s[26:27], s[18:19], s[26:27]
	s_wait_alu 0xfffe
	v_mad_co_u64_u32 v[8:9], null, s26, s2, v[0:1]
	s_mov_b32 s26, s24
	v_mad_co_u64_u32 v[9:10], null, s27, s2, v[9:10]
	v_mov_b32_e32 v10, 0
	v_mov_b32_e32 v11, 0
.LBB163_15:                             ;   Parent Loop BB163_4 Depth=1
                                        ; =>  This Inner Loop Header: Depth=2
	global_load_b64 v[13:14], v[8:9], off
	v_add_co_u32 v8, vcc_lo, v8, s18
	s_wait_alu 0xfffd
	v_add_co_ci_u32_e64 v9, null, s19, v9, vcc_lo
	s_wait_alu 0xfffe
	s_add_co_i32 s26, s26, -1
	s_wait_alu 0xfffe
	s_cmp_eq_u32 s26, 0
	s_wait_loadcnt 0x0
	v_add_f64_e32 v[10:11], v[10:11], v[13:14]
	s_cbranch_scc0 .LBB163_15
.LBB163_16:                             ;   in Loop: Header=BB163_4 Depth=1
	v_cmp_eq_f64_e32 vcc_lo, 0, v[6:7]
	s_cbranch_vccz .LBB163_23
; %bb.17:                               ;   in Loop: Header=BB163_4 Depth=1
	s_delay_alu instid0(VALU_DEP_2)
	v_mul_f64_e32 v[8:9], v[4:5], v[10:11]
	s_cbranch_execnz .LBB163_19
.LBB163_18:                             ;   in Loop: Header=BB163_4 Depth=1
	v_add_co_u32 v8, vcc_lo, s20, v2
	s_wait_alu 0xfffd
	v_add_co_ci_u32_e64 v9, null, s21, v3, vcc_lo
	flat_load_b64 v[8:9], v[8:9]
	s_wait_loadcnt_dscnt 0x0
	v_mul_f64_e32 v[6:7], v[6:7], v[8:9]
	s_delay_alu instid0(VALU_DEP_1)
	v_fma_f64 v[8:9], v[4:5], v[10:11], v[6:7]
.LBB163_19:                             ;   in Loop: Header=BB163_4 Depth=1
	s_or_b32 s1, s1, exec_lo
.LBB163_20:                             ;   in Loop: Header=BB163_4 Depth=1
	s_or_b32 exec_lo, exec_lo, s25
.LBB163_21:                             ;   in Loop: Header=BB163_4 Depth=1
	s_wait_alu 0xfffe
	s_and_saveexec_b32 s25, s1
	s_cbranch_execz .LBB163_2
; %bb.22:                               ;   in Loop: Header=BB163_4 Depth=1
	v_add_co_u32 v4, vcc_lo, s20, v2
	s_wait_alu 0xfffd
	v_add_co_ci_u32_e64 v5, null, s21, v3, vcc_lo
	flat_store_b64 v[4:5], v[8:9]
	s_branch .LBB163_2
.LBB163_23:                             ;   in Loop: Header=BB163_4 Depth=1
                                        ; implicit-def: $vgpr8_vgpr9
	s_branch .LBB163_18
.LBB163_24:
	s_endpgm
	.section	.rodata,"a",@progbits
	.p2align	6, 0x0
	.amdhsa_kernel _ZL36rocblas_hemvn_kernel_upper_block_sumILi64EiPKdPKPddEviT1_lS5_lT2_lT0_lPT3_i
		.amdhsa_group_segment_fixed_size 0
		.amdhsa_private_segment_fixed_size 0
		.amdhsa_kernarg_size 344
		.amdhsa_user_sgpr_count 2
		.amdhsa_user_sgpr_dispatch_ptr 0
		.amdhsa_user_sgpr_queue_ptr 0
		.amdhsa_user_sgpr_kernarg_segment_ptr 1
		.amdhsa_user_sgpr_dispatch_id 0
		.amdhsa_user_sgpr_private_segment_size 0
		.amdhsa_wavefront_size32 1
		.amdhsa_uses_dynamic_stack 0
		.amdhsa_enable_private_segment 0
		.amdhsa_system_sgpr_workgroup_id_x 1
		.amdhsa_system_sgpr_workgroup_id_y 0
		.amdhsa_system_sgpr_workgroup_id_z 1
		.amdhsa_system_sgpr_workgroup_info 0
		.amdhsa_system_vgpr_workitem_id 0
		.amdhsa_next_free_vgpr 15
		.amdhsa_next_free_sgpr 28
		.amdhsa_reserve_vcc 1
		.amdhsa_float_round_mode_32 0
		.amdhsa_float_round_mode_16_64 0
		.amdhsa_float_denorm_mode_32 3
		.amdhsa_float_denorm_mode_16_64 3
		.amdhsa_fp16_overflow 0
		.amdhsa_workgroup_processor_mode 1
		.amdhsa_memory_ordered 1
		.amdhsa_forward_progress 1
		.amdhsa_inst_pref_size 7
		.amdhsa_round_robin_scheduling 0
		.amdhsa_exception_fp_ieee_invalid_op 0
		.amdhsa_exception_fp_denorm_src 0
		.amdhsa_exception_fp_ieee_div_zero 0
		.amdhsa_exception_fp_ieee_overflow 0
		.amdhsa_exception_fp_ieee_underflow 0
		.amdhsa_exception_fp_ieee_inexact 0
		.amdhsa_exception_int_div_zero 0
	.end_amdhsa_kernel
	.section	.text._ZL36rocblas_hemvn_kernel_upper_block_sumILi64EiPKdPKPddEviT1_lS5_lT2_lT0_lPT3_i,"axG",@progbits,_ZL36rocblas_hemvn_kernel_upper_block_sumILi64EiPKdPKPddEviT1_lS5_lT2_lT0_lPT3_i,comdat
.Lfunc_end163:
	.size	_ZL36rocblas_hemvn_kernel_upper_block_sumILi64EiPKdPKPddEviT1_lS5_lT2_lT0_lPT3_i, .Lfunc_end163-_ZL36rocblas_hemvn_kernel_upper_block_sumILi64EiPKdPKPddEviT1_lS5_lT2_lT0_lPT3_i
                                        ; -- End function
	.set _ZL36rocblas_hemvn_kernel_upper_block_sumILi64EiPKdPKPddEviT1_lS5_lT2_lT0_lPT3_i.num_vgpr, 15
	.set _ZL36rocblas_hemvn_kernel_upper_block_sumILi64EiPKdPKPddEviT1_lS5_lT2_lT0_lPT3_i.num_agpr, 0
	.set _ZL36rocblas_hemvn_kernel_upper_block_sumILi64EiPKdPKPddEviT1_lS5_lT2_lT0_lPT3_i.numbered_sgpr, 28
	.set _ZL36rocblas_hemvn_kernel_upper_block_sumILi64EiPKdPKPddEviT1_lS5_lT2_lT0_lPT3_i.num_named_barrier, 0
	.set _ZL36rocblas_hemvn_kernel_upper_block_sumILi64EiPKdPKPddEviT1_lS5_lT2_lT0_lPT3_i.private_seg_size, 0
	.set _ZL36rocblas_hemvn_kernel_upper_block_sumILi64EiPKdPKPddEviT1_lS5_lT2_lT0_lPT3_i.uses_vcc, 1
	.set _ZL36rocblas_hemvn_kernel_upper_block_sumILi64EiPKdPKPddEviT1_lS5_lT2_lT0_lPT3_i.uses_flat_scratch, 0
	.set _ZL36rocblas_hemvn_kernel_upper_block_sumILi64EiPKdPKPddEviT1_lS5_lT2_lT0_lPT3_i.has_dyn_sized_stack, 0
	.set _ZL36rocblas_hemvn_kernel_upper_block_sumILi64EiPKdPKPddEviT1_lS5_lT2_lT0_lPT3_i.has_recursion, 0
	.set _ZL36rocblas_hemvn_kernel_upper_block_sumILi64EiPKdPKPddEviT1_lS5_lT2_lT0_lPT3_i.has_indirect_call, 0
	.section	.AMDGPU.csdata,"",@progbits
; Kernel info:
; codeLenInByte = 772
; TotalNumSgprs: 30
; NumVgprs: 15
; ScratchSize: 0
; MemoryBound: 0
; FloatMode: 240
; IeeeMode: 1
; LDSByteSize: 0 bytes/workgroup (compile time only)
; SGPRBlocks: 0
; VGPRBlocks: 1
; NumSGPRsForWavesPerEU: 30
; NumVGPRsForWavesPerEU: 15
; Occupancy: 16
; WaveLimiterHint : 1
; COMPUTE_PGM_RSRC2:SCRATCH_EN: 0
; COMPUTE_PGM_RSRC2:USER_SGPR: 2
; COMPUTE_PGM_RSRC2:TRAP_HANDLER: 0
; COMPUTE_PGM_RSRC2:TGID_X_EN: 1
; COMPUTE_PGM_RSRC2:TGID_Y_EN: 0
; COMPUTE_PGM_RSRC2:TGID_Z_EN: 1
; COMPUTE_PGM_RSRC2:TIDIG_COMP_CNT: 0
	.section	.text._ZL26rocblas_hemvn_kernel_upperILb0ELi64ELi4ELi33ELi32ELi16EldPKPKdPdEviT6_lT7_lT5_lS6_lS7_lS5_lT8_i,"axG",@progbits,_ZL26rocblas_hemvn_kernel_upperILb0ELi64ELi4ELi33ELi32ELi16EldPKPKdPdEviT6_lT7_lT5_lS6_lS7_lS5_lT8_i,comdat
	.globl	_ZL26rocblas_hemvn_kernel_upperILb0ELi64ELi4ELi33ELi32ELi16EldPKPKdPdEviT6_lT7_lT5_lS6_lS7_lS5_lT8_i ; -- Begin function _ZL26rocblas_hemvn_kernel_upperILb0ELi64ELi4ELi33ELi32ELi16EldPKPKdPdEviT6_lT7_lT5_lS6_lS7_lS5_lT8_i
	.p2align	8
	.type	_ZL26rocblas_hemvn_kernel_upperILb0ELi64ELi4ELi33ELi32ELi16EldPKPKdPdEviT6_lT7_lT5_lS6_lS7_lS5_lT8_i,@function
_ZL26rocblas_hemvn_kernel_upperILb0ELi64ELi4ELi33ELi32ELi16EldPKPKdPdEviT6_lT7_lT5_lS6_lS7_lS5_lT8_i: ; @_ZL26rocblas_hemvn_kernel_upperILb0ELi64ELi4ELi33ELi32ELi16EldPKPKdPdEviT6_lT7_lT5_lS6_lS7_lS5_lT8_i
; %bb.0:
	s_clause 0x1
	s_load_b64 s[2:3], s[0:1], 0x84
	s_load_b32 s33, s[0:1], 0x70
	s_lshr_b32 s28, ttmp7, 16
	s_wait_kmcnt 0x0
	s_lshr_b32 s4, s2, 16
	s_and_b32 s2, s2, 0xffff
	s_and_b32 s3, s3, 0xffff
	s_mul_i32 s2, s4, s2
	s_delay_alu instid0(SALU_CYCLE_1) | instskip(NEXT) | instid1(SALU_CYCLE_1)
	s_mul_i32 s2, s2, s3
	s_cmp_lg_u32 s2, 0x100
	s_cselect_b32 s2, -1, 0
	s_cmp_ge_u32 s28, s33
	s_cselect_b32 s3, -1, 0
	s_delay_alu instid0(SALU_CYCLE_1) | instskip(NEXT) | instid1(SALU_CYCLE_1)
	s_or_b32 s2, s2, s3
	s_and_b32 vcc_lo, exec_lo, s2
	s_cbranch_vccnz .LBB164_131
; %bb.1:
	s_clause 0x2
	s_load_b64 s[2:3], s[0:1], 0x8
	s_load_b64 s[4:5], s[0:1], 0x58
	s_load_b32 s10, s[0:1], 0x0
	s_add_nc_u64 s[12:13], s[0:1], 0x78
	s_clause 0x4
	s_load_b128 s[20:23], s[0:1], 0x18
	s_load_b64 s[18:19], s[0:1], 0x28
	s_load_b128 s[24:27], s[0:1], 0x38
	s_load_b64 s[30:31], s[0:1], 0x48
	s_load_b64 s[8:9], s[0:1], 0x68
	v_dual_mov_b32 v56, 0 :: v_dual_and_b32 v99, 0x3ff, v0
	v_bfe_u32 v11, v0, 10, 10
	s_lshl_b32 s52, ttmp9, 6
	v_and_b32_e32 v55, 31, v0
	s_load_b32 s34, s[12:13], 0x0
	v_add_nc_u32_e32 v1, s52, v99
	v_lshl_add_u32 v12, v11, 6, v99
	s_mov_b32 s29, 0
	s_mov_b32 s6, ttmp9
	s_mov_b32 s35, s29
	v_ashrrev_i32_e32 v2, 31, v1
	v_lshrrev_b32_e32 v13, 5, v12
	v_lshlrev_b32_e32 v100, 3, v99
	v_cmp_eq_u32_e64 s0, 0, v11
	s_wait_kmcnt 0x0
	v_cmp_neq_f64_e64 s1, s[2:3], 0
	v_cmp_neq_f64_e64 s4, s[4:5], 1.0
	v_mad_co_u64_u32 v[5:6], null, s18, v13, v[55:56]
	v_mad_co_u64_u32 v[7:8], null, s30, v1, 0
	s_ashr_i32 s11, s10, 31
	v_cmp_eq_f64_e64 s64, s[2:3], 0
	s_lshr_b32 s2, s11, 26
	v_lshlrev_b32_e32 v19, 2, v13
	s_wait_alu 0xfffe
	s_add_co_i32 s2, s10, s2
	s_add_co_i32 s3, s34, -1
	v_mad_co_u64_u32 v[9:10], null, s19, v13, v[6:7]
	s_wait_alu 0xfffe
	s_and_not1_b32 s2, s2, 63
	s_mul_u64 s[36:37], s[34:35], s[10:11]
	s_wait_alu 0xfffe
	s_sub_co_i32 s35, s10, s2
	v_mul_lo_u32 v20, s30, v2
	v_mul_lo_u32 v21, s31, v1
	v_or_b32_e32 v10, 1, v19
	v_dual_mov_b32 v6, v9 :: v_dual_lshlrev_b32 v17, 3, v55
	v_and_b32_e32 v9, 0x7fe0, v12
	v_sub_co_u32 v3, s5, 0, v55
	s_wait_alu 0xf1ff
	v_sub_co_ci_u32_e64 v4, null, 0, 0, s5
	v_lshl_or_b32 v102, v55, 8, v17
	v_add_nc_u32_e32 v104, 0x2380, v9
	v_add3_u32 v8, v8, v20, v21
	v_or_b32_e32 v21, 2, v19
	v_mul_u32_u24_e32 v22, 0x108, v10
	v_add_nc_u32_e32 v103, v102, v9
	v_or_b32_e32 v9, 32, v55
	v_mul_u32_u24_e32 v10, 33, v55
	v_lshlrev_b32_e32 v23, 3, v13
	v_mul_u32_u24_e32 v18, 0x108, v13
	v_add_nc_u32_e32 v14, 8, v13
	v_add_nc_u32_e32 v15, 16, v13
	s_or_b32 s65, s1, s4
	s_cmp_eq_u32 ttmp9, s3
	v_add_nc_u32_e32 v16, 24, v13
	s_cselect_b32 s38, s35, 0
	v_mul_u32_u24_e32 v20, 0x420, v13
	s_cmp_lg_u32 s38, 0
	v_cmp_gt_i32_e64 s2, s38, v13
	s_cselect_b32 s66, -1, 0
	s_cmp_eq_u32 s38, 0
	v_lshl_add_u32 v105, v10, 3, v23
	s_cselect_b32 s5, -1, 0
	s_ashr_i32 s7, ttmp9, 31
	s_sub_co_i32 s15, s38, 32
	s_mul_u64 s[6:7], s[10:11], s[6:7]
	v_cmp_gt_i32_e64 s11, s38, v9
	s_lshl_b64 s[6:7], s[6:7], 3
	v_lshrrev_b32_e32 v9, 4, v12
	s_add_nc_u64 s[42:43], s[8:9], s[6:7]
	v_cmp_gt_u32_e64 s6, v19, v55
	v_cmp_ge_u32_e64 s7, v19, v55
	v_or_b32_e32 v19, 3, v19
	v_cmp_gt_i32_e64 s12, s15, v13
	v_cmp_eq_u32_e64 s16, 1, v13
	v_mul_i32_i24_e32 v106, 0xffffffe8, v13
	v_and_b32_e32 v10, 15, v0
	v_cmp_gt_u32_e64 s9, v19, v55
	v_lshlrev_b32_e32 v19, 5, v11
	v_and_b32_e32 v0, 48, v0
	v_lshlrev_b32_e32 v13, 5, v9
	v_cmp_gt_i32_e64 s3, s38, v14
	v_cmp_gt_i32_e64 s13, s15, v14
	v_or_b32_e32 v14, 0x78, v100
	v_lshlrev_b32_e32 v0, 3, v0
	v_mad_u32_u24 v111, 0x218, v10, v13
	v_add_nc_u32_e32 v13, 0x110, v19
	v_cmp_gt_u32_e64 s8, v21, v55
	v_mul_i32_i24_e32 v21, 0xffffffe8, v9
	v_mad_u32_u24 v112, 0x218, v10, v0
	v_mad_u32_u24 v113, 0x218, v10, v14
	v_mad_co_u64_u32 v[9:10], null, s18, v13, 0
	v_cmp_gt_i32_e32 vcc_lo, s38, v99
	v_cmp_gt_i32_e64 s4, s38, v15
	v_cmp_gt_i32_e64 s14, s15, v15
	v_add_nc_u32_e32 v15, 0x118, v19
	s_add_co_i32 s17, ttmp9, 1
	s_ashr_i32 s53, s52, 31
	v_mov_b32_e32 v0, v10
	s_ashr_i32 s39, s38, 31
	s_lshl_b64 s[40:41], s[18:19], 6
	s_wait_alu 0xfffe
	s_or_b32 s67, s5, vcc_lo
	s_lshl_b64 s[44:45], s[18:19], 7
	s_lshl_b64 s[56:57], s[18:19], 5
	v_cmp_gt_u32_e64 s10, 32, v12
	v_lshlrev_b32_e32 v107, 2, v11
	s_cmp_lt_u32 s17, s34
	v_mad_u32_u24 v110, 0x860, v11, v100
	v_cmp_gt_u32_e64 s17, 64, v12
	v_mad_u32_u24 v129, 0x218, v11, v100
	v_mad_co_u64_u32 v[11:12], null, s18, v15, 0
	v_mad_co_u64_u32 v[13:14], null, s19, v13, v[0:1]
	v_lshlrev_b64_e32 v[57:58], 3, v[5:6]
	v_cmp_gt_i32_e64 s5, s38, v16
	v_cmp_gt_i32_e64 s15, s15, v16
	v_add_nc_u32_e32 v16, 0x108, v19
	v_add_nc_u32_e32 v14, 0x100, v19
	v_mov_b32_e32 v0, v12
	v_sub_co_u32 v132, vcc_lo, v9, v57
	s_delay_alu instid0(VALU_DEP_4) | instskip(SKIP_3) | instid1(VALU_DEP_4)
	v_mad_co_u64_u32 v[5:6], null, s18, v16, 0
	v_sub_co_ci_u32_e64 v133, null, v13, v58, vcc_lo
	v_mad_co_u64_u32 v[12:13], null, s18, v14, 0
	v_mad_co_u64_u32 v[9:10], null, s19, v15, v[0:1]
	v_dual_mov_b32 v0, v6 :: v_dual_add_nc_u32 v15, 0x190, v19
	v_sub_co_u32 v134, vcc_lo, v11, v57
	s_delay_alu instid0(VALU_DEP_4) | instskip(SKIP_2) | instid1(VALU_DEP_4)
	v_mov_b32_e32 v6, v13
	s_mul_u64 s[48:49], s[30:31], s[52:53]
	s_wait_alu 0xfffd
	v_sub_co_ci_u32_e64 v135, null, v9, v58, vcc_lo
	v_mad_co_u64_u32 v[9:10], null, s19, v16, v[0:1]
	v_mad_co_u64_u32 v[13:14], null, s19, v14, v[6:7]
	;; [unrolled: 1-line block ×3, first 2 shown]
	v_add_nc_u32_e32 v14, 0x198, v19
	v_sub_co_u32 v136, vcc_lo, v5, v57
	s_wait_alu 0xfffd
	v_sub_co_ci_u32_e64 v137, null, v9, v58, vcc_lo
	s_delay_alu instid0(VALU_DEP_3)
	v_mad_co_u64_u32 v[5:6], null, s18, v14, 0
	v_mov_b32_e32 v0, v11
	v_sub_co_u32 v138, vcc_lo, v12, v57
	v_add_nc_u32_e32 v9, 0x188, v19
	s_wait_alu 0xfffd
	v_sub_co_ci_u32_e64 v139, null, v13, v58, vcc_lo
	v_mad_co_u64_u32 v[11:12], null, s19, v15, v[0:1]
	v_mov_b32_e32 v0, v6
	v_add_nc_u32_e32 v6, 0x180, v19
	v_mad_co_u64_u32 v[12:13], null, s18, v9, 0
	v_sub_co_u32 v140, vcc_lo, v10, v57
	s_delay_alu instid0(VALU_DEP_4) | instskip(NEXT) | instid1(VALU_DEP_4)
	v_mad_co_u64_u32 v[14:15], null, s19, v14, v[0:1]
	v_mad_co_u64_u32 v[15:16], null, s18, v6, 0
	s_wait_alu 0xfffd
	v_sub_co_ci_u32_e64 v141, null, v11, v58, vcc_lo
	v_mov_b32_e32 v0, v13
	v_sub_co_u32 v142, vcc_lo, v5, v57
	v_add_nc_u32_e32 v13, 0x210, v19
	v_mov_b32_e32 v5, v16
	v_add_nc_u32_e32 v101, 0x2380, v100
	v_mad_co_u64_u32 v[9:10], null, s19, v9, v[0:1]
	s_delay_alu instid0(VALU_DEP_4)
	v_mad_co_u64_u32 v[10:11], null, s18, v13, 0
	s_wait_alu 0xfffd
	v_sub_co_ci_u32_e64 v143, null, v14, v58, vcc_lo
	v_add_nc_u32_e32 v14, 0x218, v19
	v_mad_co_u64_u32 v[5:6], null, s19, v6, v[5:6]
	v_sub_co_u32 v144, vcc_lo, v12, v57
	v_mov_b32_e32 v0, v11
	s_delay_alu instid0(VALU_DEP_4)
	v_mad_co_u64_u32 v[11:12], null, s18, v14, 0
	s_wait_alu 0xfffd
	v_sub_co_ci_u32_e64 v145, null, v9, v58, vcc_lo
	v_add_nc_u32_e32 v9, 0x208, v19
	v_sub_co_u32 v146, vcc_lo, v15, v57
	s_wait_alu 0xfffd
	v_sub_co_ci_u32_e64 v147, null, v5, v58, vcc_lo
	v_mad_co_u64_u32 v[5:6], null, s19, v13, v[0:1]
	v_mov_b32_e32 v0, v12
	v_mad_co_u64_u32 v[12:13], null, s18, v9, 0
	v_sub_co_u32 v148, vcc_lo, v10, v57
	s_delay_alu instid0(VALU_DEP_3) | instskip(SKIP_2) | instid1(VALU_DEP_4)
	v_mad_co_u64_u32 v[14:15], null, s19, v14, v[0:1]
	s_wait_alu 0xfffd
	v_sub_co_ci_u32_e64 v149, null, v5, v58, vcc_lo
	v_mov_b32_e32 v0, v13
	v_add_nc_u32_e32 v6, 0x200, v19
	v_add_nc_u32_e32 v130, v102, v23
	;; [unrolled: 1-line block ×3, first 2 shown]
	v_sub_co_u32 v150, vcc_lo, v11, v57
	s_delay_alu instid0(VALU_DEP_4)
	v_mad_co_u64_u32 v[15:16], null, s18, v6, 0
	v_mad_co_u64_u32 v[9:10], null, s19, v9, v[0:1]
	v_add_nc_u32_e32 v23, 0x298, v19
	s_wait_alu 0xfffd
	v_sub_co_ci_u32_e64 v151, null, v14, v58, vcc_lo
	v_sub_co_u32 v152, vcc_lo, v12, v57
	v_dual_mov_b32 v5, v16 :: v_dual_add_nc_u32 v16, 0x290, v19
	s_wait_alu 0xfffd
	v_sub_co_ci_u32_e64 v153, null, v9, v58, vcc_lo
	v_add_nc_u32_e32 v9, 0x288, v19
	s_delay_alu instid0(VALU_DEP_3) | instskip(SKIP_4) | instid1(VALU_DEP_4)
	v_mad_co_u64_u32 v[5:6], null, s19, v6, v[5:6]
	v_mad_co_u64_u32 v[10:11], null, s18, v16, 0
	;; [unrolled: 1-line block ×3, first 2 shown]
	v_sub_co_u32 v154, vcc_lo, v15, v57
	s_wait_alu 0xfffd
	v_sub_co_ci_u32_e64 v155, null, v5, v58, vcc_lo
	s_delay_alu instid0(VALU_DEP_4)
	v_mov_b32_e32 v0, v11
	v_mad_co_u64_u32 v[11:12], null, s18, v9, 0
	v_add_nc_u32_e32 v109, 0x2180, v19
	v_add_nc_u32_e32 v19, 0x280, v19
	v_mov_b32_e32 v5, v14
	v_mad_co_u64_u32 v[14:15], null, s19, v16, v[0:1]
	v_sub_co_u32 v156, vcc_lo, v10, v57
	s_delay_alu instid0(VALU_DEP_4)
	v_mad_co_u64_u32 v[15:16], null, s18, v19, 0
	v_mov_b32_e32 v0, v12
	v_mad_co_u64_u32 v[5:6], null, s19, v23, v[5:6]
	v_add_nc_u32_e32 v117, 16, v107
	s_wait_alu 0xfffd
	v_sub_co_ci_u32_e64 v157, null, v14, v58, vcc_lo
	v_mad_co_u64_u32 v[9:10], null, s19, v9, v[0:1]
	v_mov_b32_e32 v0, v16
	v_sub_co_u32 v158, vcc_lo, v13, v57
	s_wait_alu 0xfffd
	v_sub_co_ci_u32_e64 v159, null, v5, v58, vcc_lo
	s_delay_alu instid0(VALU_DEP_3)
	v_mad_co_u64_u32 v[5:6], null, s19, v19, v[0:1]
	v_sub_co_u32 v160, vcc_lo, v11, v57
	s_wait_alu 0xfffd
	v_sub_co_ci_u32_e64 v161, null, v9, v58, vcc_lo
	v_sub_co_u32 v162, vcc_lo, v15, v57
	v_lshlrev_b64_e32 v[59:60], 3, v[7:8]
	v_lshlrev_b64_e32 v[61:62], 3, v[1:2]
	;; [unrolled: 1-line block ×3, first 2 shown]
	v_cmp_gt_i32_e64 s1, s38, v55
	v_add_nc_u32_e32 v108, 0x2180, v100
	v_or_b32_e32 v114, 1, v107
	v_or_b32_e32 v115, 2, v107
	;; [unrolled: 1-line block ×3, first 2 shown]
	v_add_nc_u32_e32 v118, 17, v107
	v_add_nc_u32_e32 v119, 18, v107
	;; [unrolled: 1-line block ×11, first 2 shown]
	s_wait_alu 0xfffd
	v_sub_co_ci_u32_e64 v163, null, v5, v58, vcc_lo
	v_add_nc_u32_e32 v164, v111, v21
	v_add_nc_u32_e32 v165, v17, v18
	v_lshlrev_b32_e32 v166, 3, v55
	v_add_nc_u32_e32 v167, v17, v20
	v_add_nc_u32_e32 v168, v17, v22
	s_mul_u64 s[54:55], s[18:19], s[52:53]
	s_sub_nc_u64 s[58:59], 0, s[48:49]
	s_mul_u64 s[46:47], s[18:19], 0xc0
	s_cselect_b32 s68, -1, 0
	s_add_co_i32 s69, s34, -2
	s_and_b32 s70, s0, s67
	s_sub_nc_u64 s[48:49], 0, s[38:39]
	s_add_co_i32 s71, s52, 64
	s_lshl_b64 s[50:51], s[18:19], 9
	s_lshl_b64 s[26:27], s[26:27], 3
	;; [unrolled: 1-line block ×7, first 2 shown]
	s_branch .LBB164_4
.LBB164_2:                              ;   in Loop: Header=BB164_4 Depth=1
	s_wait_alu 0xfffe
	s_or_b32 exec_lo, exec_lo, s18
.LBB164_3:                              ;   in Loop: Header=BB164_4 Depth=1
	s_add_co_i32 s28, s28, 0x10000
	s_delay_alu instid0(SALU_CYCLE_1)
	s_cmp_lt_u32 s28, s33
	s_cbranch_scc0 .LBB164_131
.LBB164_4:                              ; =>This Loop Header: Depth=1
                                        ;     Child Loop BB164_71 Depth 2
	s_and_not1_b32 vcc_lo, exec_lo, s65
	s_wait_alu 0xfffe
	s_cbranch_vccnz .LBB164_3
; %bb.5:                                ;   in Loop: Header=BB164_4 Depth=1
	s_and_b32 vcc_lo, exec_lo, s64
	s_wait_alu 0xfffe
	s_cbranch_vccz .LBB164_7
; %bb.6:                                ;   in Loop: Header=BB164_4 Depth=1
	s_cbranch_execnz .LBB164_3
	s_branch .LBB164_8
.LBB164_7:                              ;   in Loop: Header=BB164_4 Depth=1
.LBB164_8:                              ;   in Loop: Header=BB164_4 Depth=1
	s_lshl_b64 s[18:19], s[28:29], 3
	s_wait_alu 0xfffe
	s_add_nc_u64 s[60:61], s[24:25], s[18:19]
	s_add_nc_u64 s[18:19], s[20:21], s[18:19]
	s_clause 0x1
	global_load_b64 v[2:3], v56, s[60:61]
	global_load_b64 v[0:1], v56, s[18:19]
	s_wait_loadcnt 0x1
	v_add_co_u32 v2, vcc_lo, v2, s26
	s_wait_alu 0xfffd
	v_add_co_ci_u32_e64 v3, null, s27, v3, vcc_lo
	s_delay_alu instid0(VALU_DEP_2) | instskip(SKIP_1) | instid1(VALU_DEP_2)
	v_add_co_u32 v12, vcc_lo, v2, v59
	s_wait_alu 0xfffd
	v_add_co_ci_u32_e64 v13, null, v3, v60, vcc_lo
	s_and_saveexec_b32 s18, s0
	s_cbranch_execz .LBB164_12
; %bb.9:                                ;   in Loop: Header=BB164_4 Depth=1
	v_mov_b32_e32 v2, 0
	v_mov_b32_e32 v3, 0
	s_and_saveexec_b32 s19, s67
	s_cbranch_execz .LBB164_11
; %bb.10:                               ;   in Loop: Header=BB164_4 Depth=1
	flat_load_b64 v[2:3], v[12:13]
.LBB164_11:                             ;   in Loop: Header=BB164_4 Depth=1
	s_wait_alu 0xfffe
	s_or_b32 exec_lo, exec_lo, s19
	s_wait_loadcnt_dscnt 0x0
	ds_store_b64 v101, v[2:3]
.LBB164_12:                             ;   in Loop: Header=BB164_4 Depth=1
	s_wait_alu 0xfffe
	s_or_b32 exec_lo, exec_lo, s18
	s_wait_loadcnt 0x0
	v_add_co_u32 v0, vcc_lo, v0, s22
	s_wait_alu 0xfffd
	v_add_co_ci_u32_e64 v1, null, s23, v1, vcc_lo
	s_mov_b32 s18, -1
	v_add_co_u32 v0, vcc_lo, v0, s52
	s_wait_alu 0xfffd
	v_add_co_ci_u32_e64 v1, null, s53, v1, vcc_lo
	s_delay_alu instid0(VALU_DEP_2) | instskip(SKIP_1) | instid1(VALU_DEP_2)
	v_add_co_u32 v0, vcc_lo, v0, v57
	s_wait_alu 0xfffd
	v_add_co_ci_u32_e64 v1, null, v1, v58, vcc_lo
	s_delay_alu instid0(VALU_DEP_2) | instskip(SKIP_1) | instid1(VALU_DEP_2)
	v_add_co_u32 v2, vcc_lo, v0, s54
	s_wait_alu 0xfffd
	v_add_co_ci_u32_e64 v3, null, s55, v1, vcc_lo
	s_and_b32 vcc_lo, exec_lo, s66
                                        ; implicit-def: $vgpr0_vgpr1
	s_wait_alu 0xfffe
	s_cbranch_vccz .LBB164_22
; %bb.13:                               ;   in Loop: Header=BB164_4 Depth=1
	v_add_co_u32 v0, vcc_lo, v2, v63
	s_wait_alu 0xfffd
	v_add_co_ci_u32_e64 v1, null, v3, v64, vcc_lo
	s_lshl_b64 s[18:19], s[38:39], 3
	v_mov_b32_e32 v6, 0
	s_wait_alu 0xfffe
	v_add_co_u32 v0, vcc_lo, v0, s18
	s_wait_alu 0xfffd
	v_add_co_ci_u32_e64 v1, null, s19, v1, vcc_lo
	v_dual_mov_b32 v7, 0 :: v_dual_mov_b32 v4, 0
	s_delay_alu instid0(VALU_DEP_3) | instskip(SKIP_1) | instid1(VALU_DEP_3)
	v_add_co_u32 v0, vcc_lo, v0, -8
	s_wait_alu 0xfffd
	v_add_co_ci_u32_e64 v1, null, -1, v1, vcc_lo
	v_mov_b32_e32 v5, 0
	s_delay_alu instid0(VALU_DEP_3) | instskip(NEXT) | instid1(VALU_DEP_3)
	v_cndmask_b32_e64 v0, v0, v2, s1
	v_cndmask_b32_e64 v1, v1, v3, s1
	s_and_saveexec_b32 s18, s2
	s_cbranch_execz .LBB164_15
; %bb.14:                               ;   in Loop: Header=BB164_4 Depth=1
	flat_load_b64 v[4:5], v[0:1]
.LBB164_15:                             ;   in Loop: Header=BB164_4 Depth=1
	s_wait_alu 0xfffe
	s_or_b32 exec_lo, exec_lo, s18
	s_wait_loadcnt_dscnt 0x0
	ds_store_b64 v165, v[4:5]
	s_and_saveexec_b32 s18, s3
	s_cbranch_execz .LBB164_17
; %bb.16:                               ;   in Loop: Header=BB164_4 Depth=1
	v_add_co_u32 v4, vcc_lo, v0, s40
	s_wait_alu 0xfffd
	v_add_co_ci_u32_e64 v5, null, s41, v1, vcc_lo
	flat_load_b64 v[6:7], v[4:5]
.LBB164_17:                             ;   in Loop: Header=BB164_4 Depth=1
	s_wait_alu 0xfffe
	s_or_b32 exec_lo, exec_lo, s18
	v_mov_b32_e32 v4, 0
	v_dual_mov_b32 v5, 0 :: v_dual_mov_b32 v8, 0
	v_mov_b32_e32 v9, 0
	s_wait_loadcnt_dscnt 0x0
	ds_store_b64 v165, v[6:7] offset:2112
	s_and_saveexec_b32 s18, s4
	s_cbranch_execz .LBB164_19
; %bb.18:                               ;   in Loop: Header=BB164_4 Depth=1
	v_add_co_u32 v6, vcc_lo, v0, s44
	s_wait_alu 0xfffd
	v_add_co_ci_u32_e64 v7, null, s45, v1, vcc_lo
	flat_load_b64 v[8:9], v[6:7]
.LBB164_19:                             ;   in Loop: Header=BB164_4 Depth=1
	s_wait_alu 0xfffe
	s_or_b32 exec_lo, exec_lo, s18
	s_wait_loadcnt_dscnt 0x0
	ds_store_b64 v165, v[8:9] offset:4224
	s_and_saveexec_b32 s18, s5
	s_cbranch_execz .LBB164_21
; %bb.20:                               ;   in Loop: Header=BB164_4 Depth=1
	v_add_co_u32 v4, vcc_lo, v0, s46
	s_wait_alu 0xfffd
	v_add_co_ci_u32_e64 v5, null, s47, v1, vcc_lo
	flat_load_b64 v[4:5], v[4:5]
.LBB164_21:                             ;   in Loop: Header=BB164_4 Depth=1
	s_wait_alu 0xfffe
	s_or_b32 exec_lo, exec_lo, s18
	v_add_co_u32 v0, vcc_lo, v0, v166
	s_wait_alu 0xfffd
	v_add_co_ci_u32_e64 v1, null, 0, v1, vcc_lo
	s_lshl_b64 s[18:19], s[48:49], 3
	s_wait_loadcnt_dscnt 0x0
	ds_store_b64 v165, v[4:5] offset:6336
	s_wait_alu 0xfffe
	v_add_co_u32 v0, vcc_lo, v0, s18
	s_wait_alu 0xfffd
	v_add_co_ci_u32_e64 v1, null, s19, v1, vcc_lo
	s_mov_b32 s18, 0
	v_add_co_u32 v0, vcc_lo, v0, 8
	s_wait_alu 0xfffd
	v_add_co_ci_u32_e64 v1, null, 0, v1, vcc_lo
	s_delay_alu instid0(VALU_DEP_2) | instskip(NEXT) | instid1(VALU_DEP_2)
	v_cndmask_b32_e64 v0, v0, v2, s1
	v_cndmask_b32_e64 v1, v1, v3, s1
.LBB164_22:                             ;   in Loop: Header=BB164_4 Depth=1
	s_wait_alu 0xfffe
	s_and_b32 vcc_lo, exec_lo, s18
	s_wait_alu 0xfffe
	s_cbranch_vccz .LBB164_24
; %bb.23:                               ;   in Loop: Header=BB164_4 Depth=1
	v_add_co_u32 v0, vcc_lo, v2, s40
	s_wait_alu 0xfffd
	v_add_co_ci_u32_e64 v1, null, s41, v3, vcc_lo
	s_delay_alu instid0(VALU_DEP_2) | instskip(SKIP_1) | instid1(VALU_DEP_2)
	v_add_co_u32 v4, vcc_lo, v0, s40
	s_wait_alu 0xfffd
	v_add_co_ci_u32_e64 v5, null, s41, v1, vcc_lo
	s_delay_alu instid0(VALU_DEP_2) | instskip(SKIP_1) | instid1(VALU_DEP_2)
	v_add_co_u32 v6, vcc_lo, v4, s40
	s_wait_alu 0xfffd
	v_add_co_ci_u32_e64 v7, null, s41, v5, vcc_lo
	s_clause 0x3
	flat_load_b64 v[8:9], v[2:3]
	flat_load_b64 v[10:11], v[0:1]
	;; [unrolled: 1-line block ×4, first 2 shown]
	v_dual_mov_b32 v0, v2 :: v_dual_mov_b32 v1, v3
	s_wait_loadcnt_dscnt 0x303
	ds_store_b64 v165, v[8:9]
	s_wait_loadcnt_dscnt 0x203
	ds_store_b64 v165, v[10:11] offset:2112
	s_wait_loadcnt_dscnt 0x103
	ds_store_b64 v165, v[4:5] offset:4224
	;; [unrolled: 2-line block ×3, first 2 shown]
.LBB164_24:                             ;   in Loop: Header=BB164_4 Depth=1
	s_wait_dscnt 0x0
	s_barrier_signal -1
	s_barrier_wait -1
	global_inv scope:SCOPE_SE
	s_and_saveexec_b32 s18, s6
	s_cbranch_execnz .LBB164_125
; %bb.25:                               ;   in Loop: Header=BB164_4 Depth=1
	s_wait_alu 0xfffe
	s_or_b32 exec_lo, exec_lo, s18
	s_and_saveexec_b32 s18, s7
	s_cbranch_execnz .LBB164_126
.LBB164_26:                             ;   in Loop: Header=BB164_4 Depth=1
	s_wait_alu 0xfffe
	s_or_b32 exec_lo, exec_lo, s18
	s_and_saveexec_b32 s18, s8
	s_cbranch_execnz .LBB164_127
.LBB164_27:                             ;   in Loop: Header=BB164_4 Depth=1
	s_wait_alu 0xfffe
	s_or_b32 exec_lo, exec_lo, s18
	s_and_saveexec_b32 s18, s9
	s_cbranch_execz .LBB164_29
.LBB164_28:                             ;   in Loop: Header=BB164_4 Depth=1
	ds_load_b64 v[2:3], v168 offset:528
	s_wait_dscnt 0x0
	ds_store_b64 v103, v[2:3] offset:24
.LBB164_29:                             ;   in Loop: Header=BB164_4 Depth=1
	s_wait_alu 0xfffe
	s_or_b32 exec_lo, exec_lo, s18
	s_wait_loadcnt_dscnt 0x0
	s_barrier_signal -1
	s_barrier_wait -1
	global_inv scope:SCOPE_SE
	ds_load_b64 v[10:11], v167
	ds_load_b128 v[2:5], v104
	ds_load_b128 v[6:9], v104 offset:16
	ds_load_b64 v[18:19], v168 offset:528
	ds_load_2addr_b64 v[14:17], v168 offset1:33
	v_mov_b32_e32 v65, 0
	v_mov_b32_e32 v66, 0
	s_wait_loadcnt_dscnt 0x0
	s_barrier_signal -1
	s_barrier_wait -1
	global_inv scope:SCOPE_SE
	v_fma_f64 v[2:3], v[10:11], v[2:3], 0
	s_delay_alu instid0(VALU_DEP_1) | instskip(NEXT) | instid1(VALU_DEP_1)
	v_fma_f64 v[2:3], v[14:15], v[4:5], v[2:3]
	v_fma_f64 v[2:3], v[16:17], v[6:7], v[2:3]
	s_delay_alu instid0(VALU_DEP_1)
	v_fma_f64 v[2:3], v[18:19], v[8:9], v[2:3]
	ds_store_b64 v105, v[2:3]
	s_wait_loadcnt_dscnt 0x0
	s_barrier_signal -1
	s_barrier_wait -1
	global_inv scope:SCOPE_SE
	s_and_saveexec_b32 s18, s10
	s_cbranch_execz .LBB164_31
; %bb.30:                               ;   in Loop: Header=BB164_4 Depth=1
	ds_load_2addr_b64 v[2:5], v102 offset1:1
	ds_load_2addr_b64 v[6:9], v102 offset0:2 offset1:3
	s_wait_dscnt 0x1
	v_add_f64_e32 v[2:3], v[2:3], v[4:5]
	s_wait_dscnt 0x0
	s_delay_alu instid0(VALU_DEP_1) | instskip(NEXT) | instid1(VALU_DEP_1)
	v_add_f64_e32 v[2:3], v[2:3], v[6:7]
	v_add_f64_e32 v[10:11], v[2:3], v[8:9]
	ds_load_2addr_b64 v[2:5], v102 offset0:4 offset1:5
	ds_load_2addr_b64 v[6:9], v102 offset0:6 offset1:7
	s_wait_dscnt 0x1
	v_add_f64_e32 v[2:3], v[10:11], v[2:3]
	s_delay_alu instid0(VALU_DEP_1) | instskip(SKIP_1) | instid1(VALU_DEP_1)
	v_add_f64_e32 v[2:3], v[2:3], v[4:5]
	s_wait_dscnt 0x0
	v_add_f64_e32 v[2:3], v[2:3], v[6:7]
	s_delay_alu instid0(VALU_DEP_1)
	v_add_f64_e32 v[65:66], v[2:3], v[8:9]
.LBB164_31:                             ;   in Loop: Header=BB164_4 Depth=1
	s_wait_alu 0xfffe
	s_or_b32 exec_lo, exec_lo, s18
	v_add_co_u32 v4, vcc_lo, v0, s56
	s_wait_alu 0xfffd
	v_add_co_ci_u32_e64 v5, null, s57, v1, vcc_lo
	s_mov_b32 s18, -1
	v_add_co_u32 v2, vcc_lo, 0x100, v4
	s_wait_alu 0xfffd
	v_add_co_ci_u32_e64 v3, null, 0, v5, vcc_lo
	s_and_b32 vcc_lo, exec_lo, s66
	s_wait_loadcnt 0x0
	s_barrier_signal -1
	s_barrier_wait -1
	global_inv scope:SCOPE_SE
                                        ; implicit-def: $vgpr0_vgpr1
	s_wait_alu 0xfffe
	s_cbranch_vccz .LBB164_41
; %bb.32:                               ;   in Loop: Header=BB164_4 Depth=1
	v_add_co_u32 v0, vcc_lo, v4, v63
	s_wait_alu 0xfffd
	v_add_co_ci_u32_e64 v1, null, v5, v64, vcc_lo
	s_lshl_b64 s[18:19], s[38:39], 3
	v_mov_b32_e32 v8, 0
	s_wait_alu 0xfffe
	v_add_co_u32 v0, vcc_lo, v0, s18
	s_wait_alu 0xfffd
	v_add_co_ci_u32_e64 v1, null, s19, v1, vcc_lo
	v_dual_mov_b32 v9, 0 :: v_dual_mov_b32 v6, 0
	s_delay_alu instid0(VALU_DEP_3) | instskip(SKIP_1) | instid1(VALU_DEP_3)
	v_add_co_u32 v0, vcc_lo, v0, -8
	s_wait_alu 0xfffd
	v_add_co_ci_u32_e64 v1, null, -1, v1, vcc_lo
	v_mov_b32_e32 v7, 0
	s_delay_alu instid0(VALU_DEP_3) | instskip(NEXT) | instid1(VALU_DEP_3)
	v_cndmask_b32_e64 v0, v0, v2, s11
	v_cndmask_b32_e64 v1, v1, v3, s11
	s_and_saveexec_b32 s18, s12
	s_cbranch_execz .LBB164_34
; %bb.33:                               ;   in Loop: Header=BB164_4 Depth=1
	flat_load_b64 v[6:7], v[0:1]
.LBB164_34:                             ;   in Loop: Header=BB164_4 Depth=1
	s_wait_alu 0xfffe
	s_or_b32 exec_lo, exec_lo, s18
	s_wait_loadcnt_dscnt 0x0
	ds_store_b64 v165, v[6:7]
	s_and_saveexec_b32 s18, s13
	s_cbranch_execz .LBB164_36
; %bb.35:                               ;   in Loop: Header=BB164_4 Depth=1
	v_add_co_u32 v6, vcc_lo, v0, s40
	s_wait_alu 0xfffd
	v_add_co_ci_u32_e64 v7, null, s41, v1, vcc_lo
	flat_load_b64 v[8:9], v[6:7]
.LBB164_36:                             ;   in Loop: Header=BB164_4 Depth=1
	s_wait_alu 0xfffe
	s_or_b32 exec_lo, exec_lo, s18
	v_mov_b32_e32 v6, 0
	v_dual_mov_b32 v7, 0 :: v_dual_mov_b32 v10, 0
	v_mov_b32_e32 v11, 0
	s_wait_loadcnt_dscnt 0x0
	ds_store_b64 v165, v[8:9] offset:2112
	s_and_saveexec_b32 s18, s14
	s_cbranch_execz .LBB164_38
; %bb.37:                               ;   in Loop: Header=BB164_4 Depth=1
	v_add_co_u32 v8, vcc_lo, v0, s44
	s_wait_alu 0xfffd
	v_add_co_ci_u32_e64 v9, null, s45, v1, vcc_lo
	flat_load_b64 v[10:11], v[8:9]
.LBB164_38:                             ;   in Loop: Header=BB164_4 Depth=1
	s_wait_alu 0xfffe
	s_or_b32 exec_lo, exec_lo, s18
	s_wait_loadcnt_dscnt 0x0
	ds_store_b64 v165, v[10:11] offset:4224
	s_and_saveexec_b32 s18, s15
	s_cbranch_execz .LBB164_40
; %bb.39:                               ;   in Loop: Header=BB164_4 Depth=1
	v_add_co_u32 v6, vcc_lo, v0, s46
	s_wait_alu 0xfffd
	v_add_co_ci_u32_e64 v7, null, s47, v1, vcc_lo
	flat_load_b64 v[6:7], v[6:7]
.LBB164_40:                             ;   in Loop: Header=BB164_4 Depth=1
	s_wait_alu 0xfffe
	s_or_b32 exec_lo, exec_lo, s18
	v_add_co_u32 v0, vcc_lo, v0, v166
	s_wait_alu 0xfffd
	v_add_co_ci_u32_e64 v1, null, 0, v1, vcc_lo
	s_lshl_b64 s[18:19], s[48:49], 3
	s_wait_loadcnt_dscnt 0x0
	ds_store_b64 v165, v[6:7] offset:6336
	s_wait_alu 0xfffe
	v_add_co_u32 v0, vcc_lo, v0, s18
	s_wait_alu 0xfffd
	v_add_co_ci_u32_e64 v1, null, s19, v1, vcc_lo
	s_mov_b32 s18, 0
	v_add_co_u32 v0, vcc_lo, 0x108, v0
	s_wait_alu 0xfffd
	v_add_co_ci_u32_e64 v1, null, 0, v1, vcc_lo
	s_delay_alu instid0(VALU_DEP_2) | instskip(NEXT) | instid1(VALU_DEP_2)
	v_cndmask_b32_e64 v0, v0, v2, s11
	v_cndmask_b32_e64 v1, v1, v3, s11
.LBB164_41:                             ;   in Loop: Header=BB164_4 Depth=1
	s_wait_alu 0xfffe
	s_and_b32 vcc_lo, exec_lo, s18
	s_wait_alu 0xfffe
	s_cbranch_vccz .LBB164_43
; %bb.42:                               ;   in Loop: Header=BB164_4 Depth=1
	v_add_co_u32 v0, vcc_lo, v4, s40
	s_wait_alu 0xfffd
	v_add_co_ci_u32_e64 v1, null, s41, v5, vcc_lo
	s_delay_alu instid0(VALU_DEP_2) | instskip(SKIP_1) | instid1(VALU_DEP_2)
	v_add_co_u32 v6, vcc_lo, v0, s40
	s_wait_alu 0xfffd
	v_add_co_ci_u32_e64 v7, null, s41, v1, vcc_lo
	s_delay_alu instid0(VALU_DEP_2) | instskip(SKIP_1) | instid1(VALU_DEP_2)
	v_add_co_u32 v8, vcc_lo, v6, s40
	s_wait_alu 0xfffd
	v_add_co_ci_u32_e64 v9, null, s41, v7, vcc_lo
	s_clause 0x3
	flat_load_b64 v[4:5], v[4:5] offset:256
	flat_load_b64 v[10:11], v[0:1] offset:256
	;; [unrolled: 1-line block ×4, first 2 shown]
	v_dual_mov_b32 v0, v2 :: v_dual_mov_b32 v1, v3
	s_wait_loadcnt_dscnt 0x303
	ds_store_b64 v165, v[4:5]
	s_wait_loadcnt_dscnt 0x203
	ds_store_b64 v165, v[10:11] offset:2112
	s_wait_loadcnt_dscnt 0x103
	ds_store_b64 v165, v[6:7] offset:4224
	;; [unrolled: 2-line block ×3, first 2 shown]
.LBB164_43:                             ;   in Loop: Header=BB164_4 Depth=1
	s_wait_loadcnt_dscnt 0x0
	s_barrier_signal -1
	s_barrier_wait -1
	global_inv scope:SCOPE_SE
	s_and_saveexec_b32 s18, s6
	s_cbranch_execnz .LBB164_128
; %bb.44:                               ;   in Loop: Header=BB164_4 Depth=1
	s_wait_alu 0xfffe
	s_or_b32 exec_lo, exec_lo, s18
	s_and_saveexec_b32 s18, s7
	s_cbranch_execnz .LBB164_129
.LBB164_45:                             ;   in Loop: Header=BB164_4 Depth=1
	s_wait_alu 0xfffe
	s_or_b32 exec_lo, exec_lo, s18
	s_and_saveexec_b32 s18, s8
	s_cbranch_execnz .LBB164_130
.LBB164_46:                             ;   in Loop: Header=BB164_4 Depth=1
	s_wait_alu 0xfffe
	s_or_b32 exec_lo, exec_lo, s18
	s_and_saveexec_b32 s18, s9
	s_cbranch_execz .LBB164_48
.LBB164_47:                             ;   in Loop: Header=BB164_4 Depth=1
	ds_load_b64 v[2:3], v168 offset:528
	s_wait_dscnt 0x0
	ds_store_b64 v103, v[2:3] offset:24
.LBB164_48:                             ;   in Loop: Header=BB164_4 Depth=1
	s_wait_alu 0xfffe
	s_or_b32 exec_lo, exec_lo, s18
	s_wait_loadcnt_dscnt 0x0
	s_barrier_signal -1
	s_barrier_wait -1
	global_inv scope:SCOPE_SE
	ds_load_b64 v[10:11], v167
	ds_load_b128 v[2:5], v104 offset:256
	ds_load_b128 v[6:9], v104 offset:272
	ds_load_b64 v[18:19], v168 offset:528
	ds_load_2addr_b64 v[14:17], v168 offset1:33
	s_wait_loadcnt_dscnt 0x0
	s_barrier_signal -1
	s_barrier_wait -1
	global_inv scope:SCOPE_SE
	v_fma_f64 v[2:3], v[10:11], v[2:3], 0
	s_delay_alu instid0(VALU_DEP_1) | instskip(NEXT) | instid1(VALU_DEP_1)
	v_fma_f64 v[2:3], v[14:15], v[4:5], v[2:3]
	v_fma_f64 v[2:3], v[16:17], v[6:7], v[2:3]
	s_delay_alu instid0(VALU_DEP_1)
	v_fma_f64 v[2:3], v[18:19], v[8:9], v[2:3]
	ds_store_b64 v105, v[2:3]
	s_wait_loadcnt_dscnt 0x0
	s_barrier_signal -1
	s_barrier_wait -1
	global_inv scope:SCOPE_SE
	s_and_saveexec_b32 s18, s16
	s_cbranch_execz .LBB164_50
; %bb.49:                               ;   in Loop: Header=BB164_4 Depth=1
	ds_load_2addr_b64 v[2:5], v102 offset1:1
	ds_load_2addr_b64 v[6:9], v102 offset0:2 offset1:3
	s_wait_dscnt 0x1
	v_add_f64_e32 v[2:3], v[2:3], v[4:5]
	s_wait_dscnt 0x0
	s_delay_alu instid0(VALU_DEP_1) | instskip(NEXT) | instid1(VALU_DEP_1)
	v_add_f64_e32 v[2:3], v[2:3], v[6:7]
	v_add_f64_e32 v[10:11], v[2:3], v[8:9]
	ds_load_2addr_b64 v[2:5], v102 offset0:4 offset1:5
	ds_load_2addr_b64 v[6:9], v102 offset0:6 offset1:7
	s_wait_dscnt 0x1
	v_add_f64_e32 v[2:3], v[10:11], v[2:3]
	s_delay_alu instid0(VALU_DEP_1) | instskip(SKIP_1) | instid1(VALU_DEP_1)
	v_add_f64_e32 v[2:3], v[2:3], v[4:5]
	s_wait_dscnt 0x0
	v_add_f64_e32 v[2:3], v[2:3], v[6:7]
	s_delay_alu instid0(VALU_DEP_1)
	v_add_f64_e32 v[65:66], v[2:3], v[8:9]
.LBB164_50:                             ;   in Loop: Header=BB164_4 Depth=1
	s_wait_alu 0xfffe
	s_or_b32 exec_lo, exec_lo, s18
	v_add_co_u32 v2, vcc_lo, 0xffffff00, v0
	s_wait_alu 0xfffd
	v_add_co_ci_u32_e64 v3, null, -1, v1, vcc_lo
	s_and_b32 vcc_lo, exec_lo, s66
	s_mov_b32 s18, -1
	s_wait_loadcnt 0x0
	s_barrier_signal -1
	s_barrier_wait -1
	global_inv scope:SCOPE_SE
                                        ; implicit-def: $vgpr14_vgpr15
	s_wait_alu 0xfffe
	s_cbranch_vccz .LBB164_60
; %bb.51:                               ;   in Loop: Header=BB164_4 Depth=1
	v_add_co_u32 v4, vcc_lo, v0, v63
	s_wait_alu 0xfffd
	v_add_co_ci_u32_e64 v5, null, v1, v64, vcc_lo
	s_lshl_b64 s[18:19], s[38:39], 3
	v_mov_b32_e32 v8, 0
	s_wait_alu 0xfffe
	v_add_co_u32 v4, vcc_lo, v4, s18
	s_wait_alu 0xfffd
	v_add_co_ci_u32_e64 v5, null, s19, v5, vcc_lo
	v_dual_mov_b32 v9, 0 :: v_dual_mov_b32 v6, 0
	s_delay_alu instid0(VALU_DEP_3) | instskip(SKIP_1) | instid1(VALU_DEP_3)
	v_add_co_u32 v4, vcc_lo, 0xfffffef8, v4
	s_wait_alu 0xfffd
	v_add_co_ci_u32_e64 v5, null, -1, v5, vcc_lo
	v_mov_b32_e32 v7, 0
	s_delay_alu instid0(VALU_DEP_3) | instskip(NEXT) | instid1(VALU_DEP_3)
	v_cndmask_b32_e64 v4, v4, v2, s1
	v_cndmask_b32_e64 v5, v5, v3, s1
	s_and_saveexec_b32 s18, s12
	s_cbranch_execz .LBB164_53
; %bb.52:                               ;   in Loop: Header=BB164_4 Depth=1
	flat_load_b64 v[6:7], v[4:5]
.LBB164_53:                             ;   in Loop: Header=BB164_4 Depth=1
	s_wait_alu 0xfffe
	s_or_b32 exec_lo, exec_lo, s18
	s_wait_loadcnt_dscnt 0x0
	ds_store_b64 v165, v[6:7]
	s_and_saveexec_b32 s18, s13
	s_cbranch_execz .LBB164_55
; %bb.54:                               ;   in Loop: Header=BB164_4 Depth=1
	v_add_co_u32 v6, vcc_lo, v4, s40
	s_wait_alu 0xfffd
	v_add_co_ci_u32_e64 v7, null, s41, v5, vcc_lo
	flat_load_b64 v[8:9], v[6:7]
.LBB164_55:                             ;   in Loop: Header=BB164_4 Depth=1
	s_wait_alu 0xfffe
	s_or_b32 exec_lo, exec_lo, s18
	v_mov_b32_e32 v6, 0
	v_dual_mov_b32 v7, 0 :: v_dual_mov_b32 v10, 0
	v_mov_b32_e32 v11, 0
	s_wait_loadcnt_dscnt 0x0
	ds_store_b64 v165, v[8:9] offset:2112
	s_and_saveexec_b32 s18, s14
	s_cbranch_execz .LBB164_57
; %bb.56:                               ;   in Loop: Header=BB164_4 Depth=1
	v_add_co_u32 v8, vcc_lo, v4, s44
	s_wait_alu 0xfffd
	v_add_co_ci_u32_e64 v9, null, s45, v5, vcc_lo
	flat_load_b64 v[10:11], v[8:9]
.LBB164_57:                             ;   in Loop: Header=BB164_4 Depth=1
	s_wait_alu 0xfffe
	s_or_b32 exec_lo, exec_lo, s18
	s_wait_loadcnt_dscnt 0x0
	ds_store_b64 v165, v[10:11] offset:4224
	s_and_saveexec_b32 s18, s15
	s_cbranch_execz .LBB164_59
; %bb.58:                               ;   in Loop: Header=BB164_4 Depth=1
	v_add_co_u32 v6, vcc_lo, v4, s46
	s_wait_alu 0xfffd
	v_add_co_ci_u32_e64 v7, null, s47, v5, vcc_lo
	flat_load_b64 v[6:7], v[6:7]
.LBB164_59:                             ;   in Loop: Header=BB164_4 Depth=1
	s_wait_alu 0xfffe
	s_or_b32 exec_lo, exec_lo, s18
	v_add_co_u32 v4, vcc_lo, v4, v166
	s_wait_alu 0xfffd
	v_add_co_ci_u32_e64 v5, null, 0, v5, vcc_lo
	s_lshl_b64 s[18:19], s[48:49], 3
	s_wait_loadcnt_dscnt 0x0
	ds_store_b64 v165, v[6:7] offset:6336
	s_wait_alu 0xfffe
	v_add_co_u32 v4, vcc_lo, v4, s18
	s_wait_alu 0xfffd
	v_add_co_ci_u32_e64 v5, null, s19, v5, vcc_lo
	s_mov_b32 s18, 0
	v_add_co_u32 v4, vcc_lo, v4, 8
	s_wait_alu 0xfffd
	v_add_co_ci_u32_e64 v5, null, 0, v5, vcc_lo
	s_delay_alu instid0(VALU_DEP_2) | instskip(NEXT) | instid1(VALU_DEP_2)
	v_cndmask_b32_e64 v14, v4, v2, s1
	v_cndmask_b32_e64 v15, v5, v3, s1
.LBB164_60:                             ;   in Loop: Header=BB164_4 Depth=1
	s_wait_alu 0xfffe
	s_and_b32 vcc_lo, exec_lo, s18
	s_wait_alu 0xfffe
	s_cbranch_vccz .LBB164_62
; %bb.61:                               ;   in Loop: Header=BB164_4 Depth=1
	v_add_co_u32 v4, vcc_lo, v0, s40
	s_wait_alu 0xfffd
	v_add_co_ci_u32_e64 v5, null, s41, v1, vcc_lo
	v_dual_mov_b32 v15, v3 :: v_dual_mov_b32 v14, v2
	s_delay_alu instid0(VALU_DEP_3) | instskip(SKIP_1) | instid1(VALU_DEP_3)
	v_add_co_u32 v6, vcc_lo, v4, s40
	s_wait_alu 0xfffd
	v_add_co_ci_u32_e64 v7, null, s41, v5, vcc_lo
	s_delay_alu instid0(VALU_DEP_2) | instskip(SKIP_1) | instid1(VALU_DEP_2)
	v_add_co_u32 v8, vcc_lo, v6, s40
	s_wait_alu 0xfffd
	v_add_co_ci_u32_e64 v9, null, s41, v7, vcc_lo
	s_clause 0x3
	flat_load_b64 v[0:1], v[0:1] offset:-256
	flat_load_b64 v[4:5], v[4:5] offset:-256
	;; [unrolled: 1-line block ×4, first 2 shown]
	s_wait_loadcnt_dscnt 0x303
	ds_store_b64 v165, v[0:1]
	s_wait_loadcnt_dscnt 0x203
	ds_store_b64 v165, v[4:5] offset:2112
	s_wait_loadcnt_dscnt 0x103
	ds_store_b64 v165, v[6:7] offset:4224
	;; [unrolled: 2-line block ×3, first 2 shown]
.LBB164_62:                             ;   in Loop: Header=BB164_4 Depth=1
	v_add_nc_u32_e32 v0, v103, v106
	v_add_nc_u32_e32 v2, v104, v106
	s_wait_loadcnt_dscnt 0x0
	s_barrier_signal -1
	s_barrier_wait -1
	global_inv scope:SCOPE_SE
	ds_load_b64 v[0:1], v0
	ds_load_b64 v[2:3], v2
	ds_load_b64 v[8:9], v131 offset:192
	s_wait_dscnt 0x1
	v_fma_f64 v[10:11], v[0:1], v[2:3], 0
	ds_load_2addr_b64 v[0:3], v130 offset0:8 offset1:16
	ds_load_2addr_b64 v[4:7], v131 offset0:8 offset1:16
	s_wait_dscnt 0x0
	v_fma_f64 v[0:1], v[0:1], v[4:5], v[10:11]
	s_delay_alu instid0(VALU_DEP_1)
	v_fma_f64 v[0:1], v[2:3], v[6:7], v[0:1]
	ds_load_b64 v[2:3], v130 offset:192
	s_wait_dscnt 0x0
	v_fma_f64 v[20:21], v[2:3], v[8:9], v[0:1]
	ds_load_b128 v[8:11], v104 offset:256
	ds_load_b128 v[0:3], v104 offset:272
	ds_load_2addr_b64 v[4:7], v168 offset1:33
	ds_load_b64 v[18:19], v167
	ds_load_b64 v[16:17], v168 offset:528
	s_wait_loadcnt_dscnt 0x0
	s_barrier_signal -1
	s_barrier_wait -1
	global_inv scope:SCOPE_SE
	ds_store_b64 v105, v[20:21]
	s_wait_loadcnt_dscnt 0x0
	s_barrier_signal -1
	s_barrier_wait -1
	global_inv scope:SCOPE_SE
	s_and_saveexec_b32 s18, s16
	s_cbranch_execz .LBB164_64
; %bb.63:                               ;   in Loop: Header=BB164_4 Depth=1
	ds_load_2addr_b64 v[20:23], v102 offset1:1
	ds_load_2addr_b64 v[24:27], v102 offset0:2 offset1:3
	s_wait_dscnt 0x1
	v_add_f64_e32 v[20:21], v[65:66], v[20:21]
	s_delay_alu instid0(VALU_DEP_1) | instskip(SKIP_1) | instid1(VALU_DEP_1)
	v_add_f64_e32 v[20:21], v[20:21], v[22:23]
	s_wait_dscnt 0x0
	v_add_f64_e32 v[20:21], v[20:21], v[24:25]
	s_delay_alu instid0(VALU_DEP_1) | instskip(SKIP_4) | instid1(VALU_DEP_1)
	v_add_f64_e32 v[28:29], v[20:21], v[26:27]
	ds_load_2addr_b64 v[20:23], v102 offset0:4 offset1:5
	ds_load_2addr_b64 v[24:27], v102 offset0:6 offset1:7
	s_wait_dscnt 0x1
	v_add_f64_e32 v[20:21], v[28:29], v[20:21]
	v_add_f64_e32 v[20:21], v[20:21], v[22:23]
	s_wait_dscnt 0x0
	s_delay_alu instid0(VALU_DEP_1) | instskip(NEXT) | instid1(VALU_DEP_1)
	v_add_f64_e32 v[20:21], v[20:21], v[24:25]
	v_add_f64_e32 v[65:66], v[20:21], v[26:27]
.LBB164_64:                             ;   in Loop: Header=BB164_4 Depth=1
	s_wait_alu 0xfffe
	s_or_b32 exec_lo, exec_lo, s18
	v_fma_f64 v[8:9], v[18:19], v[8:9], 0
	s_wait_loadcnt 0x0
	s_barrier_signal -1
	s_barrier_wait -1
	global_inv scope:SCOPE_SE
	v_fma_f64 v[4:5], v[4:5], v[10:11], v[8:9]
	s_delay_alu instid0(VALU_DEP_1) | instskip(NEXT) | instid1(VALU_DEP_1)
	v_fma_f64 v[0:1], v[6:7], v[0:1], v[4:5]
	v_fma_f64 v[0:1], v[16:17], v[2:3], v[0:1]
	ds_store_b64 v105, v[0:1]
	s_wait_loadcnt_dscnt 0x0
	s_barrier_signal -1
	s_barrier_wait -1
	global_inv scope:SCOPE_SE
	s_and_saveexec_b32 s18, s10
	s_cbranch_execz .LBB164_66
; %bb.65:                               ;   in Loop: Header=BB164_4 Depth=1
	ds_load_2addr_b64 v[0:3], v102 offset1:1
	ds_load_2addr_b64 v[4:7], v102 offset0:2 offset1:3
	s_wait_dscnt 0x1
	v_add_f64_e32 v[0:1], v[65:66], v[0:1]
	s_delay_alu instid0(VALU_DEP_1) | instskip(SKIP_1) | instid1(VALU_DEP_1)
	v_add_f64_e32 v[0:1], v[0:1], v[2:3]
	s_wait_dscnt 0x0
	v_add_f64_e32 v[0:1], v[0:1], v[4:5]
	s_delay_alu instid0(VALU_DEP_1) | instskip(SKIP_4) | instid1(VALU_DEP_1)
	v_add_f64_e32 v[8:9], v[0:1], v[6:7]
	ds_load_2addr_b64 v[0:3], v102 offset0:4 offset1:5
	ds_load_2addr_b64 v[4:7], v102 offset0:6 offset1:7
	s_wait_dscnt 0x1
	v_add_f64_e32 v[0:1], v[8:9], v[0:1]
	v_add_f64_e32 v[0:1], v[0:1], v[2:3]
	s_wait_dscnt 0x0
	s_delay_alu instid0(VALU_DEP_1) | instskip(NEXT) | instid1(VALU_DEP_1)
	v_add_f64_e32 v[0:1], v[0:1], v[4:5]
	v_add_f64_e32 v[65:66], v[0:1], v[6:7]
.LBB164_66:                             ;   in Loop: Header=BB164_4 Depth=1
	s_wait_alu 0xfffe
	s_or_b32 exec_lo, exec_lo, s18
	s_mul_u64 s[18:19], s[36:37], s[28:29]
	s_and_not1_b32 vcc_lo, exec_lo, s68
	s_wait_alu 0xfffe
	s_lshl_b64 s[18:19], s[18:19], 3
	s_wait_loadcnt 0x0
	s_wait_alu 0xfffe
	s_add_nc_u64 s[60:61], s[42:43], s[18:19]
	s_barrier_signal -1
	s_barrier_wait -1
	global_inv scope:SCOPE_SE
	s_cbranch_vccnz .LBB164_123
; %bb.67:                               ;   in Loop: Header=BB164_4 Depth=1
	v_add_co_u32 v169, vcc_lo, v12, s58
	s_wait_alu 0xfffd
	v_add_co_ci_u32_e64 v170, null, s59, v13, vcc_lo
	v_add_co_u32 v171, vcc_lo, v14, v132
	s_wait_alu 0xfffd
	v_add_co_ci_u32_e64 v172, null, v15, v133, vcc_lo
	;; [unrolled: 3-line block ×17, first 2 shown]
	s_mov_b32 s19, ttmp9
	s_mov_b32 s62, s71
	s_wait_alu 0xfffe
	s_cmp_eq_u32 s69, s19
	s_cselect_b32 s72, s35, 0
	s_and_saveexec_b32 s18, s0
	s_cbranch_execz .LBB164_71
.LBB164_68:                             ;   in Loop: Header=BB164_4 Depth=1
	s_wait_alu 0xfffe
	v_cmp_gt_i32_e32 vcc_lo, s72, v99
	s_cmp_eq_u32 s72, 0
	v_mov_b32_e32 v0, 0
	v_mov_b32_e32 v1, 0
	s_cselect_b32 s63, -1, 0
	s_wait_alu 0xfffe
	s_or_b32 s63, s63, vcc_lo
	s_wait_alu 0xfffe
	s_and_saveexec_b32 s73, s63
	s_cbranch_execz .LBB164_70
; %bb.69:                               ;   in Loop: Header=BB164_4 Depth=1
	s_ashr_i32 s63, s62, 31
	s_wait_alu 0xfffe
	s_mul_u64 s[74:75], s[30:31], s[62:63]
	s_wait_alu 0xfffe
	s_lshl_b64 s[74:75], s[74:75], 3
	s_wait_alu 0xfffe
	v_add_co_u32 v0, vcc_lo, v169, s74
	s_wait_alu 0xfffd
	v_add_co_ci_u32_e64 v1, null, s75, v170, vcc_lo
	flat_load_b64 v[0:1], v[0:1]
.LBB164_70:                             ;   in Loop: Header=BB164_4 Depth=1
	s_wait_alu 0xfffe
	s_or_b32 exec_lo, exec_lo, s73
	s_wait_loadcnt_dscnt 0x0
	ds_store_b64 v108, v[0:1]
.LBB164_71:                             ;   Parent Loop BB164_4 Depth=1
                                        ; =>  This Inner Loop Header: Depth=2
	s_wait_alu 0xfffe
	s_or_b32 exec_lo, exec_lo, s18
	s_cmp_eq_u32 s72, 0
	v_add_co_u32 v0, vcc_lo, v177, v100
	s_cselect_b32 s63, -1, 0
	s_cmp_lg_u32 s72, 0
	s_wait_alu 0xfffd
	v_add_co_ci_u32_e64 v1, null, 0, v178, vcc_lo
	s_cselect_b32 s18, -1, 0
	s_mov_b32 s73, -1
	s_wait_alu 0xfffe
	s_and_b32 vcc_lo, exec_lo, s18
	s_wait_loadcnt_dscnt 0x0
	s_barrier_signal -1
	s_barrier_wait -1
	global_inv scope:SCOPE_SE
                                        ; implicit-def: $vgpr73_vgpr74
                                        ; implicit-def: $vgpr71_vgpr72
                                        ; implicit-def: $vgpr69_vgpr70
                                        ; implicit-def: $vgpr67_vgpr68
	s_wait_alu 0xfffe
	s_cbranch_vccz .LBB164_81
; %bb.72:                               ;   in Loop: Header=BB164_71 Depth=2
	v_mov_b32_e32 v69, 0
	v_dual_mov_b32 v70, 0 :: v_dual_mov_b32 v67, 0
	v_mov_b32_e32 v68, 0
	s_mov_b32 s73, exec_lo
	v_cmpx_gt_i32_e64 s72, v107
	s_cbranch_execz .LBB164_74
; %bb.73:                               ;   in Loop: Header=BB164_71 Depth=2
	flat_load_b64 v[67:68], v[0:1]
.LBB164_74:                             ;   in Loop: Header=BB164_71 Depth=2
	s_wait_alu 0xfffe
	s_or_b32 exec_lo, exec_lo, s73
	s_delay_alu instid0(SALU_CYCLE_1)
	s_mov_b32 s73, exec_lo
	v_cmpx_gt_i32_e64 s72, v114
	s_cbranch_execz .LBB164_76
; %bb.75:                               ;   in Loop: Header=BB164_71 Depth=2
	v_add_co_u32 v2, vcc_lo, v175, v100
	s_wait_alu 0xfffd
	v_add_co_ci_u32_e64 v3, null, 0, v176, vcc_lo
	flat_load_b64 v[69:70], v[2:3]
.LBB164_76:                             ;   in Loop: Header=BB164_71 Depth=2
	s_wait_alu 0xfffe
	s_or_b32 exec_lo, exec_lo, s73
	v_mov_b32_e32 v73, 0
	v_dual_mov_b32 v74, 0 :: v_dual_mov_b32 v71, 0
	v_mov_b32_e32 v72, 0
	s_mov_b32 s73, exec_lo
	v_cmpx_gt_i32_e64 s72, v115
	s_cbranch_execz .LBB164_78
; %bb.77:                               ;   in Loop: Header=BB164_71 Depth=2
	v_add_co_u32 v2, vcc_lo, v171, v100
	s_wait_alu 0xfffd
	v_add_co_ci_u32_e64 v3, null, 0, v172, vcc_lo
	flat_load_b64 v[71:72], v[2:3]
.LBB164_78:                             ;   in Loop: Header=BB164_71 Depth=2
	s_wait_alu 0xfffe
	s_or_b32 exec_lo, exec_lo, s73
	s_delay_alu instid0(SALU_CYCLE_1)
	s_mov_b32 s73, exec_lo
	v_cmpx_gt_i32_e64 s72, v116
	s_cbranch_execz .LBB164_80
; %bb.79:                               ;   in Loop: Header=BB164_71 Depth=2
	v_add_co_u32 v2, vcc_lo, v173, v100
	s_wait_alu 0xfffd
	v_add_co_ci_u32_e64 v3, null, 0, v174, vcc_lo
	flat_load_b64 v[73:74], v[2:3]
.LBB164_80:                             ;   in Loop: Header=BB164_71 Depth=2
	s_wait_alu 0xfffe
	s_or_b32 exec_lo, exec_lo, s73
	s_mov_b32 s73, 0
.LBB164_81:                             ;   in Loop: Header=BB164_71 Depth=2
	s_wait_alu 0xfffe
	s_and_b32 vcc_lo, exec_lo, s73
	s_wait_alu 0xfffe
	s_cbranch_vccz .LBB164_83
; %bb.82:                               ;   in Loop: Header=BB164_71 Depth=2
	v_add_co_u32 v2, vcc_lo, v175, v100
	s_wait_alu 0xfffd
	v_add_co_ci_u32_e64 v3, null, 0, v176, vcc_lo
	v_add_co_u32 v4, vcc_lo, v171, v100
	s_wait_alu 0xfffd
	v_add_co_ci_u32_e64 v5, null, 0, v172, vcc_lo
	;; [unrolled: 3-line block ×3, first 2 shown]
	s_wait_loadcnt_dscnt 0x0
	flat_load_b64 v[67:68], v[0:1]
	flat_load_b64 v[69:70], v[2:3]
	;; [unrolled: 1-line block ×4, first 2 shown]
.LBB164_83:                             ;   in Loop: Header=BB164_71 Depth=2
	ds_load_b64 v[4:5], v101
	ds_load_b128 v[0:3], v109
	v_add_co_u32 v16, vcc_lo, v185, v100
	v_cndmask_b32_e64 v44, 0, 1, s18
	s_wait_alu 0xfffd
	v_add_co_ci_u32_e64 v17, null, 0, v186, vcc_lo
	s_and_not1_b32 vcc_lo, exec_lo, s18
	s_mov_b32 s18, -1
                                        ; implicit-def: $vgpr81_vgpr82
                                        ; implicit-def: $vgpr79_vgpr80
                                        ; implicit-def: $vgpr77_vgpr78
                                        ; implicit-def: $vgpr75_vgpr76
	s_wait_loadcnt_dscnt 0x1
	v_mul_f64_e32 v[8:9], v[67:68], v[4:5]
	v_mul_f64_e32 v[10:11], v[69:70], v[4:5]
	;; [unrolled: 1-line block ×4, first 2 shown]
	ds_load_b128 v[4:7], v109 offset:16
	ds_store_2addr_b64 v110, v[8:9], v[10:11] offset1:67
	ds_store_2addr_b64 v110, v[12:13], v[14:15] offset0:134 offset1:201
	s_wait_dscnt 0x0
	s_barrier_signal -1
	s_barrier_wait -1
	global_inv scope:SCOPE_SE
	ds_load_2addr_b64 v[12:15], v111 offset1:1
	ds_load_2addr_b64 v[8:11], v111 offset0:2 offset1:3
	s_wait_loadcnt_dscnt 0x0
	s_barrier_signal -1
	s_barrier_wait -1
	global_inv scope:SCOPE_SE
	s_wait_alu 0xfffe
	s_cbranch_vccnz .LBB164_93
; %bb.84:                               ;   in Loop: Header=BB164_71 Depth=2
	v_mov_b32_e32 v77, 0
	v_dual_mov_b32 v78, 0 :: v_dual_mov_b32 v75, 0
	v_mov_b32_e32 v76, 0
	s_mov_b32 s18, exec_lo
	v_cmpx_gt_i32_e64 s72, v117
	s_cbranch_execz .LBB164_86
; %bb.85:                               ;   in Loop: Header=BB164_71 Depth=2
	flat_load_b64 v[75:76], v[16:17]
.LBB164_86:                             ;   in Loop: Header=BB164_71 Depth=2
	s_wait_alu 0xfffe
	s_or_b32 exec_lo, exec_lo, s18
	s_delay_alu instid0(SALU_CYCLE_1)
	s_mov_b32 s18, exec_lo
	v_cmpx_gt_i32_e64 s72, v118
	s_cbranch_execz .LBB164_88
; %bb.87:                               ;   in Loop: Header=BB164_71 Depth=2
	v_add_co_u32 v18, vcc_lo, v183, v100
	s_wait_alu 0xfffd
	v_add_co_ci_u32_e64 v19, null, 0, v184, vcc_lo
	flat_load_b64 v[77:78], v[18:19]
.LBB164_88:                             ;   in Loop: Header=BB164_71 Depth=2
	s_wait_alu 0xfffe
	s_or_b32 exec_lo, exec_lo, s18
	v_mov_b32_e32 v81, 0
	v_dual_mov_b32 v82, 0 :: v_dual_mov_b32 v79, 0
	v_mov_b32_e32 v80, 0
	s_mov_b32 s18, exec_lo
	v_cmpx_gt_i32_e64 s72, v119
	s_cbranch_execz .LBB164_90
; %bb.89:                               ;   in Loop: Header=BB164_71 Depth=2
	v_add_co_u32 v18, vcc_lo, v179, v100
	s_wait_alu 0xfffd
	v_add_co_ci_u32_e64 v19, null, 0, v180, vcc_lo
	flat_load_b64 v[79:80], v[18:19]
.LBB164_90:                             ;   in Loop: Header=BB164_71 Depth=2
	s_wait_alu 0xfffe
	s_or_b32 exec_lo, exec_lo, s18
	s_delay_alu instid0(SALU_CYCLE_1)
	s_mov_b32 s18, exec_lo
	v_cmpx_gt_i32_e64 s72, v120
	s_cbranch_execz .LBB164_92
; %bb.91:                               ;   in Loop: Header=BB164_71 Depth=2
	v_add_co_u32 v18, vcc_lo, v181, v100
	s_wait_alu 0xfffd
	v_add_co_ci_u32_e64 v19, null, 0, v182, vcc_lo
	flat_load_b64 v[81:82], v[18:19]
.LBB164_92:                             ;   in Loop: Header=BB164_71 Depth=2
	s_wait_alu 0xfffe
	s_or_b32 exec_lo, exec_lo, s18
	s_mov_b32 s18, 0
.LBB164_93:                             ;   in Loop: Header=BB164_71 Depth=2
	s_wait_alu 0xfffe
	s_and_b32 vcc_lo, exec_lo, s18
	s_wait_alu 0xfffe
	s_cbranch_vccz .LBB164_95
; %bb.94:                               ;   in Loop: Header=BB164_71 Depth=2
	v_add_co_u32 v18, vcc_lo, v183, v100
	s_wait_alu 0xfffd
	v_add_co_ci_u32_e64 v19, null, 0, v184, vcc_lo
	v_add_co_u32 v20, vcc_lo, v179, v100
	s_wait_alu 0xfffd
	v_add_co_ci_u32_e64 v21, null, 0, v180, vcc_lo
	;; [unrolled: 3-line block ×3, first 2 shown]
	s_wait_loadcnt_dscnt 0x0
	flat_load_b64 v[75:76], v[16:17]
	flat_load_b64 v[77:78], v[18:19]
	;; [unrolled: 1-line block ×4, first 2 shown]
.LBB164_95:                             ;   in Loop: Header=BB164_71 Depth=2
	ds_load_b64 v[20:21], v101
	ds_load_b128 v[16:19], v109 offset:128
	v_cmp_ne_u32_e32 vcc_lo, 1, v44
                                        ; implicit-def: $vgpr89_vgpr90
                                        ; implicit-def: $vgpr87_vgpr88
                                        ; implicit-def: $vgpr85_vgpr86
                                        ; implicit-def: $vgpr83_vgpr84
	s_and_b32 vcc_lo, exec_lo, vcc_lo
	s_wait_loadcnt_dscnt 0x1
	v_mul_f64_e32 v[24:25], v[75:76], v[20:21]
	v_mul_f64_e32 v[26:27], v[77:78], v[20:21]
	;; [unrolled: 1-line block ×4, first 2 shown]
	ds_load_b128 v[20:23], v109 offset:144
	ds_store_2addr_b64 v110, v[24:25], v[26:27] offset1:67
	ds_store_2addr_b64 v110, v[28:29], v[30:31] offset0:134 offset1:201
	s_wait_dscnt 0x0
	s_barrier_signal -1
	s_barrier_wait -1
	global_inv scope:SCOPE_SE
	ds_load_2addr_b64 v[32:35], v111 offset1:1
	ds_load_2addr_b64 v[24:27], v111 offset0:2 offset1:3
	v_add_co_u32 v28, s18, v193, v100
	s_wait_alu 0xf1ff
	v_add_co_ci_u32_e64 v29, null, 0, v194, s18
	s_mov_b32 s18, -1
	s_wait_loadcnt_dscnt 0x0
	s_barrier_signal -1
	s_barrier_wait -1
	global_inv scope:SCOPE_SE
	s_wait_alu 0xfffe
	s_cbranch_vccnz .LBB164_105
; %bb.96:                               ;   in Loop: Header=BB164_71 Depth=2
	v_mov_b32_e32 v85, 0
	v_dual_mov_b32 v86, 0 :: v_dual_mov_b32 v83, 0
	v_mov_b32_e32 v84, 0
	s_mov_b32 s18, exec_lo
	v_cmpx_gt_i32_e64 s72, v121
	s_cbranch_execz .LBB164_98
; %bb.97:                               ;   in Loop: Header=BB164_71 Depth=2
	flat_load_b64 v[83:84], v[28:29]
.LBB164_98:                             ;   in Loop: Header=BB164_71 Depth=2
	s_wait_alu 0xfffe
	s_or_b32 exec_lo, exec_lo, s18
	s_delay_alu instid0(SALU_CYCLE_1)
	s_mov_b32 s18, exec_lo
	v_cmpx_gt_i32_e64 s72, v122
	s_cbranch_execz .LBB164_100
; %bb.99:                               ;   in Loop: Header=BB164_71 Depth=2
	v_add_co_u32 v30, vcc_lo, v191, v100
	s_wait_alu 0xfffd
	v_add_co_ci_u32_e64 v31, null, 0, v192, vcc_lo
	flat_load_b64 v[85:86], v[30:31]
.LBB164_100:                            ;   in Loop: Header=BB164_71 Depth=2
	s_wait_alu 0xfffe
	s_or_b32 exec_lo, exec_lo, s18
	v_mov_b32_e32 v89, 0
	v_dual_mov_b32 v90, 0 :: v_dual_mov_b32 v87, 0
	v_mov_b32_e32 v88, 0
	s_mov_b32 s18, exec_lo
	v_cmpx_gt_i32_e64 s72, v123
	s_cbranch_execz .LBB164_102
; %bb.101:                              ;   in Loop: Header=BB164_71 Depth=2
	v_add_co_u32 v30, vcc_lo, v187, v100
	s_wait_alu 0xfffd
	v_add_co_ci_u32_e64 v31, null, 0, v188, vcc_lo
	flat_load_b64 v[87:88], v[30:31]
.LBB164_102:                            ;   in Loop: Header=BB164_71 Depth=2
	s_wait_alu 0xfffe
	s_or_b32 exec_lo, exec_lo, s18
	s_delay_alu instid0(SALU_CYCLE_1)
	s_mov_b32 s18, exec_lo
	v_cmpx_gt_i32_e64 s72, v124
	s_cbranch_execz .LBB164_104
; %bb.103:                              ;   in Loop: Header=BB164_71 Depth=2
	v_add_co_u32 v30, vcc_lo, v189, v100
	s_wait_alu 0xfffd
	v_add_co_ci_u32_e64 v31, null, 0, v190, vcc_lo
	flat_load_b64 v[89:90], v[30:31]
.LBB164_104:                            ;   in Loop: Header=BB164_71 Depth=2
	s_wait_alu 0xfffe
	s_or_b32 exec_lo, exec_lo, s18
	s_mov_b32 s18, 0
.LBB164_105:                            ;   in Loop: Header=BB164_71 Depth=2
	s_wait_alu 0xfffe
	s_and_b32 vcc_lo, exec_lo, s18
	s_wait_alu 0xfffe
	s_cbranch_vccz .LBB164_107
; %bb.106:                              ;   in Loop: Header=BB164_71 Depth=2
	v_add_co_u32 v30, vcc_lo, v191, v100
	s_wait_alu 0xfffd
	v_add_co_ci_u32_e64 v31, null, 0, v192, vcc_lo
	v_add_co_u32 v36, vcc_lo, v187, v100
	s_wait_alu 0xfffd
	v_add_co_ci_u32_e64 v37, null, 0, v188, vcc_lo
	;; [unrolled: 3-line block ×3, first 2 shown]
	s_wait_loadcnt_dscnt 0x0
	flat_load_b64 v[83:84], v[28:29]
	flat_load_b64 v[85:86], v[30:31]
	;; [unrolled: 1-line block ×4, first 2 shown]
.LBB164_107:                            ;   in Loop: Header=BB164_71 Depth=2
	ds_load_b64 v[36:37], v101
	ds_load_b128 v[28:31], v109 offset:256
	v_cmp_ne_u32_e32 vcc_lo, 1, v44
	v_add_co_u32 v44, s18, v201, v100
                                        ; implicit-def: $vgpr93_vgpr94
                                        ; implicit-def: $vgpr97_vgpr98
                                        ; implicit-def: $vgpr95_vgpr96
                                        ; implicit-def: $vgpr91_vgpr92
	s_and_b32 vcc_lo, exec_lo, vcc_lo
	s_wait_loadcnt_dscnt 0x1
	v_mul_f64_e32 v[40:41], v[83:84], v[36:37]
	v_mul_f64_e32 v[42:43], v[85:86], v[36:37]
	;; [unrolled: 1-line block ×4, first 2 shown]
	ds_load_b128 v[36:39], v109 offset:272
	ds_store_2addr_b64 v110, v[40:41], v[42:43] offset1:67
	ds_store_2addr_b64 v110, v[45:46], v[47:48] offset0:134 offset1:201
	s_wait_dscnt 0x0
	s_barrier_signal -1
	s_barrier_wait -1
	global_inv scope:SCOPE_SE
	ds_load_2addr_b64 v[48:51], v111 offset1:1
	ds_load_2addr_b64 v[40:43], v111 offset0:2 offset1:3
	s_wait_alu 0xf1ff
	v_add_co_ci_u32_e64 v45, null, 0, v202, s18
	s_mov_b32 s18, -1
	s_wait_loadcnt_dscnt 0x0
	s_barrier_signal -1
	s_barrier_wait -1
	global_inv scope:SCOPE_SE
	s_wait_alu 0xfffe
	s_cbranch_vccnz .LBB164_117
; %bb.108:                              ;   in Loop: Header=BB164_71 Depth=2
	v_mov_b32_e32 v95, 0
	v_dual_mov_b32 v96, 0 :: v_dual_mov_b32 v91, 0
	v_mov_b32_e32 v92, 0
	s_mov_b32 s18, exec_lo
	v_cmpx_gt_i32_e64 s72, v125
	s_cbranch_execz .LBB164_110
; %bb.109:                              ;   in Loop: Header=BB164_71 Depth=2
	flat_load_b64 v[91:92], v[44:45]
.LBB164_110:                            ;   in Loop: Header=BB164_71 Depth=2
	s_wait_alu 0xfffe
	s_or_b32 exec_lo, exec_lo, s18
	s_delay_alu instid0(SALU_CYCLE_1)
	s_mov_b32 s18, exec_lo
	v_cmpx_gt_i32_e64 s72, v126
	s_cbranch_execz .LBB164_112
; %bb.111:                              ;   in Loop: Header=BB164_71 Depth=2
	v_add_co_u32 v46, vcc_lo, v199, v100
	s_wait_alu 0xfffd
	v_add_co_ci_u32_e64 v47, null, 0, v200, vcc_lo
	flat_load_b64 v[95:96], v[46:47]
.LBB164_112:                            ;   in Loop: Header=BB164_71 Depth=2
	s_wait_alu 0xfffe
	s_or_b32 exec_lo, exec_lo, s18
	v_mov_b32_e32 v93, 0
	v_dual_mov_b32 v94, 0 :: v_dual_mov_b32 v97, 0
	v_mov_b32_e32 v98, 0
	s_mov_b32 s18, exec_lo
	v_cmpx_gt_i32_e64 s72, v127
	s_cbranch_execz .LBB164_114
; %bb.113:                              ;   in Loop: Header=BB164_71 Depth=2
	v_add_co_u32 v46, vcc_lo, v195, v100
	s_wait_alu 0xfffd
	v_add_co_ci_u32_e64 v47, null, 0, v196, vcc_lo
	flat_load_b64 v[97:98], v[46:47]
.LBB164_114:                            ;   in Loop: Header=BB164_71 Depth=2
	s_wait_alu 0xfffe
	s_or_b32 exec_lo, exec_lo, s18
	s_delay_alu instid0(SALU_CYCLE_1)
	s_mov_b32 s18, exec_lo
	v_cmpx_gt_i32_e64 s72, v128
	s_cbranch_execz .LBB164_116
; %bb.115:                              ;   in Loop: Header=BB164_71 Depth=2
	v_add_co_u32 v46, vcc_lo, v197, v100
	s_wait_alu 0xfffd
	v_add_co_ci_u32_e64 v47, null, 0, v198, vcc_lo
	flat_load_b64 v[93:94], v[46:47]
.LBB164_116:                            ;   in Loop: Header=BB164_71 Depth=2
	s_wait_alu 0xfffe
	s_or_b32 exec_lo, exec_lo, s18
	s_mov_b32 s18, 0
.LBB164_117:                            ;   in Loop: Header=BB164_71 Depth=2
	s_wait_alu 0xfffe
	s_and_b32 vcc_lo, exec_lo, s18
	s_wait_alu 0xfffe
	s_cbranch_vccz .LBB164_119
; %bb.118:                              ;   in Loop: Header=BB164_71 Depth=2
	v_add_co_u32 v46, vcc_lo, v199, v100
	s_wait_alu 0xfffd
	v_add_co_ci_u32_e64 v47, null, 0, v200, vcc_lo
	v_add_co_u32 v52, vcc_lo, v195, v100
	s_wait_alu 0xfffd
	v_add_co_ci_u32_e64 v53, null, 0, v196, vcc_lo
	;; [unrolled: 3-line block ×3, first 2 shown]
	s_wait_loadcnt_dscnt 0x0
	flat_load_b64 v[91:92], v[44:45]
	flat_load_b64 v[95:96], v[46:47]
	;; [unrolled: 1-line block ×4, first 2 shown]
.LBB164_119:                            ;   in Loop: Header=BB164_71 Depth=2
	ds_load_b64 v[44:45], v101
	ds_load_b128 v[52:55], v109 offset:384
	v_add_f64_e32 v[32:33], 0, v[32:33]
	v_add_f64_e32 v[12:13], 0, v[12:13]
	;; [unrolled: 1-line block ×3, first 2 shown]
	v_cmp_gt_i32_e32 vcc_lo, s72, v99
	s_or_b32 s18, s63, vcc_lo
	s_wait_alu 0xfffe
	s_and_b32 s63, s17, s18
	s_wait_loadcnt_dscnt 0x1
	v_mul_f64_e32 v[203:204], v[91:92], v[44:45]
	v_mul_f64_e32 v[205:206], v[95:96], v[44:45]
	;; [unrolled: 1-line block ×4, first 2 shown]
	ds_load_b128 v[44:47], v109 offset:400
	ds_store_2addr_b64 v110, v[203:204], v[205:206] offset1:67
	ds_store_2addr_b64 v110, v[207:208], v[209:210] offset0:134 offset1:201
	s_wait_dscnt 0x0
	s_barrier_signal -1
	s_barrier_wait -1
	global_inv scope:SCOPE_SE
	ds_load_2addr_b64 v[203:206], v111 offset1:1
	ds_load_2addr_b64 v[207:210], v111 offset0:2 offset1:3
	v_add_f64_e32 v[32:33], v[32:33], v[34:35]
	v_add_f64_e32 v[12:13], v[12:13], v[14:15]
	;; [unrolled: 1-line block ×3, first 2 shown]
	s_wait_loadcnt_dscnt 0x0
	s_barrier_signal -1
	s_barrier_wait -1
	global_inv scope:SCOPE_SE
	v_add_f64_e32 v[203:204], 0, v[203:204]
	v_add_f64_e32 v[24:25], v[32:33], v[24:25]
	;; [unrolled: 1-line block ×4, first 2 shown]
	s_delay_alu instid0(VALU_DEP_4) | instskip(NEXT) | instid1(VALU_DEP_4)
	v_add_f64_e32 v[14:15], v[203:204], v[205:206]
	v_add_f64_e32 v[24:25], v[24:25], v[26:27]
	s_delay_alu instid0(VALU_DEP_4) | instskip(NEXT) | instid1(VALU_DEP_3)
	v_add_f64_e32 v[8:9], v[8:9], v[10:11]
	v_add_f64_e32 v[12:13], v[14:15], v[207:208]
	;; [unrolled: 1-line block ×3, first 2 shown]
	s_delay_alu instid0(VALU_DEP_2)
	v_add_f64_e32 v[10:11], v[12:13], v[209:210]
	ds_store_2addr_b64 v164, v[8:9], v[24:25] offset1:16
	ds_store_2addr_b64 v164, v[14:15], v[10:11] offset0:32 offset1:48
	s_wait_loadcnt_dscnt 0x0
	s_barrier_signal -1
	s_barrier_wait -1
	global_inv scope:SCOPE_SE
	s_wait_alu 0xfffe
	s_and_saveexec_b32 s18, s63
	s_cbranch_execz .LBB164_121
; %bb.120:                              ;   in Loop: Header=BB164_71 Depth=2
	ds_load_2addr_b64 v[8:11], v112 offset1:1
	ds_load_2addr_b64 v[12:15], v112 offset0:2 offset1:3
	s_wait_dscnt 0x1
	v_add_f64_e32 v[8:9], v[8:9], v[10:11]
	s_wait_dscnt 0x0
	s_delay_alu instid0(VALU_DEP_1) | instskip(NEXT) | instid1(VALU_DEP_1)
	v_add_f64_e32 v[8:9], v[8:9], v[12:13]
	v_add_f64_e32 v[24:25], v[8:9], v[14:15]
	ds_load_2addr_b64 v[8:11], v112 offset0:4 offset1:5
	ds_load_2addr_b64 v[12:15], v112 offset0:6 offset1:7
	s_wait_dscnt 0x1
	v_add_f64_e32 v[8:9], v[24:25], v[8:9]
	s_delay_alu instid0(VALU_DEP_1) | instskip(SKIP_1) | instid1(VALU_DEP_1)
	v_add_f64_e32 v[8:9], v[8:9], v[10:11]
	s_wait_dscnt 0x0
	v_add_f64_e32 v[8:9], v[8:9], v[12:13]
	s_delay_alu instid0(VALU_DEP_1) | instskip(SKIP_4) | instid1(VALU_DEP_1)
	v_add_f64_e32 v[24:25], v[8:9], v[14:15]
	ds_load_2addr_b64 v[8:11], v112 offset0:8 offset1:9
	ds_load_2addr_b64 v[12:15], v112 offset0:10 offset1:11
	s_wait_dscnt 0x1
	v_add_f64_e32 v[8:9], v[24:25], v[8:9]
	v_add_f64_e32 v[8:9], v[8:9], v[10:11]
	s_wait_dscnt 0x0
	s_delay_alu instid0(VALU_DEP_1) | instskip(NEXT) | instid1(VALU_DEP_1)
	v_add_f64_e32 v[8:9], v[8:9], v[12:13]
	v_add_f64_e32 v[12:13], v[8:9], v[14:15]
	ds_load_2addr_b64 v[8:11], v112 offset0:12 offset1:13
	ds_load_b64 v[14:15], v112 offset:112
	s_wait_dscnt 0x1
	v_add_f64_e32 v[8:9], v[12:13], v[8:9]
	s_delay_alu instid0(VALU_DEP_1) | instskip(SKIP_4) | instid1(VALU_DEP_1)
	v_add_f64_e32 v[8:9], v[8:9], v[10:11]
	ds_load_b64 v[10:11], v113
	s_wait_dscnt 0x1
	v_add_f64_e32 v[8:9], v[8:9], v[14:15]
	s_wait_dscnt 0x0
	v_add_f64_e32 v[8:9], v[8:9], v[10:11]
	v_add_nc_u32_e32 v10, s62, v99
	s_delay_alu instid0(VALU_DEP_1) | instskip(NEXT) | instid1(VALU_DEP_1)
	v_ashrrev_i32_e32 v11, 31, v10
	v_lshlrev_b64_e32 v[10:11], 3, v[10:11]
	s_delay_alu instid0(VALU_DEP_1) | instskip(SKIP_1) | instid1(VALU_DEP_2)
	v_add_co_u32 v10, vcc_lo, s60, v10
	s_wait_alu 0xfffd
	v_add_co_ci_u32_e64 v11, null, s61, v11, vcc_lo
	global_store_b64 v[10:11], v[8:9], off
.LBB164_121:                            ;   in Loop: Header=BB164_71 Depth=2
	s_wait_alu 0xfffe
	s_or_b32 exec_lo, exec_lo, s18
	v_fma_f64 v[0:1], v[67:68], v[0:1], v[65:66]
	v_add_co_u32 v171, vcc_lo, v171, s50
	s_wait_alu 0xfffd
	v_add_co_ci_u32_e64 v172, null, s51, v172, vcc_lo
	v_add_co_u32 v173, vcc_lo, v173, s50
	s_wait_alu 0xfffd
	v_add_co_ci_u32_e64 v174, null, s51, v174, vcc_lo
	;; [unrolled: 3-line block ×9, first 2 shown]
	v_add_co_u32 v189, vcc_lo, v189, s50
	v_fma_f64 v[0:1], v[69:70], v[2:3], v[0:1]
	s_wait_alu 0xfffd
	v_add_co_ci_u32_e64 v190, null, s51, v190, vcc_lo
	v_add_co_u32 v191, vcc_lo, v191, s50
	s_wait_alu 0xfffd
	v_add_co_ci_u32_e64 v192, null, s51, v192, vcc_lo
	v_add_co_u32 v193, vcc_lo, v193, s50
	;; [unrolled: 3-line block ×6, first 2 shown]
	s_wait_alu 0xfffd
	v_add_co_ci_u32_e64 v202, null, s51, v202, vcc_lo
	s_add_co_i32 s18, s19, 1
	s_add_co_i32 s19, s19, 2
	;; [unrolled: 1-line block ×3, first 2 shown]
	s_wait_alu 0xfffe
	s_cmp_ge_u32 s19, s34
	s_wait_loadcnt 0x0
	s_wait_storecnt 0x0
	s_barrier_signal -1
	s_barrier_wait -1
	global_inv scope:SCOPE_SE
	v_fma_f64 v[0:1], v[71:72], v[4:5], v[0:1]
	s_delay_alu instid0(VALU_DEP_1) | instskip(NEXT) | instid1(VALU_DEP_1)
	v_fma_f64 v[0:1], v[73:74], v[6:7], v[0:1]
	v_fma_f64 v[0:1], v[75:76], v[16:17], v[0:1]
	s_delay_alu instid0(VALU_DEP_1) | instskip(NEXT) | instid1(VALU_DEP_1)
	v_fma_f64 v[0:1], v[77:78], v[18:19], v[0:1]
	;; [unrolled: 3-line block ×6, first 2 shown]
	v_fma_f64 v[0:1], v[97:98], v[44:45], v[0:1]
	s_delay_alu instid0(VALU_DEP_1)
	v_fma_f64 v[65:66], v[93:94], v[46:47], v[0:1]
	s_cbranch_scc1 .LBB164_123
; %bb.122:                              ;   in Loop: Header=BB164_71 Depth=2
	s_mov_b32 s19, s18
	s_wait_alu 0xfffe
	s_cmp_eq_u32 s69, s19
	s_cselect_b32 s72, s35, 0
	s_and_saveexec_b32 s18, s0
	s_cbranch_execnz .LBB164_68
	s_branch .LBB164_71
.LBB164_123:                            ;   in Loop: Header=BB164_4 Depth=1
	ds_store_b64 v129, v[65:66]
	s_wait_loadcnt_dscnt 0x0
	s_barrier_signal -1
	s_barrier_wait -1
	global_inv scope:SCOPE_SE
	s_and_saveexec_b32 s18, s70
	s_cbranch_execz .LBB164_2
; %bb.124:                              ;   in Loop: Header=BB164_4 Depth=1
	ds_load_2addr_b64 v[0:3], v100 offset1:67
	s_wait_dscnt 0x0
	v_add_f64_e32 v[4:5], v[0:1], v[2:3]
	ds_load_2addr_b64 v[0:3], v100 offset0:134 offset1:201
	s_wait_dscnt 0x0
	v_add_f64_e32 v[0:1], v[4:5], v[0:1]
	s_delay_alu instid0(VALU_DEP_1)
	v_add_f64_e32 v[0:1], v[0:1], v[2:3]
	s_wait_alu 0xfffe
	v_add_co_u32 v2, vcc_lo, s60, v61
	s_wait_alu 0xfffd
	v_add_co_ci_u32_e64 v3, null, s61, v62, vcc_lo
	global_store_b64 v[2:3], v[0:1], off
	s_branch .LBB164_2
.LBB164_125:                            ;   in Loop: Header=BB164_4 Depth=1
	ds_load_b64 v[2:3], v167
	s_wait_dscnt 0x0
	ds_store_b64 v103, v[2:3]
	s_wait_alu 0xfffe
	s_or_b32 exec_lo, exec_lo, s18
	s_and_saveexec_b32 s18, s7
	s_cbranch_execz .LBB164_26
.LBB164_126:                            ;   in Loop: Header=BB164_4 Depth=1
	ds_load_b64 v[2:3], v168
	s_wait_dscnt 0x0
	ds_store_b64 v103, v[2:3] offset:8
	s_wait_alu 0xfffe
	s_or_b32 exec_lo, exec_lo, s18
	s_and_saveexec_b32 s18, s8
	s_cbranch_execz .LBB164_27
.LBB164_127:                            ;   in Loop: Header=BB164_4 Depth=1
	ds_load_b64 v[2:3], v168 offset:264
	s_wait_dscnt 0x0
	ds_store_b64 v103, v[2:3] offset:16
	s_wait_alu 0xfffe
	s_or_b32 exec_lo, exec_lo, s18
	s_and_saveexec_b32 s18, s9
	s_cbranch_execnz .LBB164_28
	s_branch .LBB164_29
.LBB164_128:                            ;   in Loop: Header=BB164_4 Depth=1
	ds_load_b64 v[2:3], v167
	s_wait_dscnt 0x0
	ds_store_b64 v103, v[2:3]
	s_wait_alu 0xfffe
	s_or_b32 exec_lo, exec_lo, s18
	s_and_saveexec_b32 s18, s7
	s_cbranch_execz .LBB164_45
.LBB164_129:                            ;   in Loop: Header=BB164_4 Depth=1
	ds_load_b64 v[2:3], v168
	s_wait_dscnt 0x0
	ds_store_b64 v103, v[2:3] offset:8
	s_wait_alu 0xfffe
	s_or_b32 exec_lo, exec_lo, s18
	s_and_saveexec_b32 s18, s8
	s_cbranch_execz .LBB164_46
.LBB164_130:                            ;   in Loop: Header=BB164_4 Depth=1
	ds_load_b64 v[2:3], v168 offset:264
	s_wait_dscnt 0x0
	ds_store_b64 v103, v[2:3] offset:16
	s_wait_alu 0xfffe
	s_or_b32 exec_lo, exec_lo, s18
	s_and_saveexec_b32 s18, s9
	s_cbranch_execnz .LBB164_47
	s_branch .LBB164_48
.LBB164_131:
	s_nop 0
	s_sendmsg sendmsg(MSG_DEALLOC_VGPRS)
	s_endpgm
	.section	.rodata,"a",@progbits
	.p2align	6, 0x0
	.amdhsa_kernel _ZL26rocblas_hemvn_kernel_upperILb0ELi64ELi4ELi33ELi32ELi16EldPKPKdPdEviT6_lT7_lT5_lS6_lS7_lS5_lT8_i
		.amdhsa_group_segment_fixed_size 9600
		.amdhsa_private_segment_fixed_size 0
		.amdhsa_kernarg_size 376
		.amdhsa_user_sgpr_count 2
		.amdhsa_user_sgpr_dispatch_ptr 0
		.amdhsa_user_sgpr_queue_ptr 0
		.amdhsa_user_sgpr_kernarg_segment_ptr 1
		.amdhsa_user_sgpr_dispatch_id 0
		.amdhsa_user_sgpr_private_segment_size 0
		.amdhsa_wavefront_size32 1
		.amdhsa_uses_dynamic_stack 0
		.amdhsa_enable_private_segment 0
		.amdhsa_system_sgpr_workgroup_id_x 1
		.amdhsa_system_sgpr_workgroup_id_y 0
		.amdhsa_system_sgpr_workgroup_id_z 1
		.amdhsa_system_sgpr_workgroup_info 0
		.amdhsa_system_vgpr_workitem_id 1
		.amdhsa_next_free_vgpr 211
		.amdhsa_next_free_sgpr 76
		.amdhsa_reserve_vcc 1
		.amdhsa_float_round_mode_32 0
		.amdhsa_float_round_mode_16_64 0
		.amdhsa_float_denorm_mode_32 3
		.amdhsa_float_denorm_mode_16_64 3
		.amdhsa_fp16_overflow 0
		.amdhsa_workgroup_processor_mode 1
		.amdhsa_memory_ordered 1
		.amdhsa_forward_progress 1
		.amdhsa_inst_pref_size 75
		.amdhsa_round_robin_scheduling 0
		.amdhsa_exception_fp_ieee_invalid_op 0
		.amdhsa_exception_fp_denorm_src 0
		.amdhsa_exception_fp_ieee_div_zero 0
		.amdhsa_exception_fp_ieee_overflow 0
		.amdhsa_exception_fp_ieee_underflow 0
		.amdhsa_exception_fp_ieee_inexact 0
		.amdhsa_exception_int_div_zero 0
	.end_amdhsa_kernel
	.section	.text._ZL26rocblas_hemvn_kernel_upperILb0ELi64ELi4ELi33ELi32ELi16EldPKPKdPdEviT6_lT7_lT5_lS6_lS7_lS5_lT8_i,"axG",@progbits,_ZL26rocblas_hemvn_kernel_upperILb0ELi64ELi4ELi33ELi32ELi16EldPKPKdPdEviT6_lT7_lT5_lS6_lS7_lS5_lT8_i,comdat
.Lfunc_end164:
	.size	_ZL26rocblas_hemvn_kernel_upperILb0ELi64ELi4ELi33ELi32ELi16EldPKPKdPdEviT6_lT7_lT5_lS6_lS7_lS5_lT8_i, .Lfunc_end164-_ZL26rocblas_hemvn_kernel_upperILb0ELi64ELi4ELi33ELi32ELi16EldPKPKdPdEviT6_lT7_lT5_lS6_lS7_lS5_lT8_i
                                        ; -- End function
	.set _ZL26rocblas_hemvn_kernel_upperILb0ELi64ELi4ELi33ELi32ELi16EldPKPKdPdEviT6_lT7_lT5_lS6_lS7_lS5_lT8_i.num_vgpr, 211
	.set _ZL26rocblas_hemvn_kernel_upperILb0ELi64ELi4ELi33ELi32ELi16EldPKPKdPdEviT6_lT7_lT5_lS6_lS7_lS5_lT8_i.num_agpr, 0
	.set _ZL26rocblas_hemvn_kernel_upperILb0ELi64ELi4ELi33ELi32ELi16EldPKPKdPdEviT6_lT7_lT5_lS6_lS7_lS5_lT8_i.numbered_sgpr, 76
	.set _ZL26rocblas_hemvn_kernel_upperILb0ELi64ELi4ELi33ELi32ELi16EldPKPKdPdEviT6_lT7_lT5_lS6_lS7_lS5_lT8_i.num_named_barrier, 0
	.set _ZL26rocblas_hemvn_kernel_upperILb0ELi64ELi4ELi33ELi32ELi16EldPKPKdPdEviT6_lT7_lT5_lS6_lS7_lS5_lT8_i.private_seg_size, 0
	.set _ZL26rocblas_hemvn_kernel_upperILb0ELi64ELi4ELi33ELi32ELi16EldPKPKdPdEviT6_lT7_lT5_lS6_lS7_lS5_lT8_i.uses_vcc, 1
	.set _ZL26rocblas_hemvn_kernel_upperILb0ELi64ELi4ELi33ELi32ELi16EldPKPKdPdEviT6_lT7_lT5_lS6_lS7_lS5_lT8_i.uses_flat_scratch, 1
	.set _ZL26rocblas_hemvn_kernel_upperILb0ELi64ELi4ELi33ELi32ELi16EldPKPKdPdEviT6_lT7_lT5_lS6_lS7_lS5_lT8_i.has_dyn_sized_stack, 0
	.set _ZL26rocblas_hemvn_kernel_upperILb0ELi64ELi4ELi33ELi32ELi16EldPKPKdPdEviT6_lT7_lT5_lS6_lS7_lS5_lT8_i.has_recursion, 0
	.set _ZL26rocblas_hemvn_kernel_upperILb0ELi64ELi4ELi33ELi32ELi16EldPKPKdPdEviT6_lT7_lT5_lS6_lS7_lS5_lT8_i.has_indirect_call, 0
	.section	.AMDGPU.csdata,"",@progbits
; Kernel info:
; codeLenInByte = 9556
; TotalNumSgprs: 78
; NumVgprs: 211
; ScratchSize: 0
; MemoryBound: 0
; FloatMode: 240
; IeeeMode: 1
; LDSByteSize: 9600 bytes/workgroup (compile time only)
; SGPRBlocks: 0
; VGPRBlocks: 26
; NumSGPRsForWavesPerEU: 78
; NumVGPRsForWavesPerEU: 211
; Occupancy: 7
; WaveLimiterHint : 1
; COMPUTE_PGM_RSRC2:SCRATCH_EN: 0
; COMPUTE_PGM_RSRC2:USER_SGPR: 2
; COMPUTE_PGM_RSRC2:TRAP_HANDLER: 0
; COMPUTE_PGM_RSRC2:TGID_X_EN: 1
; COMPUTE_PGM_RSRC2:TGID_Y_EN: 0
; COMPUTE_PGM_RSRC2:TGID_Z_EN: 1
; COMPUTE_PGM_RSRC2:TIDIG_COMP_CNT: 1
	.section	.text._ZL36rocblas_hemvn_kernel_upper_block_sumILi64EldPKPddEviT1_lS3_lT2_lT0_lPT3_i,"axG",@progbits,_ZL36rocblas_hemvn_kernel_upper_block_sumILi64EldPKPddEviT1_lS3_lT2_lT0_lPT3_i,comdat
	.globl	_ZL36rocblas_hemvn_kernel_upper_block_sumILi64EldPKPddEviT1_lS3_lT2_lT0_lPT3_i ; -- Begin function _ZL36rocblas_hemvn_kernel_upper_block_sumILi64EldPKPddEviT1_lS3_lT2_lT0_lPT3_i
	.p2align	8
	.type	_ZL36rocblas_hemvn_kernel_upper_block_sumILi64EldPKPddEviT1_lS3_lT2_lT0_lPT3_i,@function
_ZL36rocblas_hemvn_kernel_upper_block_sumILi64EldPKPddEviT1_lS3_lT2_lT0_lPT3_i: ; @_ZL36rocblas_hemvn_kernel_upper_block_sumILi64EldPKPddEviT1_lS3_lT2_lT0_lPT3_i
; %bb.0:
	s_load_b32 s18, s[0:1], 0x50
	s_lshr_b32 s2, ttmp7, 16
	s_wait_kmcnt 0x0
	s_cmp_ge_u32 s2, s18
	s_cbranch_scc1 .LBB165_25
; %bb.1:
	s_clause 0x4
	s_load_b64 s[8:9], s[0:1], 0x8
	s_load_b64 s[10:11], s[0:1], 0x18
	s_load_b128 s[4:7], s[0:1], 0x30
	s_load_b32 s14, s[0:1], 0x0
	s_load_b64 s[16:17], s[0:1], 0x48
	v_lshl_or_b32 v0, ttmp9, 6, v0
	s_load_b64 s[12:13], s[0:1], 0x28
	s_delay_alu instid0(VALU_DEP_1) | instskip(NEXT) | instid1(VALU_DEP_1)
	v_ashrrev_i32_e32 v1, 31, v0
	v_lshlrev_b64_e32 v[2:3], 3, v[0:1]
	s_wait_kmcnt 0x0
	v_mul_lo_u32 v6, s6, v1
	v_cmp_neq_f64_e64 s3, s[8:9], 0
	v_cmp_neq_f64_e64 s21, s[10:11], 1.0
	v_cmp_eq_f64_e64 s19, s[10:11], 0
	v_mul_lo_u32 v7, s7, v0
	v_mad_co_u64_u32 v[4:5], null, s6, v0, 0
	s_add_nc_u64 s[6:7], s[0:1], 0x58
	v_cmp_eq_f64_e64 s1, s[8:9], 0
	v_cmp_neq_f64_e64 s20, s[10:11], 0
	v_cmp_gt_i32_e64 s0, s14, v0
	v_add_co_u32 v0, vcc_lo, s16, v2
	v_add3_u32 v5, v5, v6, v7
	v_add_co_ci_u32_e64 v1, null, s17, v3, vcc_lo
	s_ashr_i32 s15, s14, 31
	v_lshlrev_b64_e32 v[2:3], 3, v[4:5]
	s_or_b32 s21, s3, s21
	s_cmp_gt_i32 ttmp9, -1
	s_mov_b32 s3, 0
	s_cselect_b32 s22, -1, 0
	s_add_co_i32 s23, ttmp9, 1
	s_wait_alu 0xfffe
	s_lshl_b64 s[14:15], s[14:15], 3
	s_lshl_b64 s[4:5], s[4:5], 3
	s_branch .LBB165_4
.LBB165_2:                              ;   in Loop: Header=BB165_4 Depth=1
	s_or_b32 exec_lo, exec_lo, s25
.LBB165_3:                              ;   in Loop: Header=BB165_4 Depth=1
	s_add_co_i32 s2, s2, 0x10000
	s_wait_alu 0xfffe
	s_cmp_lt_u32 s2, s18
	s_cbranch_scc0 .LBB165_25
.LBB165_4:                              ; =>This Loop Header: Depth=1
                                        ;     Child Loop BB165_16 Depth 2
	s_and_not1_b32 vcc_lo, exec_lo, s21
	s_wait_alu 0xfffe
	s_cbranch_vccnz .LBB165_3
; %bb.5:                                ;   in Loop: Header=BB165_4 Depth=1
	s_lshl_b64 s[16:17], s[2:3], 3
	s_and_not1_b32 vcc_lo, exec_lo, s1
	s_wait_alu 0xfffe
	s_add_nc_u64 s[16:17], s[12:13], s[16:17]
	s_load_b64 s[16:17], s[16:17], 0x0
	s_wait_kmcnt 0x0
	s_add_nc_u64 s[16:17], s[16:17], s[4:5]
	s_cbranch_vccnz .LBB165_9
; %bb.6:                                ;   in Loop: Header=BB165_4 Depth=1
	s_mov_b32 s25, 0
	s_mov_b32 s24, 0
                                        ; implicit-def: $vgpr4_vgpr5
	s_and_saveexec_b32 s26, s0
	s_cbranch_execz .LBB165_10
; %bb.7:                                ;   in Loop: Header=BB165_4 Depth=1
	s_and_not1_b32 vcc_lo, exec_lo, s20
	s_wait_alu 0xfffe
	s_cbranch_vccnz .LBB165_11
; %bb.8:                                ;   in Loop: Header=BB165_4 Depth=1
	v_add_co_u32 v4, vcc_lo, s16, v2
	s_wait_alu 0xfffd
	v_add_co_ci_u32_e64 v5, null, s17, v3, vcc_lo
	flat_load_b64 v[4:5], v[4:5]
	s_wait_loadcnt_dscnt 0x0
	v_mul_f64_e32 v[4:5], s[10:11], v[4:5]
	s_branch .LBB165_12
.LBB165_9:                              ;   in Loop: Header=BB165_4 Depth=1
	s_mov_b32 s24, 0
                                        ; implicit-def: $vgpr4_vgpr5
	s_cbranch_execnz .LBB165_13
	s_branch .LBB165_23
.LBB165_10:                             ;   in Loop: Header=BB165_4 Depth=1
	s_wait_alu 0xfffe
	s_or_b32 exec_lo, exec_lo, s26
	s_delay_alu instid0(SALU_CYCLE_1)
	s_and_b32 vcc_lo, exec_lo, s25
	s_wait_alu 0xfffe
	s_cbranch_vccnz .LBB165_13
	s_branch .LBB165_23
.LBB165_11:                             ;   in Loop: Header=BB165_4 Depth=1
	v_mov_b32_e32 v4, 0
	v_mov_b32_e32 v5, 0
.LBB165_12:                             ;   in Loop: Header=BB165_4 Depth=1
	s_mov_b32 s24, exec_lo
	s_or_b32 exec_lo, exec_lo, s26
	s_delay_alu instid0(SALU_CYCLE_1)
	s_and_b32 vcc_lo, exec_lo, s25
	s_wait_alu 0xfffe
	s_cbranch_vccz .LBB165_23
.LBB165_13:                             ;   in Loop: Header=BB165_4 Depth=1
                                        ; implicit-def: $vgpr4_vgpr5
	s_and_saveexec_b32 s25, s0
	s_cbranch_execz .LBB165_22
; %bb.14:                               ;   in Loop: Header=BB165_4 Depth=1
	v_mov_b32_e32 v6, 0
	v_mov_b32_e32 v7, 0
	s_and_not1_b32 vcc_lo, exec_lo, s22
	s_wait_alu 0xfffe
	s_cbranch_vccnz .LBB165_17
; %bb.15:                               ;   in Loop: Header=BB165_4 Depth=1
	s_load_b32 s26, s[6:7], 0x0
	s_mov_b32 s27, s3
	s_wait_kmcnt 0x0
	s_wait_alu 0xfffe
	s_mul_u64 s[26:27], s[14:15], s[26:27]
	s_wait_alu 0xfffe
	v_mad_co_u64_u32 v[4:5], null, s26, s2, v[0:1]
	s_mov_b32 s26, s23
	v_mad_co_u64_u32 v[5:6], null, s27, s2, v[5:6]
	v_mov_b32_e32 v6, 0
	v_mov_b32_e32 v7, 0
.LBB165_16:                             ;   Parent Loop BB165_4 Depth=1
                                        ; =>  This Inner Loop Header: Depth=2
	global_load_b64 v[8:9], v[4:5], off
	v_add_co_u32 v4, vcc_lo, v4, s14
	s_wait_alu 0xfffd
	v_add_co_ci_u32_e64 v5, null, s15, v5, vcc_lo
	s_wait_alu 0xfffe
	s_add_co_i32 s26, s26, -1
	s_wait_alu 0xfffe
	s_cmp_eq_u32 s26, 0
	s_wait_loadcnt 0x0
	v_add_f64_e32 v[6:7], v[6:7], v[8:9]
	s_cbranch_scc0 .LBB165_16
.LBB165_17:                             ;   in Loop: Header=BB165_4 Depth=1
	s_and_b32 vcc_lo, exec_lo, s19
	s_mov_b32 s26, -1
                                        ; implicit-def: $vgpr4_vgpr5
	s_wait_alu 0xfffe
	s_cbranch_vccz .LBB165_19
; %bb.18:                               ;   in Loop: Header=BB165_4 Depth=1
	s_delay_alu instid0(VALU_DEP_1)
	v_mul_f64_e32 v[4:5], s[8:9], v[6:7]
	s_mov_b32 s26, 0
.LBB165_19:                             ;   in Loop: Header=BB165_4 Depth=1
	s_wait_alu 0xfffe
	s_and_not1_b32 vcc_lo, exec_lo, s26
	s_wait_alu 0xfffe
	s_cbranch_vccnz .LBB165_21
; %bb.20:                               ;   in Loop: Header=BB165_4 Depth=1
	v_add_co_u32 v4, vcc_lo, s16, v2
	s_wait_alu 0xfffd
	v_add_co_ci_u32_e64 v5, null, s17, v3, vcc_lo
	flat_load_b64 v[4:5], v[4:5]
	s_wait_loadcnt_dscnt 0x0
	v_mul_f64_e32 v[4:5], s[10:11], v[4:5]
	s_delay_alu instid0(VALU_DEP_1)
	v_fma_f64 v[4:5], s[8:9], v[6:7], v[4:5]
.LBB165_21:                             ;   in Loop: Header=BB165_4 Depth=1
	s_or_b32 s24, s24, exec_lo
.LBB165_22:                             ;   in Loop: Header=BB165_4 Depth=1
	s_or_b32 exec_lo, exec_lo, s25
.LBB165_23:                             ;   in Loop: Header=BB165_4 Depth=1
	s_and_saveexec_b32 s25, s24
	s_cbranch_execz .LBB165_2
; %bb.24:                               ;   in Loop: Header=BB165_4 Depth=1
	s_wait_alu 0xfffe
	v_add_co_u32 v6, vcc_lo, s16, v2
	s_wait_alu 0xfffd
	v_add_co_ci_u32_e64 v7, null, s17, v3, vcc_lo
	flat_store_b64 v[6:7], v[4:5]
	s_branch .LBB165_2
.LBB165_25:
	s_endpgm
	.section	.rodata,"a",@progbits
	.p2align	6, 0x0
	.amdhsa_kernel _ZL36rocblas_hemvn_kernel_upper_block_sumILi64EldPKPddEviT1_lS3_lT2_lT0_lPT3_i
		.amdhsa_group_segment_fixed_size 0
		.amdhsa_private_segment_fixed_size 0
		.amdhsa_kernarg_size 344
		.amdhsa_user_sgpr_count 2
		.amdhsa_user_sgpr_dispatch_ptr 0
		.amdhsa_user_sgpr_queue_ptr 0
		.amdhsa_user_sgpr_kernarg_segment_ptr 1
		.amdhsa_user_sgpr_dispatch_id 0
		.amdhsa_user_sgpr_private_segment_size 0
		.amdhsa_wavefront_size32 1
		.amdhsa_uses_dynamic_stack 0
		.amdhsa_enable_private_segment 0
		.amdhsa_system_sgpr_workgroup_id_x 1
		.amdhsa_system_sgpr_workgroup_id_y 0
		.amdhsa_system_sgpr_workgroup_id_z 1
		.amdhsa_system_sgpr_workgroup_info 0
		.amdhsa_system_vgpr_workitem_id 0
		.amdhsa_next_free_vgpr 10
		.amdhsa_next_free_sgpr 28
		.amdhsa_reserve_vcc 1
		.amdhsa_float_round_mode_32 0
		.amdhsa_float_round_mode_16_64 0
		.amdhsa_float_denorm_mode_32 3
		.amdhsa_float_denorm_mode_16_64 3
		.amdhsa_fp16_overflow 0
		.amdhsa_workgroup_processor_mode 1
		.amdhsa_memory_ordered 1
		.amdhsa_forward_progress 1
		.amdhsa_inst_pref_size 6
		.amdhsa_round_robin_scheduling 0
		.amdhsa_exception_fp_ieee_invalid_op 0
		.amdhsa_exception_fp_denorm_src 0
		.amdhsa_exception_fp_ieee_div_zero 0
		.amdhsa_exception_fp_ieee_overflow 0
		.amdhsa_exception_fp_ieee_underflow 0
		.amdhsa_exception_fp_ieee_inexact 0
		.amdhsa_exception_int_div_zero 0
	.end_amdhsa_kernel
	.section	.text._ZL36rocblas_hemvn_kernel_upper_block_sumILi64EldPKPddEviT1_lS3_lT2_lT0_lPT3_i,"axG",@progbits,_ZL36rocblas_hemvn_kernel_upper_block_sumILi64EldPKPddEviT1_lS3_lT2_lT0_lPT3_i,comdat
.Lfunc_end165:
	.size	_ZL36rocblas_hemvn_kernel_upper_block_sumILi64EldPKPddEviT1_lS3_lT2_lT0_lPT3_i, .Lfunc_end165-_ZL36rocblas_hemvn_kernel_upper_block_sumILi64EldPKPddEviT1_lS3_lT2_lT0_lPT3_i
                                        ; -- End function
	.set _ZL36rocblas_hemvn_kernel_upper_block_sumILi64EldPKPddEviT1_lS3_lT2_lT0_lPT3_i.num_vgpr, 10
	.set _ZL36rocblas_hemvn_kernel_upper_block_sumILi64EldPKPddEviT1_lS3_lT2_lT0_lPT3_i.num_agpr, 0
	.set _ZL36rocblas_hemvn_kernel_upper_block_sumILi64EldPKPddEviT1_lS3_lT2_lT0_lPT3_i.numbered_sgpr, 28
	.set _ZL36rocblas_hemvn_kernel_upper_block_sumILi64EldPKPddEviT1_lS3_lT2_lT0_lPT3_i.num_named_barrier, 0
	.set _ZL36rocblas_hemvn_kernel_upper_block_sumILi64EldPKPddEviT1_lS3_lT2_lT0_lPT3_i.private_seg_size, 0
	.set _ZL36rocblas_hemvn_kernel_upper_block_sumILi64EldPKPddEviT1_lS3_lT2_lT0_lPT3_i.uses_vcc, 1
	.set _ZL36rocblas_hemvn_kernel_upper_block_sumILi64EldPKPddEviT1_lS3_lT2_lT0_lPT3_i.uses_flat_scratch, 0
	.set _ZL36rocblas_hemvn_kernel_upper_block_sumILi64EldPKPddEviT1_lS3_lT2_lT0_lPT3_i.has_dyn_sized_stack, 0
	.set _ZL36rocblas_hemvn_kernel_upper_block_sumILi64EldPKPddEviT1_lS3_lT2_lT0_lPT3_i.has_recursion, 0
	.set _ZL36rocblas_hemvn_kernel_upper_block_sumILi64EldPKPddEviT1_lS3_lT2_lT0_lPT3_i.has_indirect_call, 0
	.section	.AMDGPU.csdata,"",@progbits
; Kernel info:
; codeLenInByte = 764
; TotalNumSgprs: 30
; NumVgprs: 10
; ScratchSize: 0
; MemoryBound: 0
; FloatMode: 240
; IeeeMode: 1
; LDSByteSize: 0 bytes/workgroup (compile time only)
; SGPRBlocks: 0
; VGPRBlocks: 1
; NumSGPRsForWavesPerEU: 30
; NumVGPRsForWavesPerEU: 10
; Occupancy: 16
; WaveLimiterHint : 1
; COMPUTE_PGM_RSRC2:SCRATCH_EN: 0
; COMPUTE_PGM_RSRC2:USER_SGPR: 2
; COMPUTE_PGM_RSRC2:TRAP_HANDLER: 0
; COMPUTE_PGM_RSRC2:TGID_X_EN: 1
; COMPUTE_PGM_RSRC2:TGID_Y_EN: 0
; COMPUTE_PGM_RSRC2:TGID_Z_EN: 1
; COMPUTE_PGM_RSRC2:TIDIG_COMP_CNT: 0
	.section	.text._ZL26rocblas_hemvn_kernel_upperILb0ELi64ELi4ELi33ELi32ELi16EidPKPKdPdEviT6_lT7_lT5_lS6_lS7_lS5_lT8_i,"axG",@progbits,_ZL26rocblas_hemvn_kernel_upperILb0ELi64ELi4ELi33ELi32ELi16EidPKPKdPdEviT6_lT7_lT5_lS6_lS7_lS5_lT8_i,comdat
	.globl	_ZL26rocblas_hemvn_kernel_upperILb0ELi64ELi4ELi33ELi32ELi16EidPKPKdPdEviT6_lT7_lT5_lS6_lS7_lS5_lT8_i ; -- Begin function _ZL26rocblas_hemvn_kernel_upperILb0ELi64ELi4ELi33ELi32ELi16EidPKPKdPdEviT6_lT7_lT5_lS6_lS7_lS5_lT8_i
	.p2align	8
	.type	_ZL26rocblas_hemvn_kernel_upperILb0ELi64ELi4ELi33ELi32ELi16EidPKPKdPdEviT6_lT7_lT5_lS6_lS7_lS5_lT8_i,@function
_ZL26rocblas_hemvn_kernel_upperILb0ELi64ELi4ELi33ELi32ELi16EidPKPKdPdEviT6_lT7_lT5_lS6_lS7_lS5_lT8_i: ; @_ZL26rocblas_hemvn_kernel_upperILb0ELi64ELi4ELi33ELi32ELi16EidPKPKdPdEviT6_lT7_lT5_lS6_lS7_lS5_lT8_i
; %bb.0:
	s_clause 0x1
	s_load_b64 s[2:3], s[0:1], 0x84
	s_load_b32 s33, s[0:1], 0x70
	s_lshr_b32 s28, ttmp7, 16
	s_wait_kmcnt 0x0
	s_lshr_b32 s4, s2, 16
	s_and_b32 s2, s2, 0xffff
	s_and_b32 s3, s3, 0xffff
	s_mul_i32 s2, s4, s2
	s_delay_alu instid0(SALU_CYCLE_1) | instskip(NEXT) | instid1(SALU_CYCLE_1)
	s_mul_i32 s2, s2, s3
	s_cmp_lg_u32 s2, 0x100
	s_cselect_b32 s2, -1, 0
	s_cmp_ge_u32 s28, s33
	s_cselect_b32 s3, -1, 0
	s_delay_alu instid0(SALU_CYCLE_1) | instskip(NEXT) | instid1(SALU_CYCLE_1)
	s_or_b32 s2, s2, s3
	s_and_b32 vcc_lo, exec_lo, s2
	s_cbranch_vccnz .LBB166_131
; %bb.1:
	s_clause 0x2
	s_load_b64 s[2:3], s[0:1], 0x8
	s_load_b64 s[4:5], s[0:1], 0x58
	s_load_b32 s10, s[0:1], 0x0
	s_add_nc_u64 s[12:13], s[0:1], 0x78
	s_clause 0x4
	s_load_b128 s[20:23], s[0:1], 0x18
	s_load_b32 s68, s[0:1], 0x28
	s_load_b128 s[24:27], s[0:1], 0x38
	s_load_b32 s48, s[0:1], 0x48
	s_load_b64 s[8:9], s[0:1], 0x68
	s_load_b32 s30, s[12:13], 0x0
	v_and_b32_e32 v56, 0x3ff, v0
	v_bfe_u32 v3, v0, 10, 10
	v_dual_mov_b32 v104, 0 :: v_dual_and_b32 v1, 31, v0
	s_mov_b32 s29, 0
	s_lshl_b32 s18, ttmp9, 6
	s_delay_alu instid0(VALU_DEP_2) | instskip(NEXT) | instid1(VALU_DEP_2)
	v_lshl_add_u32 v12, v3, 6, v56
	v_lshlrev_b32_e32 v14, 3, v1
	s_mov_b32 s31, s29
	v_add_nc_u32_e32 v2, s18, v56
	v_lshlrev_b32_e32 v111, 2, v3
	v_lshrrev_b32_e32 v10, 5, v12
	v_lshl_or_b32 v107, v1, 8, v14
	v_and_b32_e32 v11, 0x7fe0, v12
	s_wait_kmcnt 0x0
	v_cmp_neq_f64_e64 s1, s[2:3], 0
	v_cmp_neq_f64_e64 s4, s[4:5], 1.0
	s_ashr_i32 s11, s10, 31
	v_cmp_eq_f64_e64 s92, s[2:3], 0
	s_lshr_b32 s2, s11, 26
	s_add_co_i32 s3, s30, -1
	s_wait_alu 0xfffe
	s_add_co_i32 s2, s10, s2
	s_ashr_i32 s69, s68, 31
	s_wait_alu 0xfffe
	s_and_not1_b32 s2, s2, 63
	s_mul_u64 s[34:35], s[30:31], s[10:11]
	s_wait_alu 0xfffe
	s_sub_co_i32 s31, s10, s2
	v_mad_co_u64_u32 v[8:9], null, s68, v10, v[1:2]
	v_add_nc_u32_e32 v108, v107, v11
	v_add_nc_u32_e32 v109, 0x2380, v11
	v_or_b32_e32 v11, 32, v1
	v_sub_co_u32 v4, s5, 0, v1
	s_mov_b32 s6, ttmp9
	s_wait_alu 0xf1ff
	v_sub_co_ci_u32_e64 v5, null, 0, 0, s5
	v_mul_u32_u24_e32 v15, 0x108, v10
	v_add_nc_u32_e32 v13, 8, v10
	v_add_nc_u32_e32 v16, 16, v10
	;; [unrolled: 1-line block ×3, first 2 shown]
	v_lshlrev_b32_e32 v18, 2, v10
	v_mul_u32_u24_e32 v19, 0x420, v10
	v_lshlrev_b32_e32 v23, 3, v10
	v_cmp_eq_u32_e64 s16, 1, v10
	v_mul_i32_i24_e32 v112, 0xffffffe8, v10
	v_ashrrev_i32_e32 v9, 31, v8
	s_mul_i32 s84, s68, s18
	s_mul_i32 s42, s68, 24
	;; [unrolled: 1-line block ×3, first 2 shown]
	v_cmp_gt_u32_e64 s17, 64, v12
	v_mul_lo_u32 v6, s48, v2
	s_mul_u64 s[70:71], s[68:69], 24
	v_or_b32_e32 v20, 1, v18
	v_or_b32_e32 v21, 2, v18
	s_or_b32 s93, s1, s4
	s_cmp_eq_u32 ttmp9, s3
	s_mul_i32 s58, s68, 3
	s_cselect_b32 s36, s31, 0
	v_cmp_eq_u32_e64 s0, 0, v3
	s_cmp_lg_u32 s36, 0
	v_cmp_gt_i32_e64 s2, s36, v10
	s_cselect_b32 s94, -1, 0
	s_cmp_eq_u32 s36, 0
	v_cmp_gt_i32_e32 vcc_lo, s36, v56
	s_cselect_b32 s5, -1, 0
	s_ashr_i32 s7, ttmp9, 31
	s_sub_co_i32 s15, s36, 32
	s_mul_u64 s[6:7], s[10:11], s[6:7]
	v_cmp_gt_i32_e64 s11, s36, v11
	v_cmp_gt_i32_e64 s12, s15, v10
	v_mad_co_u64_u32 v[10:11], null, s68, v111, v[56:57]
	v_cmp_gt_i32_e64 s3, s36, v13
	v_cmp_gt_i32_e64 s13, s15, v13
	v_lshrrev_b32_e32 v13, 4, v12
	v_lshlrev_b64_e32 v[57:58], 3, v[8:9]
	v_cmp_gt_i32_e64 s4, s36, v16
	s_wait_alu 0xfffe
	s_or_b32 s95, s5, vcc_lo
	v_ashrrev_i32_e32 v11, 31, v10
	v_cmp_gt_i32_e64 s5, s36, v17
	v_cmp_gt_i32_e64 s14, s15, v16
	;; [unrolled: 1-line block ×3, first 2 shown]
	v_and_b32_e32 v16, 15, v0
	v_lshlrev_b32_e32 v17, 5, v13
	s_lshl_b32 s54, s68, 5
	v_sub_co_u32 v134, vcc_lo, 0, v57
	s_lshl_b32 s38, s68, 3
	s_lshl_b32 s76, s68, 4
	v_lshlrev_b64_e32 v[8:9], 3, v[10:11]
	v_cmp_gt_u32_e64 s10, 32, v12
	s_ashr_i32 s55, s54, 31
	s_add_co_i32 s49, ttmp9, 1
	v_sub_co_ci_u32_e64 v135, null, 0, v58, vcc_lo
	v_add_co_u32 v12, vcc_lo, s54, v10
	s_ashr_i32 s19, s18, 31
	s_ashr_i32 s85, s84, 31
	;; [unrolled: 1-line block ×4, first 2 shown]
	s_lshl_b64 s[6:7], s[6:7], 3
	s_ashr_i32 s77, s76, 31
	s_ashr_i32 s43, s42, 31
	s_ashr_i32 s45, s44, 31
	s_wait_alu 0xfffe
	s_cmp_lt_u32 s49, s30
	v_mad_u32_u24 v115, 0x218, v16, v17
	v_mul_i32_i24_e32 v17, 0xffffffe8, v13
	s_wait_alu 0xfffd
	v_add_co_ci_u32_e64 v13, null, s55, v11, vcc_lo
	s_cselect_b32 s96, -1, 0
	s_lshl_b32 s98, s48, 6
	s_mul_i32 s48, s48, s49
	v_sub_co_u32 v136, vcc_lo, v8, v57
	s_wait_alu 0xfffe
	s_lshl_b32 s100, s48, 6
	s_lshl_b64 s[48:49], s[54:55], 3
	s_add_nc_u64 s[54:55], s[54:55], s[76:77]
	s_wait_alu 0xfffd
	v_sub_co_ci_u32_e64 v137, null, v9, v58, vcc_lo
	v_lshlrev_b64_e32 v[8:9], 3, v[12:13]
	s_wait_alu 0xfffe
	v_add_co_u32 v10, vcc_lo, s54, v10
	s_wait_alu 0xfffd
	v_add_co_ci_u32_e64 v11, null, s55, v11, vcc_lo
	v_and_b32_e32 v0, 48, v0
	s_add_nc_u64 s[90:91], s[68:69], s[76:77]
	v_add_co_u32 v138, vcc_lo, s70, v8
	v_mad_co_u64_u32 v[59:60], null, s90, 24, v[8:9]
	v_lshlrev_b64_e32 v[10:11], 3, v[10:11]
	v_lshlrev_b32_e32 v0, 3, v0
	v_lshlrev_b32_e32 v105, 3, v56
	s_wait_alu 0xfffd
	v_add_co_ci_u32_e64 v139, null, s71, v9, vcc_lo
	s_lshl_b64 s[74:75], s[76:77], 4
	v_mad_u32_u24 v116, 0x218, v16, v0
	v_add_co_u32 v140, vcc_lo, s70, v10
	v_mov_b32_e32 v0, v60
	v_mad_co_i64_i32 v[60:61], null, s76, 24, v[8:9]
	s_lshl_b64 s[72:73], s[68:69], 4
	s_wait_alu 0xfffd
	v_add_co_ci_u32_e64 v141, null, s71, v11, vcc_lo
	s_add_nc_u64 s[70:71], s[70:71], s[74:75]
	s_mul_u64 s[78:79], s[76:77], 24
	s_add_nc_u64 s[40:41], s[8:9], s[6:7]
	v_cmp_gt_u32_e64 s6, v18, v1
	v_cmp_ge_u32_e64 s7, v18, v1
	v_or_b32_e32 v18, 3, v18
	s_lshl_b32 s56, s68, 1
	s_wait_alu 0xfffe
	v_add_co_u32 v142, vcc_lo, s70, v8
	s_add_nc_u64 s[78:79], s[78:79], s[72:73]
	s_ashr_i32 s57, s56, 31
	s_lshl_b64 s[80:81], s[68:69], 3
	s_wait_alu 0xfffd
	v_add_co_ci_u32_e64 v143, null, s71, v9, vcc_lo
	v_mad_co_u64_u32 v[10:11], null, s91, 24, v[0:1]
	v_add_co_u32 v144, vcc_lo, s78, v8
	v_ashrrev_i32_e32 v7, 31, v6
	v_lshl_add_u32 v113, v3, 5, 0x2180
	v_mad_u32_u24 v114, 0x860, v3, v105
	s_ashr_i32 s59, s58, 31
	v_mad_u32_u24 v130, 0x218, v3, v105
	v_ashrrev_i32_e32 v3, 31, v2
	s_lshl_b64 s[82:83], s[56:57], 3
	s_wait_alu 0xfffd
	v_add_co_ci_u32_e64 v145, null, s79, v9, vcc_lo
	v_add_co_u32 v146, vcc_lo, v60, s80
	v_mul_u32_u24_e32 v22, 33, v1
	v_mul_u32_u24_e32 v20, 0x108, v20
	v_cmp_gt_u32_e64 s9, v18, v1
	v_or_b32_e32 v18, 0x78, v105
	s_lshl_b64 s[88:89], s[58:59], 3
	s_wait_alu 0xfffd
	v_add_co_ci_u32_e64 v147, null, s81, v61, vcc_lo
	v_add_co_u32 v149, vcc_lo, v60, s82
	s_wait_alu 0xfffd
	v_add_co_ci_u32_e64 v150, null, s83, v61, vcc_lo
	v_add_co_u32 v151, vcc_lo, v60, s88
	s_add_nc_u64 s[50:51], s[72:73], s[48:49]
	s_lshl_b64 s[58:59], s[76:77], 3
	v_lshlrev_b64_e32 v[62:63], 3, v[6:7]
	v_lshlrev_b64_e32 v[64:65], 3, v[4:5]
	;; [unrolled: 1-line block ×3, first 2 shown]
	v_add_nc_u32_e32 v106, 0x2380, v105
	v_cmp_gt_i32_e64 s1, s36, v1
	v_cmp_gt_u32_e64 s8, v21, v1
	v_lshl_add_u32 v110, v22, 3, v23
	v_mad_u32_u24 v117, 0x218, v16, v18
	v_add_nc_u32_e32 v118, 16, v111
	v_add_nc_u32_e32 v119, 17, v111
	;; [unrolled: 1-line block ×14, first 2 shown]
	v_dual_mov_b32 v148, v10 :: v_dual_add_nc_u32 v133, 64, v2
	s_wait_alu 0xfffd
	v_add_co_ci_u32_e64 v152, null, s89, v61, vcc_lo
	v_add_nc_u32_e32 v153, v14, v15
	v_add_nc_u32_e32 v154, v14, v19
	;; [unrolled: 1-line block ×4, first 2 shown]
	v_lshlrev_b32_e32 v157, 3, v1
	s_sub_nc_u64 s[86:87], 0, s[44:45]
	s_add_nc_u64 s[54:55], s[80:81], s[48:49]
	s_add_nc_u64 s[66:67], s[48:49], s[58:59]
	;; [unrolled: 1-line block ×4, first 2 shown]
	s_add_co_i32 s97, s30, -2
	s_and_b32 s99, s0, s95
	s_sub_nc_u64 s[44:45], 0, s[36:37]
	s_lshl_b64 s[46:47], s[68:69], 6
	s_lshl_b64 s[52:53], s[76:77], 5
	s_add_nc_u64 s[56:57], s[48:49], s[82:83]
	s_add_nc_u64 s[60:61], s[48:49], s[88:89]
	;; [unrolled: 1-line block ×3, first 2 shown]
	s_wait_alu 0xfffe
	s_add_nc_u64 s[64:65], s[54:55], s[58:59]
	s_add_nc_u64 s[68:69], s[66:67], s[82:83]
	;; [unrolled: 1-line block ×6, first 2 shown]
	s_lshl_b64 s[26:27], s[26:27], 3
	s_lshl_b64 s[22:23], s[22:23], 3
	;; [unrolled: 1-line block ×5, first 2 shown]
	s_branch .LBB166_4
.LBB166_2:                              ;   in Loop: Header=BB166_4 Depth=1
	s_wait_alu 0xfffe
	s_or_b32 exec_lo, exec_lo, s18
.LBB166_3:                              ;   in Loop: Header=BB166_4 Depth=1
	s_add_co_i32 s28, s28, 0x10000
	s_delay_alu instid0(SALU_CYCLE_1)
	s_cmp_lt_u32 s28, s33
	s_cbranch_scc0 .LBB166_131
.LBB166_4:                              ; =>This Loop Header: Depth=1
                                        ;     Child Loop BB166_71 Depth 2
	s_and_not1_b32 vcc_lo, exec_lo, s93
	s_wait_alu 0xfffe
	s_cbranch_vccnz .LBB166_3
; %bb.5:                                ;   in Loop: Header=BB166_4 Depth=1
	s_and_b32 vcc_lo, exec_lo, s92
	s_wait_alu 0xfffe
	s_cbranch_vccz .LBB166_7
; %bb.6:                                ;   in Loop: Header=BB166_4 Depth=1
	s_cbranch_execnz .LBB166_3
	s_branch .LBB166_8
.LBB166_7:                              ;   in Loop: Header=BB166_4 Depth=1
.LBB166_8:                              ;   in Loop: Header=BB166_4 Depth=1
	s_lshl_b64 s[18:19], s[28:29], 3
	s_wait_alu 0xfffe
	s_add_nc_u64 s[88:89], s[24:25], s[18:19]
	s_add_nc_u64 s[18:19], s[20:21], s[18:19]
	s_clause 0x1
	global_load_b64 v[2:3], v104, s[88:89]
	global_load_b64 v[0:1], v104, s[18:19]
	s_wait_loadcnt 0x1
	v_add_co_u32 v2, vcc_lo, v2, s26
	s_wait_alu 0xfffd
	v_add_co_ci_u32_e64 v3, null, s27, v3, vcc_lo
	s_delay_alu instid0(VALU_DEP_2) | instskip(SKIP_1) | instid1(VALU_DEP_2)
	v_add_co_u32 v12, vcc_lo, v2, v62
	s_wait_alu 0xfffd
	v_add_co_ci_u32_e64 v13, null, v3, v63, vcc_lo
	s_and_saveexec_b32 s18, s0
	s_cbranch_execz .LBB166_12
; %bb.9:                                ;   in Loop: Header=BB166_4 Depth=1
	v_mov_b32_e32 v2, 0
	v_mov_b32_e32 v3, 0
	s_and_saveexec_b32 s19, s95
	s_cbranch_execz .LBB166_11
; %bb.10:                               ;   in Loop: Header=BB166_4 Depth=1
	flat_load_b64 v[2:3], v[12:13]
.LBB166_11:                             ;   in Loop: Header=BB166_4 Depth=1
	s_wait_alu 0xfffe
	s_or_b32 exec_lo, exec_lo, s19
	s_wait_loadcnt_dscnt 0x0
	ds_store_b64 v106, v[2:3]
.LBB166_12:                             ;   in Loop: Header=BB166_4 Depth=1
	s_wait_alu 0xfffe
	s_or_b32 exec_lo, exec_lo, s18
	s_wait_loadcnt 0x0
	v_add_co_u32 v0, vcc_lo, v0, s22
	s_wait_alu 0xfffd
	v_add_co_ci_u32_e64 v1, null, s23, v1, vcc_lo
	s_mov_b32 s18, -1
	v_add_co_u32 v0, vcc_lo, v0, s82
	s_wait_alu 0xfffd
	v_add_co_ci_u32_e64 v1, null, s83, v1, vcc_lo
	s_delay_alu instid0(VALU_DEP_2) | instskip(SKIP_1) | instid1(VALU_DEP_2)
	v_add_co_u32 v0, vcc_lo, v0, v57
	s_wait_alu 0xfffd
	v_add_co_ci_u32_e64 v1, null, v1, v58, vcc_lo
	s_delay_alu instid0(VALU_DEP_2) | instskip(SKIP_1) | instid1(VALU_DEP_2)
	v_add_co_u32 v2, vcc_lo, v0, s84
	s_wait_alu 0xfffd
	v_add_co_ci_u32_e64 v3, null, s85, v1, vcc_lo
	s_and_b32 vcc_lo, exec_lo, s94
                                        ; implicit-def: $vgpr0_vgpr1
	s_wait_alu 0xfffe
	s_cbranch_vccz .LBB166_22
; %bb.13:                               ;   in Loop: Header=BB166_4 Depth=1
	v_add_co_u32 v0, vcc_lo, v2, v64
	s_wait_alu 0xfffd
	v_add_co_ci_u32_e64 v1, null, v3, v65, vcc_lo
	s_lshl_b64 s[18:19], s[36:37], 3
	v_mov_b32_e32 v6, 0
	s_wait_alu 0xfffe
	v_add_co_u32 v0, vcc_lo, v0, s18
	s_wait_alu 0xfffd
	v_add_co_ci_u32_e64 v1, null, s19, v1, vcc_lo
	v_dual_mov_b32 v7, 0 :: v_dual_mov_b32 v4, 0
	s_delay_alu instid0(VALU_DEP_3) | instskip(SKIP_1) | instid1(VALU_DEP_3)
	v_add_co_u32 v0, vcc_lo, v0, -8
	s_wait_alu 0xfffd
	v_add_co_ci_u32_e64 v1, null, -1, v1, vcc_lo
	v_mov_b32_e32 v5, 0
	s_delay_alu instid0(VALU_DEP_3) | instskip(NEXT) | instid1(VALU_DEP_3)
	v_cndmask_b32_e64 v0, v0, v2, s1
	v_cndmask_b32_e64 v1, v1, v3, s1
	s_and_saveexec_b32 s18, s2
	s_cbranch_execz .LBB166_15
; %bb.14:                               ;   in Loop: Header=BB166_4 Depth=1
	flat_load_b64 v[4:5], v[0:1]
.LBB166_15:                             ;   in Loop: Header=BB166_4 Depth=1
	s_wait_alu 0xfffe
	s_or_b32 exec_lo, exec_lo, s18
	s_wait_loadcnt_dscnt 0x0
	ds_store_b64 v153, v[4:5]
	s_and_saveexec_b32 s18, s3
	s_cbranch_execz .LBB166_17
; %bb.16:                               ;   in Loop: Header=BB166_4 Depth=1
	s_lshl_b64 s[88:89], s[38:39], 3
	s_wait_alu 0xfffe
	v_add_co_u32 v4, vcc_lo, v0, s88
	s_wait_alu 0xfffd
	v_add_co_ci_u32_e64 v5, null, s89, v1, vcc_lo
	flat_load_b64 v[6:7], v[4:5]
.LBB166_17:                             ;   in Loop: Header=BB166_4 Depth=1
	s_wait_alu 0xfffe
	s_or_b32 exec_lo, exec_lo, s18
	v_mov_b32_e32 v4, 0
	v_dual_mov_b32 v5, 0 :: v_dual_mov_b32 v8, 0
	v_mov_b32_e32 v9, 0
	s_wait_loadcnt_dscnt 0x0
	ds_store_b64 v153, v[6:7] offset:2112
	s_and_saveexec_b32 s18, s4
	s_cbranch_execz .LBB166_19
; %bb.18:                               ;   in Loop: Header=BB166_4 Depth=1
	v_add_co_u32 v6, vcc_lo, v0, s58
	s_wait_alu 0xfffd
	v_add_co_ci_u32_e64 v7, null, s59, v1, vcc_lo
	flat_load_b64 v[8:9], v[6:7]
.LBB166_19:                             ;   in Loop: Header=BB166_4 Depth=1
	s_wait_alu 0xfffe
	s_or_b32 exec_lo, exec_lo, s18
	s_wait_loadcnt_dscnt 0x0
	ds_store_b64 v153, v[8:9] offset:4224
	s_and_saveexec_b32 s18, s5
	s_cbranch_execz .LBB166_21
; %bb.20:                               ;   in Loop: Header=BB166_4 Depth=1
	s_lshl_b64 s[88:89], s[42:43], 3
	s_wait_alu 0xfffe
	v_add_co_u32 v4, vcc_lo, v0, s88
	s_wait_alu 0xfffd
	v_add_co_ci_u32_e64 v5, null, s89, v1, vcc_lo
	flat_load_b64 v[4:5], v[4:5]
.LBB166_21:                             ;   in Loop: Header=BB166_4 Depth=1
	s_wait_alu 0xfffe
	s_or_b32 exec_lo, exec_lo, s18
	v_add_co_u32 v0, vcc_lo, v0, v157
	s_wait_alu 0xfffd
	v_add_co_ci_u32_e64 v1, null, 0, v1, vcc_lo
	s_lshl_b64 s[18:19], s[44:45], 3
	s_wait_loadcnt_dscnt 0x0
	ds_store_b64 v153, v[4:5] offset:6336
	s_wait_alu 0xfffe
	v_add_co_u32 v0, vcc_lo, v0, s18
	s_wait_alu 0xfffd
	v_add_co_ci_u32_e64 v1, null, s19, v1, vcc_lo
	s_mov_b32 s18, 0
	v_add_co_u32 v0, vcc_lo, v0, 8
	s_wait_alu 0xfffd
	v_add_co_ci_u32_e64 v1, null, 0, v1, vcc_lo
	s_delay_alu instid0(VALU_DEP_2) | instskip(NEXT) | instid1(VALU_DEP_2)
	v_cndmask_b32_e64 v0, v0, v2, s1
	v_cndmask_b32_e64 v1, v1, v3, s1
.LBB166_22:                             ;   in Loop: Header=BB166_4 Depth=1
	s_wait_alu 0xfffe
	s_and_b32 vcc_lo, exec_lo, s18
	s_wait_alu 0xfffe
	s_cbranch_vccz .LBB166_24
; %bb.23:                               ;   in Loop: Header=BB166_4 Depth=1
	s_lshl_b64 s[18:19], s[38:39], 3
	s_wait_alu 0xfffe
	v_add_co_u32 v0, vcc_lo, v2, s18
	s_wait_alu 0xfffd
	v_add_co_ci_u32_e64 v1, null, s19, v3, vcc_lo
	s_delay_alu instid0(VALU_DEP_2) | instskip(SKIP_1) | instid1(VALU_DEP_2)
	v_add_co_u32 v4, vcc_lo, v0, s46
	s_wait_alu 0xfffd
	v_add_co_ci_u32_e64 v5, null, s47, v1, vcc_lo
	s_delay_alu instid0(VALU_DEP_2) | instskip(SKIP_1) | instid1(VALU_DEP_2)
	v_add_co_u32 v6, vcc_lo, v4, s46
	s_wait_alu 0xfffd
	v_add_co_ci_u32_e64 v7, null, s47, v5, vcc_lo
	s_clause 0x3
	flat_load_b64 v[8:9], v[2:3]
	flat_load_b64 v[10:11], v[0:1]
	;; [unrolled: 1-line block ×4, first 2 shown]
	v_dual_mov_b32 v0, v2 :: v_dual_mov_b32 v1, v3
	s_wait_loadcnt_dscnt 0x303
	ds_store_b64 v153, v[8:9]
	s_wait_loadcnt_dscnt 0x203
	ds_store_b64 v153, v[10:11] offset:2112
	s_wait_loadcnt_dscnt 0x103
	ds_store_b64 v153, v[4:5] offset:4224
	;; [unrolled: 2-line block ×3, first 2 shown]
.LBB166_24:                             ;   in Loop: Header=BB166_4 Depth=1
	s_wait_dscnt 0x0
	s_barrier_signal -1
	s_barrier_wait -1
	global_inv scope:SCOPE_SE
	s_and_saveexec_b32 s18, s6
	s_cbranch_execnz .LBB166_125
; %bb.25:                               ;   in Loop: Header=BB166_4 Depth=1
	s_wait_alu 0xfffe
	s_or_b32 exec_lo, exec_lo, s18
	s_and_saveexec_b32 s18, s7
	s_cbranch_execnz .LBB166_126
.LBB166_26:                             ;   in Loop: Header=BB166_4 Depth=1
	s_wait_alu 0xfffe
	s_or_b32 exec_lo, exec_lo, s18
	s_and_saveexec_b32 s18, s8
	s_cbranch_execnz .LBB166_127
.LBB166_27:                             ;   in Loop: Header=BB166_4 Depth=1
	s_wait_alu 0xfffe
	s_or_b32 exec_lo, exec_lo, s18
	s_and_saveexec_b32 s18, s9
	s_cbranch_execz .LBB166_29
.LBB166_28:                             ;   in Loop: Header=BB166_4 Depth=1
	ds_load_b64 v[2:3], v155 offset:528
	s_wait_dscnt 0x0
	ds_store_b64 v108, v[2:3] offset:24
.LBB166_29:                             ;   in Loop: Header=BB166_4 Depth=1
	s_wait_alu 0xfffe
	s_or_b32 exec_lo, exec_lo, s18
	s_wait_loadcnt_dscnt 0x0
	s_barrier_signal -1
	s_barrier_wait -1
	global_inv scope:SCOPE_SE
	ds_load_b64 v[10:11], v154
	ds_load_b128 v[2:5], v109
	ds_load_b128 v[6:9], v109 offset:16
	ds_load_b64 v[18:19], v155 offset:528
	ds_load_2addr_b64 v[14:17], v155 offset1:33
	v_mov_b32_e32 v68, 0
	v_mov_b32_e32 v69, 0
	s_wait_loadcnt_dscnt 0x0
	s_barrier_signal -1
	s_barrier_wait -1
	global_inv scope:SCOPE_SE
	v_fma_f64 v[2:3], v[10:11], v[2:3], 0
	s_delay_alu instid0(VALU_DEP_1) | instskip(NEXT) | instid1(VALU_DEP_1)
	v_fma_f64 v[2:3], v[14:15], v[4:5], v[2:3]
	v_fma_f64 v[2:3], v[16:17], v[6:7], v[2:3]
	s_delay_alu instid0(VALU_DEP_1)
	v_fma_f64 v[2:3], v[18:19], v[8:9], v[2:3]
	ds_store_b64 v110, v[2:3]
	s_wait_loadcnt_dscnt 0x0
	s_barrier_signal -1
	s_barrier_wait -1
	global_inv scope:SCOPE_SE
	s_and_saveexec_b32 s18, s10
	s_cbranch_execz .LBB166_31
; %bb.30:                               ;   in Loop: Header=BB166_4 Depth=1
	ds_load_2addr_b64 v[2:5], v107 offset1:1
	ds_load_2addr_b64 v[6:9], v107 offset0:2 offset1:3
	s_wait_dscnt 0x1
	v_add_f64_e32 v[2:3], v[2:3], v[4:5]
	s_wait_dscnt 0x0
	s_delay_alu instid0(VALU_DEP_1) | instskip(NEXT) | instid1(VALU_DEP_1)
	v_add_f64_e32 v[2:3], v[2:3], v[6:7]
	v_add_f64_e32 v[10:11], v[2:3], v[8:9]
	ds_load_2addr_b64 v[2:5], v107 offset0:4 offset1:5
	ds_load_2addr_b64 v[6:9], v107 offset0:6 offset1:7
	s_wait_dscnt 0x1
	v_add_f64_e32 v[2:3], v[10:11], v[2:3]
	s_delay_alu instid0(VALU_DEP_1) | instskip(SKIP_1) | instid1(VALU_DEP_1)
	v_add_f64_e32 v[2:3], v[2:3], v[4:5]
	s_wait_dscnt 0x0
	v_add_f64_e32 v[2:3], v[2:3], v[6:7]
	s_delay_alu instid0(VALU_DEP_1)
	v_add_f64_e32 v[68:69], v[2:3], v[8:9]
.LBB166_31:                             ;   in Loop: Header=BB166_4 Depth=1
	s_wait_alu 0xfffe
	s_or_b32 exec_lo, exec_lo, s18
	v_add_co_u32 v4, vcc_lo, v0, s48
	s_wait_alu 0xfffd
	v_add_co_ci_u32_e64 v5, null, s49, v1, vcc_lo
	s_mov_b32 s18, -1
	v_add_co_u32 v2, vcc_lo, 0x100, v4
	s_wait_alu 0xfffd
	v_add_co_ci_u32_e64 v3, null, 0, v5, vcc_lo
	s_and_b32 vcc_lo, exec_lo, s94
	s_wait_loadcnt 0x0
	s_barrier_signal -1
	s_barrier_wait -1
	global_inv scope:SCOPE_SE
                                        ; implicit-def: $vgpr0_vgpr1
	s_wait_alu 0xfffe
	s_cbranch_vccz .LBB166_41
; %bb.32:                               ;   in Loop: Header=BB166_4 Depth=1
	v_add_co_u32 v0, vcc_lo, v4, v64
	s_wait_alu 0xfffd
	v_add_co_ci_u32_e64 v1, null, v5, v65, vcc_lo
	s_lshl_b64 s[18:19], s[36:37], 3
	v_mov_b32_e32 v8, 0
	s_wait_alu 0xfffe
	v_add_co_u32 v0, vcc_lo, v0, s18
	s_wait_alu 0xfffd
	v_add_co_ci_u32_e64 v1, null, s19, v1, vcc_lo
	v_dual_mov_b32 v9, 0 :: v_dual_mov_b32 v6, 0
	s_delay_alu instid0(VALU_DEP_3) | instskip(SKIP_1) | instid1(VALU_DEP_3)
	v_add_co_u32 v0, vcc_lo, v0, -8
	s_wait_alu 0xfffd
	v_add_co_ci_u32_e64 v1, null, -1, v1, vcc_lo
	v_mov_b32_e32 v7, 0
	s_delay_alu instid0(VALU_DEP_3) | instskip(NEXT) | instid1(VALU_DEP_3)
	v_cndmask_b32_e64 v0, v0, v2, s11
	v_cndmask_b32_e64 v1, v1, v3, s11
	s_and_saveexec_b32 s18, s12
	s_cbranch_execz .LBB166_34
; %bb.33:                               ;   in Loop: Header=BB166_4 Depth=1
	flat_load_b64 v[6:7], v[0:1]
.LBB166_34:                             ;   in Loop: Header=BB166_4 Depth=1
	s_wait_alu 0xfffe
	s_or_b32 exec_lo, exec_lo, s18
	s_wait_loadcnt_dscnt 0x0
	ds_store_b64 v153, v[6:7]
	s_and_saveexec_b32 s18, s13
	s_cbranch_execz .LBB166_36
; %bb.35:                               ;   in Loop: Header=BB166_4 Depth=1
	s_lshl_b64 s[88:89], s[38:39], 3
	s_wait_alu 0xfffe
	v_add_co_u32 v6, vcc_lo, v0, s88
	s_wait_alu 0xfffd
	v_add_co_ci_u32_e64 v7, null, s89, v1, vcc_lo
	flat_load_b64 v[8:9], v[6:7]
.LBB166_36:                             ;   in Loop: Header=BB166_4 Depth=1
	s_wait_alu 0xfffe
	s_or_b32 exec_lo, exec_lo, s18
	v_mov_b32_e32 v6, 0
	v_dual_mov_b32 v7, 0 :: v_dual_mov_b32 v10, 0
	v_mov_b32_e32 v11, 0
	s_wait_loadcnt_dscnt 0x0
	ds_store_b64 v153, v[8:9] offset:2112
	s_and_saveexec_b32 s18, s14
	s_cbranch_execz .LBB166_38
; %bb.37:                               ;   in Loop: Header=BB166_4 Depth=1
	v_add_co_u32 v8, vcc_lo, v0, s58
	s_wait_alu 0xfffd
	v_add_co_ci_u32_e64 v9, null, s59, v1, vcc_lo
	flat_load_b64 v[10:11], v[8:9]
.LBB166_38:                             ;   in Loop: Header=BB166_4 Depth=1
	s_wait_alu 0xfffe
	s_or_b32 exec_lo, exec_lo, s18
	s_wait_loadcnt_dscnt 0x0
	ds_store_b64 v153, v[10:11] offset:4224
	s_and_saveexec_b32 s18, s15
	s_cbranch_execz .LBB166_40
; %bb.39:                               ;   in Loop: Header=BB166_4 Depth=1
	s_lshl_b64 s[88:89], s[42:43], 3
	s_wait_alu 0xfffe
	v_add_co_u32 v6, vcc_lo, v0, s88
	s_wait_alu 0xfffd
	v_add_co_ci_u32_e64 v7, null, s89, v1, vcc_lo
	flat_load_b64 v[6:7], v[6:7]
.LBB166_40:                             ;   in Loop: Header=BB166_4 Depth=1
	s_wait_alu 0xfffe
	s_or_b32 exec_lo, exec_lo, s18
	v_add_co_u32 v0, vcc_lo, v0, v157
	s_wait_alu 0xfffd
	v_add_co_ci_u32_e64 v1, null, 0, v1, vcc_lo
	s_lshl_b64 s[18:19], s[44:45], 3
	s_wait_loadcnt_dscnt 0x0
	ds_store_b64 v153, v[6:7] offset:6336
	s_wait_alu 0xfffe
	v_add_co_u32 v0, vcc_lo, v0, s18
	s_wait_alu 0xfffd
	v_add_co_ci_u32_e64 v1, null, s19, v1, vcc_lo
	s_mov_b32 s18, 0
	v_add_co_u32 v0, vcc_lo, 0x108, v0
	s_wait_alu 0xfffd
	v_add_co_ci_u32_e64 v1, null, 0, v1, vcc_lo
	s_delay_alu instid0(VALU_DEP_2) | instskip(NEXT) | instid1(VALU_DEP_2)
	v_cndmask_b32_e64 v0, v0, v2, s11
	v_cndmask_b32_e64 v1, v1, v3, s11
.LBB166_41:                             ;   in Loop: Header=BB166_4 Depth=1
	s_wait_alu 0xfffe
	s_and_b32 vcc_lo, exec_lo, s18
	s_wait_alu 0xfffe
	s_cbranch_vccz .LBB166_43
; %bb.42:                               ;   in Loop: Header=BB166_4 Depth=1
	s_lshl_b64 s[18:19], s[38:39], 3
	s_wait_alu 0xfffe
	v_add_co_u32 v0, vcc_lo, v4, s18
	s_wait_alu 0xfffd
	v_add_co_ci_u32_e64 v1, null, s19, v5, vcc_lo
	s_delay_alu instid0(VALU_DEP_2) | instskip(SKIP_1) | instid1(VALU_DEP_2)
	v_add_co_u32 v6, vcc_lo, v0, s46
	s_wait_alu 0xfffd
	v_add_co_ci_u32_e64 v7, null, s47, v1, vcc_lo
	s_delay_alu instid0(VALU_DEP_2) | instskip(SKIP_1) | instid1(VALU_DEP_2)
	v_add_co_u32 v8, vcc_lo, v6, s46
	s_wait_alu 0xfffd
	v_add_co_ci_u32_e64 v9, null, s47, v7, vcc_lo
	s_clause 0x3
	flat_load_b64 v[4:5], v[4:5] offset:256
	flat_load_b64 v[10:11], v[0:1] offset:256
	;; [unrolled: 1-line block ×4, first 2 shown]
	v_dual_mov_b32 v0, v2 :: v_dual_mov_b32 v1, v3
	s_wait_loadcnt_dscnt 0x303
	ds_store_b64 v153, v[4:5]
	s_wait_loadcnt_dscnt 0x203
	ds_store_b64 v153, v[10:11] offset:2112
	s_wait_loadcnt_dscnt 0x103
	ds_store_b64 v153, v[6:7] offset:4224
	;; [unrolled: 2-line block ×3, first 2 shown]
.LBB166_43:                             ;   in Loop: Header=BB166_4 Depth=1
	s_wait_loadcnt_dscnt 0x0
	s_barrier_signal -1
	s_barrier_wait -1
	global_inv scope:SCOPE_SE
	s_and_saveexec_b32 s18, s6
	s_cbranch_execnz .LBB166_128
; %bb.44:                               ;   in Loop: Header=BB166_4 Depth=1
	s_wait_alu 0xfffe
	s_or_b32 exec_lo, exec_lo, s18
	s_and_saveexec_b32 s18, s7
	s_cbranch_execnz .LBB166_129
.LBB166_45:                             ;   in Loop: Header=BB166_4 Depth=1
	s_wait_alu 0xfffe
	s_or_b32 exec_lo, exec_lo, s18
	s_and_saveexec_b32 s18, s8
	s_cbranch_execnz .LBB166_130
.LBB166_46:                             ;   in Loop: Header=BB166_4 Depth=1
	s_wait_alu 0xfffe
	s_or_b32 exec_lo, exec_lo, s18
	s_and_saveexec_b32 s18, s9
	s_cbranch_execz .LBB166_48
.LBB166_47:                             ;   in Loop: Header=BB166_4 Depth=1
	ds_load_b64 v[2:3], v155 offset:528
	s_wait_dscnt 0x0
	ds_store_b64 v108, v[2:3] offset:24
.LBB166_48:                             ;   in Loop: Header=BB166_4 Depth=1
	s_wait_alu 0xfffe
	s_or_b32 exec_lo, exec_lo, s18
	s_wait_loadcnt_dscnt 0x0
	s_barrier_signal -1
	s_barrier_wait -1
	global_inv scope:SCOPE_SE
	ds_load_b64 v[10:11], v154
	ds_load_b128 v[2:5], v109 offset:256
	ds_load_b128 v[6:9], v109 offset:272
	ds_load_b64 v[18:19], v155 offset:528
	ds_load_2addr_b64 v[14:17], v155 offset1:33
	s_wait_loadcnt_dscnt 0x0
	s_barrier_signal -1
	s_barrier_wait -1
	global_inv scope:SCOPE_SE
	v_fma_f64 v[2:3], v[10:11], v[2:3], 0
	s_delay_alu instid0(VALU_DEP_1) | instskip(NEXT) | instid1(VALU_DEP_1)
	v_fma_f64 v[2:3], v[14:15], v[4:5], v[2:3]
	v_fma_f64 v[2:3], v[16:17], v[6:7], v[2:3]
	s_delay_alu instid0(VALU_DEP_1)
	v_fma_f64 v[2:3], v[18:19], v[8:9], v[2:3]
	ds_store_b64 v110, v[2:3]
	s_wait_loadcnt_dscnt 0x0
	s_barrier_signal -1
	s_barrier_wait -1
	global_inv scope:SCOPE_SE
	s_and_saveexec_b32 s18, s16
	s_cbranch_execz .LBB166_50
; %bb.49:                               ;   in Loop: Header=BB166_4 Depth=1
	ds_load_2addr_b64 v[2:5], v107 offset1:1
	ds_load_2addr_b64 v[6:9], v107 offset0:2 offset1:3
	s_wait_dscnt 0x1
	v_add_f64_e32 v[2:3], v[2:3], v[4:5]
	s_wait_dscnt 0x0
	s_delay_alu instid0(VALU_DEP_1) | instskip(NEXT) | instid1(VALU_DEP_1)
	v_add_f64_e32 v[2:3], v[2:3], v[6:7]
	v_add_f64_e32 v[10:11], v[2:3], v[8:9]
	ds_load_2addr_b64 v[2:5], v107 offset0:4 offset1:5
	ds_load_2addr_b64 v[6:9], v107 offset0:6 offset1:7
	s_wait_dscnt 0x1
	v_add_f64_e32 v[2:3], v[10:11], v[2:3]
	s_delay_alu instid0(VALU_DEP_1) | instskip(SKIP_1) | instid1(VALU_DEP_1)
	v_add_f64_e32 v[2:3], v[2:3], v[4:5]
	s_wait_dscnt 0x0
	v_add_f64_e32 v[2:3], v[2:3], v[6:7]
	s_delay_alu instid0(VALU_DEP_1)
	v_add_f64_e32 v[68:69], v[2:3], v[8:9]
.LBB166_50:                             ;   in Loop: Header=BB166_4 Depth=1
	s_wait_alu 0xfffe
	s_or_b32 exec_lo, exec_lo, s18
	v_add_co_u32 v2, vcc_lo, 0xffffff00, v0
	s_wait_alu 0xfffd
	v_add_co_ci_u32_e64 v3, null, -1, v1, vcc_lo
	s_and_b32 vcc_lo, exec_lo, s94
	s_mov_b32 s18, -1
	s_wait_loadcnt 0x0
	s_barrier_signal -1
	s_barrier_wait -1
	global_inv scope:SCOPE_SE
                                        ; implicit-def: $vgpr14_vgpr15
	s_wait_alu 0xfffe
	s_cbranch_vccz .LBB166_60
; %bb.51:                               ;   in Loop: Header=BB166_4 Depth=1
	v_add_co_u32 v4, vcc_lo, v0, v64
	s_wait_alu 0xfffd
	v_add_co_ci_u32_e64 v5, null, v1, v65, vcc_lo
	s_lshl_b64 s[18:19], s[36:37], 3
	v_mov_b32_e32 v8, 0
	s_wait_alu 0xfffe
	v_add_co_u32 v4, vcc_lo, v4, s18
	s_wait_alu 0xfffd
	v_add_co_ci_u32_e64 v5, null, s19, v5, vcc_lo
	v_dual_mov_b32 v9, 0 :: v_dual_mov_b32 v6, 0
	s_delay_alu instid0(VALU_DEP_3) | instskip(SKIP_1) | instid1(VALU_DEP_3)
	v_add_co_u32 v4, vcc_lo, 0xfffffef8, v4
	s_wait_alu 0xfffd
	v_add_co_ci_u32_e64 v5, null, -1, v5, vcc_lo
	v_mov_b32_e32 v7, 0
	s_delay_alu instid0(VALU_DEP_3) | instskip(NEXT) | instid1(VALU_DEP_3)
	v_cndmask_b32_e64 v4, v4, v2, s1
	v_cndmask_b32_e64 v5, v5, v3, s1
	s_and_saveexec_b32 s18, s12
	s_cbranch_execz .LBB166_53
; %bb.52:                               ;   in Loop: Header=BB166_4 Depth=1
	flat_load_b64 v[6:7], v[4:5]
.LBB166_53:                             ;   in Loop: Header=BB166_4 Depth=1
	s_wait_alu 0xfffe
	s_or_b32 exec_lo, exec_lo, s18
	s_wait_loadcnt_dscnt 0x0
	ds_store_b64 v153, v[6:7]
	s_and_saveexec_b32 s18, s13
	s_cbranch_execz .LBB166_55
; %bb.54:                               ;   in Loop: Header=BB166_4 Depth=1
	s_lshl_b64 s[88:89], s[38:39], 3
	s_wait_alu 0xfffe
	v_add_co_u32 v6, vcc_lo, v4, s88
	s_wait_alu 0xfffd
	v_add_co_ci_u32_e64 v7, null, s89, v5, vcc_lo
	flat_load_b64 v[8:9], v[6:7]
.LBB166_55:                             ;   in Loop: Header=BB166_4 Depth=1
	s_wait_alu 0xfffe
	s_or_b32 exec_lo, exec_lo, s18
	v_mov_b32_e32 v6, 0
	v_dual_mov_b32 v7, 0 :: v_dual_mov_b32 v10, 0
	v_mov_b32_e32 v11, 0
	s_wait_loadcnt_dscnt 0x0
	ds_store_b64 v153, v[8:9] offset:2112
	s_and_saveexec_b32 s18, s14
	s_cbranch_execz .LBB166_57
; %bb.56:                               ;   in Loop: Header=BB166_4 Depth=1
	v_add_co_u32 v8, vcc_lo, v4, s58
	s_wait_alu 0xfffd
	v_add_co_ci_u32_e64 v9, null, s59, v5, vcc_lo
	flat_load_b64 v[10:11], v[8:9]
.LBB166_57:                             ;   in Loop: Header=BB166_4 Depth=1
	s_wait_alu 0xfffe
	s_or_b32 exec_lo, exec_lo, s18
	s_wait_loadcnt_dscnt 0x0
	ds_store_b64 v153, v[10:11] offset:4224
	s_and_saveexec_b32 s18, s15
	s_cbranch_execz .LBB166_59
; %bb.58:                               ;   in Loop: Header=BB166_4 Depth=1
	s_lshl_b64 s[88:89], s[42:43], 3
	s_wait_alu 0xfffe
	v_add_co_u32 v6, vcc_lo, v4, s88
	s_wait_alu 0xfffd
	v_add_co_ci_u32_e64 v7, null, s89, v5, vcc_lo
	flat_load_b64 v[6:7], v[6:7]
.LBB166_59:                             ;   in Loop: Header=BB166_4 Depth=1
	s_wait_alu 0xfffe
	s_or_b32 exec_lo, exec_lo, s18
	v_add_co_u32 v4, vcc_lo, v4, v157
	s_wait_alu 0xfffd
	v_add_co_ci_u32_e64 v5, null, 0, v5, vcc_lo
	s_lshl_b64 s[18:19], s[44:45], 3
	s_wait_loadcnt_dscnt 0x0
	ds_store_b64 v153, v[6:7] offset:6336
	s_wait_alu 0xfffe
	v_add_co_u32 v4, vcc_lo, v4, s18
	s_wait_alu 0xfffd
	v_add_co_ci_u32_e64 v5, null, s19, v5, vcc_lo
	s_mov_b32 s18, 0
	v_add_co_u32 v4, vcc_lo, v4, 8
	s_wait_alu 0xfffd
	v_add_co_ci_u32_e64 v5, null, 0, v5, vcc_lo
	s_delay_alu instid0(VALU_DEP_2) | instskip(NEXT) | instid1(VALU_DEP_2)
	v_cndmask_b32_e64 v14, v4, v2, s1
	v_cndmask_b32_e64 v15, v5, v3, s1
.LBB166_60:                             ;   in Loop: Header=BB166_4 Depth=1
	s_wait_alu 0xfffe
	s_and_b32 vcc_lo, exec_lo, s18
	s_wait_alu 0xfffe
	s_cbranch_vccz .LBB166_62
; %bb.61:                               ;   in Loop: Header=BB166_4 Depth=1
	s_lshl_b64 s[18:19], s[38:39], 3
	v_dual_mov_b32 v15, v3 :: v_dual_mov_b32 v14, v2
	s_wait_alu 0xfffe
	v_add_co_u32 v4, vcc_lo, v0, s18
	s_wait_alu 0xfffd
	v_add_co_ci_u32_e64 v5, null, s19, v1, vcc_lo
	s_delay_alu instid0(VALU_DEP_2) | instskip(SKIP_1) | instid1(VALU_DEP_2)
	v_add_co_u32 v6, vcc_lo, v4, s46
	s_wait_alu 0xfffd
	v_add_co_ci_u32_e64 v7, null, s47, v5, vcc_lo
	s_delay_alu instid0(VALU_DEP_2) | instskip(SKIP_1) | instid1(VALU_DEP_2)
	v_add_co_u32 v8, vcc_lo, v6, s46
	s_wait_alu 0xfffd
	v_add_co_ci_u32_e64 v9, null, s47, v7, vcc_lo
	s_clause 0x3
	flat_load_b64 v[0:1], v[0:1] offset:-256
	flat_load_b64 v[4:5], v[4:5] offset:-256
	;; [unrolled: 1-line block ×4, first 2 shown]
	s_wait_loadcnt_dscnt 0x303
	ds_store_b64 v153, v[0:1]
	s_wait_loadcnt_dscnt 0x203
	ds_store_b64 v153, v[4:5] offset:2112
	s_wait_loadcnt_dscnt 0x103
	ds_store_b64 v153, v[6:7] offset:4224
	;; [unrolled: 2-line block ×3, first 2 shown]
.LBB166_62:                             ;   in Loop: Header=BB166_4 Depth=1
	v_add_nc_u32_e32 v0, v108, v112
	v_add_nc_u32_e32 v2, v109, v112
	s_wait_loadcnt_dscnt 0x0
	s_barrier_signal -1
	s_barrier_wait -1
	global_inv scope:SCOPE_SE
	ds_load_b64 v[0:1], v0
	ds_load_b64 v[2:3], v2
	s_wait_dscnt 0x0
	v_fma_f64 v[8:9], v[0:1], v[2:3], 0
	ds_load_2addr_b64 v[0:3], v131 offset0:8 offset1:16
	ds_load_2addr_b64 v[4:7], v132 offset0:8 offset1:16
	s_wait_dscnt 0x0
	v_fma_f64 v[0:1], v[0:1], v[4:5], v[8:9]
	s_delay_alu instid0(VALU_DEP_1)
	v_fma_f64 v[0:1], v[2:3], v[6:7], v[0:1]
	ds_load_b64 v[2:3], v131 offset:192
	ds_load_b64 v[4:5], v132 offset:192
	ds_load_b64 v[18:19], v154
	ds_load_b64 v[16:17], v155 offset:528
	s_wait_dscnt 0x2
	v_fma_f64 v[20:21], v[2:3], v[4:5], v[0:1]
	ds_load_b128 v[8:11], v109 offset:256
	ds_load_b128 v[0:3], v109 offset:272
	ds_load_2addr_b64 v[4:7], v155 offset1:33
	s_wait_loadcnt_dscnt 0x0
	s_barrier_signal -1
	s_barrier_wait -1
	global_inv scope:SCOPE_SE
	ds_store_b64 v110, v[20:21]
	s_wait_loadcnt_dscnt 0x0
	s_barrier_signal -1
	s_barrier_wait -1
	global_inv scope:SCOPE_SE
	s_and_saveexec_b32 s18, s16
	s_cbranch_execz .LBB166_64
; %bb.63:                               ;   in Loop: Header=BB166_4 Depth=1
	ds_load_2addr_b64 v[20:23], v107 offset1:1
	ds_load_2addr_b64 v[24:27], v107 offset0:2 offset1:3
	s_wait_dscnt 0x1
	v_add_f64_e32 v[20:21], v[68:69], v[20:21]
	s_delay_alu instid0(VALU_DEP_1) | instskip(SKIP_1) | instid1(VALU_DEP_1)
	v_add_f64_e32 v[20:21], v[20:21], v[22:23]
	s_wait_dscnt 0x0
	v_add_f64_e32 v[20:21], v[20:21], v[24:25]
	s_delay_alu instid0(VALU_DEP_1) | instskip(SKIP_4) | instid1(VALU_DEP_1)
	v_add_f64_e32 v[28:29], v[20:21], v[26:27]
	ds_load_2addr_b64 v[20:23], v107 offset0:4 offset1:5
	ds_load_2addr_b64 v[24:27], v107 offset0:6 offset1:7
	s_wait_dscnt 0x1
	v_add_f64_e32 v[20:21], v[28:29], v[20:21]
	v_add_f64_e32 v[20:21], v[20:21], v[22:23]
	s_wait_dscnt 0x0
	s_delay_alu instid0(VALU_DEP_1) | instskip(NEXT) | instid1(VALU_DEP_1)
	v_add_f64_e32 v[20:21], v[20:21], v[24:25]
	v_add_f64_e32 v[68:69], v[20:21], v[26:27]
.LBB166_64:                             ;   in Loop: Header=BB166_4 Depth=1
	s_wait_alu 0xfffe
	s_or_b32 exec_lo, exec_lo, s18
	v_fma_f64 v[8:9], v[18:19], v[8:9], 0
	s_wait_loadcnt 0x0
	s_barrier_signal -1
	s_barrier_wait -1
	global_inv scope:SCOPE_SE
	v_fma_f64 v[4:5], v[4:5], v[10:11], v[8:9]
	s_delay_alu instid0(VALU_DEP_1) | instskip(NEXT) | instid1(VALU_DEP_1)
	v_fma_f64 v[0:1], v[6:7], v[0:1], v[4:5]
	v_fma_f64 v[0:1], v[16:17], v[2:3], v[0:1]
	ds_store_b64 v110, v[0:1]
	s_wait_loadcnt_dscnt 0x0
	s_barrier_signal -1
	s_barrier_wait -1
	global_inv scope:SCOPE_SE
	s_and_saveexec_b32 s18, s10
	s_cbranch_execz .LBB166_66
; %bb.65:                               ;   in Loop: Header=BB166_4 Depth=1
	ds_load_2addr_b64 v[0:3], v107 offset1:1
	ds_load_2addr_b64 v[4:7], v107 offset0:2 offset1:3
	s_wait_dscnt 0x1
	v_add_f64_e32 v[0:1], v[68:69], v[0:1]
	s_delay_alu instid0(VALU_DEP_1) | instskip(SKIP_1) | instid1(VALU_DEP_1)
	v_add_f64_e32 v[0:1], v[0:1], v[2:3]
	s_wait_dscnt 0x0
	v_add_f64_e32 v[0:1], v[0:1], v[4:5]
	s_delay_alu instid0(VALU_DEP_1) | instskip(SKIP_4) | instid1(VALU_DEP_1)
	v_add_f64_e32 v[8:9], v[0:1], v[6:7]
	ds_load_2addr_b64 v[0:3], v107 offset0:4 offset1:5
	ds_load_2addr_b64 v[4:7], v107 offset0:6 offset1:7
	s_wait_dscnt 0x1
	v_add_f64_e32 v[0:1], v[8:9], v[0:1]
	v_add_f64_e32 v[0:1], v[0:1], v[2:3]
	s_wait_dscnt 0x0
	s_delay_alu instid0(VALU_DEP_1) | instskip(NEXT) | instid1(VALU_DEP_1)
	v_add_f64_e32 v[0:1], v[0:1], v[4:5]
	v_add_f64_e32 v[68:69], v[0:1], v[6:7]
.LBB166_66:                             ;   in Loop: Header=BB166_4 Depth=1
	s_wait_alu 0xfffe
	s_or_b32 exec_lo, exec_lo, s18
	s_mul_u64 s[18:19], s[34:35], s[28:29]
	s_and_not1_b32 vcc_lo, exec_lo, s96
	s_wait_alu 0xfffe
	s_lshl_b64 s[18:19], s[18:19], 3
	s_wait_loadcnt 0x0
	s_wait_alu 0xfffe
	s_add_nc_u64 s[88:89], s[40:41], s[18:19]
	s_barrier_signal -1
	s_barrier_wait -1
	global_inv scope:SCOPE_SE
	s_cbranch_vccnz .LBB166_123
; %bb.67:                               ;   in Loop: Header=BB166_4 Depth=1
	v_add_co_u32 v158, vcc_lo, v12, s86
	s_wait_alu 0xfffd
	v_add_co_ci_u32_e64 v159, null, s87, v13, vcc_lo
	v_add_co_u32 v160, vcc_lo, v14, s48
	s_wait_alu 0xfffd
	v_add_co_ci_u32_e64 v161, null, s49, v15, vcc_lo
	;; [unrolled: 3-line block ×25, first 2 shown]
	v_mov_b32_e32 v70, v133
	s_mov_b32 s19, ttmp9
	s_mov_b32 s90, s100
	s_wait_alu 0xfffe
	s_cmp_eq_u32 s97, s19
	s_cselect_b32 s101, s31, 0
	s_and_saveexec_b32 s18, s0
	s_cbranch_execz .LBB166_71
.LBB166_68:                             ;   in Loop: Header=BB166_4 Depth=1
	s_wait_alu 0xfffe
	v_cmp_gt_i32_e32 vcc_lo, s101, v56
	s_cmp_eq_u32 s101, 0
	v_mov_b32_e32 v0, 0
	v_mov_b32_e32 v1, 0
	s_cselect_b32 s91, -1, 0
	s_wait_alu 0xfffe
	s_or_b32 s91, s91, vcc_lo
	s_wait_alu 0xfffe
	s_and_saveexec_b32 s102, s91
	s_cbranch_execz .LBB166_70
; %bb.69:                               ;   in Loop: Header=BB166_4 Depth=1
	s_ashr_i32 s91, s90, 31
	s_wait_alu 0xfffe
	s_lshl_b64 vcc, s[90:91], 3
	s_wait_alu 0xfffe
	v_add_co_u32 v0, vcc_lo, v158, vcc_lo
	s_wait_alu 0xfffd
	v_add_co_ci_u32_e64 v1, null, vcc_hi, v159, vcc_lo
	flat_load_b64 v[0:1], v[0:1]
.LBB166_70:                             ;   in Loop: Header=BB166_4 Depth=1
	s_or_b32 exec_lo, exec_lo, s102
	v_add_nc_u32_e32 v2, 0x2180, v105
	s_wait_loadcnt_dscnt 0x0
	ds_store_b64 v2, v[0:1]
.LBB166_71:                             ;   Parent Loop BB166_4 Depth=1
                                        ; =>  This Inner Loop Header: Depth=2
	s_wait_alu 0xfffe
	s_or_b32 exec_lo, exec_lo, s18
	s_cmp_eq_u32 s101, 0
	v_add_co_u32 v0, vcc_lo, v160, v136
	s_cselect_b32 s91, -1, 0
	s_cmp_lg_u32 s101, 0
	s_wait_alu 0xfffd
	v_add_co_ci_u32_e64 v1, null, v161, v137, vcc_lo
	s_cselect_b32 s18, -1, 0
	s_mov_b32 s102, -1
	s_wait_alu 0xfffe
	s_and_b32 vcc_lo, exec_lo, s18
	s_wait_loadcnt_dscnt 0x0
	s_barrier_signal -1
	s_barrier_wait -1
	global_inv scope:SCOPE_SE
                                        ; implicit-def: $vgpr78_vgpr79
                                        ; implicit-def: $vgpr76_vgpr77
                                        ; implicit-def: $vgpr74_vgpr75
                                        ; implicit-def: $vgpr72_vgpr73
	s_wait_alu 0xfffe
	s_cbranch_vccz .LBB166_81
; %bb.72:                               ;   in Loop: Header=BB166_71 Depth=2
	v_mov_b32_e32 v74, 0
	v_dual_mov_b32 v75, 0 :: v_dual_mov_b32 v72, 0
	v_mov_b32_e32 v73, 0
	s_mov_b32 s102, exec_lo
	v_cmpx_gt_i32_e64 s101, v111
	s_cbranch_execz .LBB166_74
; %bb.73:                               ;   in Loop: Header=BB166_71 Depth=2
	flat_load_b64 v[72:73], v[0:1]
.LBB166_74:                             ;   in Loop: Header=BB166_71 Depth=2
	s_or_b32 exec_lo, exec_lo, s102
	v_or_b32_e32 v2, 1, v111
	s_mov_b32 s102, exec_lo
	s_delay_alu instid0(VALU_DEP_1)
	v_cmpx_gt_i32_e64 s101, v2
	s_cbranch_execz .LBB166_76
; %bb.75:                               ;   in Loop: Header=BB166_71 Depth=2
	v_add_co_u32 v2, vcc_lo, v166, v136
	s_wait_alu 0xfffd
	v_add_co_ci_u32_e64 v3, null, v167, v137, vcc_lo
	flat_load_b64 v[74:75], v[2:3]
.LBB166_76:                             ;   in Loop: Header=BB166_71 Depth=2
	s_or_b32 exec_lo, exec_lo, s102
	v_mov_b32_e32 v78, 0
	v_dual_mov_b32 v79, 0 :: v_dual_mov_b32 v76, 0
	v_or_b32_e32 v2, 2, v111
	v_mov_b32_e32 v77, 0
	s_mov_b32 s102, exec_lo
	s_delay_alu instid0(VALU_DEP_2)
	v_cmpx_gt_i32_e64 s101, v2
	s_cbranch_execz .LBB166_78
; %bb.77:                               ;   in Loop: Header=BB166_71 Depth=2
	v_add_co_u32 v2, vcc_lo, v168, v136
	s_wait_alu 0xfffd
	v_add_co_ci_u32_e64 v3, null, v169, v137, vcc_lo
	flat_load_b64 v[76:77], v[2:3]
.LBB166_78:                             ;   in Loop: Header=BB166_71 Depth=2
	s_or_b32 exec_lo, exec_lo, s102
	v_or_b32_e32 v2, 3, v111
	s_mov_b32 s102, exec_lo
	s_delay_alu instid0(VALU_DEP_1)
	v_cmpx_gt_i32_e64 s101, v2
	s_cbranch_execz .LBB166_80
; %bb.79:                               ;   in Loop: Header=BB166_71 Depth=2
	v_add_co_u32 v2, vcc_lo, v170, v136
	s_wait_alu 0xfffd
	v_add_co_ci_u32_e64 v3, null, v171, v137, vcc_lo
	flat_load_b64 v[78:79], v[2:3]
.LBB166_80:                             ;   in Loop: Header=BB166_71 Depth=2
	s_or_b32 exec_lo, exec_lo, s102
	s_mov_b32 s102, 0
.LBB166_81:                             ;   in Loop: Header=BB166_71 Depth=2
	s_delay_alu instid0(SALU_CYCLE_1)
	s_and_b32 vcc_lo, exec_lo, s102
	s_wait_alu 0xfffe
	s_cbranch_vccz .LBB166_83
; %bb.82:                               ;   in Loop: Header=BB166_71 Depth=2
	v_add_co_u32 v2, vcc_lo, v166, v136
	s_wait_alu 0xfffd
	v_add_co_ci_u32_e64 v3, null, v167, v137, vcc_lo
	v_add_co_u32 v4, vcc_lo, v162, v136
	s_wait_alu 0xfffd
	v_add_co_ci_u32_e64 v5, null, v163, v137, vcc_lo
	;; [unrolled: 3-line block ×3, first 2 shown]
	s_wait_loadcnt_dscnt 0x0
	flat_load_b64 v[72:73], v[0:1]
	flat_load_b64 v[74:75], v[2:3]
	;; [unrolled: 1-line block ×4, first 2 shown]
.LBB166_83:                             ;   in Loop: Header=BB166_71 Depth=2
	ds_load_b64 v[4:5], v106
	ds_load_b128 v[0:3], v113
	v_cndmask_b32_e64 v40, 0, 1, s18
                                        ; implicit-def: $vgpr86_vgpr87
                                        ; implicit-def: $vgpr84_vgpr85
                                        ; implicit-def: $vgpr82_vgpr83
                                        ; implicit-def: $vgpr80_vgpr81
	s_wait_loadcnt_dscnt 0x1
	v_mul_f64_e32 v[8:9], v[72:73], v[4:5]
	v_mul_f64_e32 v[10:11], v[74:75], v[4:5]
	;; [unrolled: 1-line block ×4, first 2 shown]
	ds_load_b128 v[4:7], v113 offset:16
	ds_store_2addr_b64 v114, v[8:9], v[10:11] offset1:67
	ds_store_2addr_b64 v114, v[12:13], v[14:15] offset0:134 offset1:201
	s_wait_dscnt 0x0
	s_barrier_signal -1
	s_barrier_wait -1
	global_inv scope:SCOPE_SE
	ds_load_2addr_b64 v[16:19], v115 offset1:1
	ds_load_2addr_b64 v[8:11], v115 offset0:2 offset1:3
	v_add_co_u32 v12, vcc_lo, v178, v136
	s_wait_alu 0xfffd
	v_add_co_ci_u32_e64 v13, null, v179, v137, vcc_lo
	s_and_not1_b32 vcc_lo, exec_lo, s18
	s_mov_b32 s18, -1
	s_wait_loadcnt_dscnt 0x0
	s_barrier_signal -1
	s_barrier_wait -1
	global_inv scope:SCOPE_SE
	s_wait_alu 0xfffe
	s_cbranch_vccnz .LBB166_93
; %bb.84:                               ;   in Loop: Header=BB166_71 Depth=2
	v_mov_b32_e32 v82, 0
	v_dual_mov_b32 v83, 0 :: v_dual_mov_b32 v80, 0
	v_mov_b32_e32 v81, 0
	s_mov_b32 s18, exec_lo
	v_cmpx_gt_i32_e64 s101, v118
	s_cbranch_execz .LBB166_86
; %bb.85:                               ;   in Loop: Header=BB166_71 Depth=2
	flat_load_b64 v[80:81], v[12:13]
.LBB166_86:                             ;   in Loop: Header=BB166_71 Depth=2
	s_wait_alu 0xfffe
	s_or_b32 exec_lo, exec_lo, s18
	s_delay_alu instid0(SALU_CYCLE_1)
	s_mov_b32 s18, exec_lo
	v_cmpx_gt_i32_e64 s101, v119
	s_cbranch_execz .LBB166_88
; %bb.87:                               ;   in Loop: Header=BB166_71 Depth=2
	v_add_co_u32 v14, vcc_lo, v176, v136
	s_wait_alu 0xfffd
	v_add_co_ci_u32_e64 v15, null, v177, v137, vcc_lo
	flat_load_b64 v[82:83], v[14:15]
.LBB166_88:                             ;   in Loop: Header=BB166_71 Depth=2
	s_wait_alu 0xfffe
	s_or_b32 exec_lo, exec_lo, s18
	v_mov_b32_e32 v86, 0
	v_dual_mov_b32 v87, 0 :: v_dual_mov_b32 v84, 0
	v_mov_b32_e32 v85, 0
	s_mov_b32 s18, exec_lo
	v_cmpx_gt_i32_e64 s101, v120
	s_cbranch_execz .LBB166_90
; %bb.89:                               ;   in Loop: Header=BB166_71 Depth=2
	v_add_co_u32 v14, vcc_lo, v180, v136
	s_wait_alu 0xfffd
	v_add_co_ci_u32_e64 v15, null, v181, v137, vcc_lo
	flat_load_b64 v[84:85], v[14:15]
.LBB166_90:                             ;   in Loop: Header=BB166_71 Depth=2
	s_wait_alu 0xfffe
	s_or_b32 exec_lo, exec_lo, s18
	s_delay_alu instid0(SALU_CYCLE_1)
	s_mov_b32 s18, exec_lo
	v_cmpx_gt_i32_e64 s101, v121
	s_cbranch_execz .LBB166_92
; %bb.91:                               ;   in Loop: Header=BB166_71 Depth=2
	v_add_co_u32 v14, vcc_lo, v182, v136
	s_wait_alu 0xfffd
	v_add_co_ci_u32_e64 v15, null, v183, v137, vcc_lo
	flat_load_b64 v[86:87], v[14:15]
.LBB166_92:                             ;   in Loop: Header=BB166_71 Depth=2
	s_wait_alu 0xfffe
	s_or_b32 exec_lo, exec_lo, s18
	s_mov_b32 s18, 0
.LBB166_93:                             ;   in Loop: Header=BB166_71 Depth=2
	s_wait_alu 0xfffe
	s_and_b32 vcc_lo, exec_lo, s18
	s_wait_alu 0xfffe
	s_cbranch_vccz .LBB166_95
; %bb.94:                               ;   in Loop: Header=BB166_71 Depth=2
	v_add_co_u32 v14, vcc_lo, v176, v136
	s_wait_alu 0xfffd
	v_add_co_ci_u32_e64 v15, null, v177, v137, vcc_lo
	v_add_co_u32 v20, vcc_lo, v172, v136
	s_wait_alu 0xfffd
	v_add_co_ci_u32_e64 v21, null, v173, v137, vcc_lo
	;; [unrolled: 3-line block ×3, first 2 shown]
	s_wait_loadcnt_dscnt 0x0
	flat_load_b64 v[80:81], v[12:13]
	flat_load_b64 v[82:83], v[14:15]
	flat_load_b64 v[84:85], v[20:21]
	flat_load_b64 v[86:87], v[22:23]
.LBB166_95:                             ;   in Loop: Header=BB166_71 Depth=2
	ds_load_b64 v[20:21], v106
	ds_load_b128 v[12:15], v113 offset:128
	v_cmp_ne_u32_e32 vcc_lo, 1, v40
                                        ; implicit-def: $vgpr94_vgpr95
                                        ; implicit-def: $vgpr92_vgpr93
                                        ; implicit-def: $vgpr90_vgpr91
                                        ; implicit-def: $vgpr88_vgpr89
	s_and_b32 vcc_lo, exec_lo, vcc_lo
	s_wait_loadcnt_dscnt 0x1
	v_mul_f64_e32 v[24:25], v[80:81], v[20:21]
	v_mul_f64_e32 v[26:27], v[82:83], v[20:21]
	;; [unrolled: 1-line block ×4, first 2 shown]
	ds_load_b128 v[20:23], v113 offset:144
	ds_store_2addr_b64 v114, v[24:25], v[26:27] offset1:67
	ds_store_2addr_b64 v114, v[28:29], v[30:31] offset0:134 offset1:201
	s_wait_dscnt 0x0
	s_barrier_signal -1
	s_barrier_wait -1
	global_inv scope:SCOPE_SE
	ds_load_2addr_b64 v[36:39], v115 offset1:1
	ds_load_2addr_b64 v[24:27], v115 offset0:2 offset1:3
	v_add_co_u32 v28, s18, v190, v136
	s_wait_alu 0xf1ff
	v_add_co_ci_u32_e64 v29, null, v191, v137, s18
	s_mov_b32 s18, -1
	s_wait_loadcnt_dscnt 0x0
	s_barrier_signal -1
	s_barrier_wait -1
	global_inv scope:SCOPE_SE
	s_wait_alu 0xfffe
	s_cbranch_vccnz .LBB166_105
; %bb.96:                               ;   in Loop: Header=BB166_71 Depth=2
	v_mov_b32_e32 v90, 0
	v_dual_mov_b32 v91, 0 :: v_dual_mov_b32 v88, 0
	v_mov_b32_e32 v89, 0
	s_mov_b32 s18, exec_lo
	v_cmpx_gt_i32_e64 s101, v122
	s_cbranch_execz .LBB166_98
; %bb.97:                               ;   in Loop: Header=BB166_71 Depth=2
	flat_load_b64 v[88:89], v[28:29]
.LBB166_98:                             ;   in Loop: Header=BB166_71 Depth=2
	s_wait_alu 0xfffe
	s_or_b32 exec_lo, exec_lo, s18
	s_delay_alu instid0(SALU_CYCLE_1)
	s_mov_b32 s18, exec_lo
	v_cmpx_gt_i32_e64 s101, v123
	s_cbranch_execz .LBB166_100
; %bb.99:                               ;   in Loop: Header=BB166_71 Depth=2
	v_add_co_u32 v30, vcc_lo, v188, v136
	s_wait_alu 0xfffd
	v_add_co_ci_u32_e64 v31, null, v189, v137, vcc_lo
	flat_load_b64 v[90:91], v[30:31]
.LBB166_100:                            ;   in Loop: Header=BB166_71 Depth=2
	s_wait_alu 0xfffe
	s_or_b32 exec_lo, exec_lo, s18
	v_mov_b32_e32 v94, 0
	v_dual_mov_b32 v95, 0 :: v_dual_mov_b32 v92, 0
	v_mov_b32_e32 v93, 0
	s_mov_b32 s18, exec_lo
	v_cmpx_gt_i32_e64 s101, v124
	s_cbranch_execz .LBB166_102
; %bb.101:                              ;   in Loop: Header=BB166_71 Depth=2
	v_add_co_u32 v30, vcc_lo, v192, v136
	s_wait_alu 0xfffd
	v_add_co_ci_u32_e64 v31, null, v193, v137, vcc_lo
	flat_load_b64 v[92:93], v[30:31]
.LBB166_102:                            ;   in Loop: Header=BB166_71 Depth=2
	s_wait_alu 0xfffe
	s_or_b32 exec_lo, exec_lo, s18
	s_delay_alu instid0(SALU_CYCLE_1)
	s_mov_b32 s18, exec_lo
	v_cmpx_gt_i32_e64 s101, v125
	s_cbranch_execz .LBB166_104
; %bb.103:                              ;   in Loop: Header=BB166_71 Depth=2
	v_add_co_u32 v30, vcc_lo, v194, v136
	s_wait_alu 0xfffd
	v_add_co_ci_u32_e64 v31, null, v195, v137, vcc_lo
	flat_load_b64 v[94:95], v[30:31]
.LBB166_104:                            ;   in Loop: Header=BB166_71 Depth=2
	s_wait_alu 0xfffe
	s_or_b32 exec_lo, exec_lo, s18
	s_mov_b32 s18, 0
.LBB166_105:                            ;   in Loop: Header=BB166_71 Depth=2
	s_wait_alu 0xfffe
	s_and_b32 vcc_lo, exec_lo, s18
	s_wait_alu 0xfffe
	s_cbranch_vccz .LBB166_107
; %bb.106:                              ;   in Loop: Header=BB166_71 Depth=2
	v_add_co_u32 v30, vcc_lo, v188, v136
	s_wait_alu 0xfffd
	v_add_co_ci_u32_e64 v31, null, v189, v137, vcc_lo
	v_add_co_u32 v32, vcc_lo, v184, v136
	s_wait_alu 0xfffd
	v_add_co_ci_u32_e64 v33, null, v185, v137, vcc_lo
	;; [unrolled: 3-line block ×3, first 2 shown]
	s_wait_loadcnt_dscnt 0x0
	flat_load_b64 v[88:89], v[28:29]
	flat_load_b64 v[90:91], v[30:31]
	;; [unrolled: 1-line block ×4, first 2 shown]
.LBB166_107:                            ;   in Loop: Header=BB166_71 Depth=2
	ds_load_b64 v[32:33], v106
	ds_load_b128 v[28:31], v113 offset:256
	v_cmp_ne_u32_e32 vcc_lo, 1, v40
	v_add_co_u32 v40, s18, v202, v134
                                        ; implicit-def: $vgpr96_vgpr97
                                        ; implicit-def: $vgpr102_vgpr103
                                        ; implicit-def: $vgpr100_vgpr101
                                        ; implicit-def: $vgpr98_vgpr99
	s_and_b32 vcc_lo, exec_lo, vcc_lo
	s_wait_loadcnt_dscnt 0x1
	v_mul_f64_e32 v[41:42], v[88:89], v[32:33]
	v_mul_f64_e32 v[43:44], v[90:91], v[32:33]
	;; [unrolled: 1-line block ×4, first 2 shown]
	ds_load_b128 v[32:35], v113 offset:272
	ds_store_2addr_b64 v114, v[41:42], v[43:44] offset1:67
	ds_store_2addr_b64 v114, v[45:46], v[47:48] offset0:134 offset1:201
	s_wait_dscnt 0x0
	s_barrier_signal -1
	s_barrier_wait -1
	global_inv scope:SCOPE_SE
	ds_load_2addr_b64 v[48:51], v115 offset1:1
	ds_load_2addr_b64 v[44:47], v115 offset0:2 offset1:3
	s_wait_alu 0xf1ff
	v_add_co_ci_u32_e64 v41, null, v203, v135, s18
	s_mov_b32 s18, -1
	s_wait_loadcnt_dscnt 0x0
	s_barrier_signal -1
	s_barrier_wait -1
	global_inv scope:SCOPE_SE
	s_wait_alu 0xfffe
	s_cbranch_vccnz .LBB166_117
; %bb.108:                              ;   in Loop: Header=BB166_71 Depth=2
	v_mov_b32_e32 v100, 0
	v_dual_mov_b32 v101, 0 :: v_dual_mov_b32 v98, 0
	v_mov_b32_e32 v99, 0
	s_mov_b32 s18, exec_lo
	v_cmpx_gt_i32_e64 s101, v126
	s_cbranch_execz .LBB166_110
; %bb.109:                              ;   in Loop: Header=BB166_71 Depth=2
	flat_load_b64 v[98:99], v[40:41]
.LBB166_110:                            ;   in Loop: Header=BB166_71 Depth=2
	s_wait_alu 0xfffe
	s_or_b32 exec_lo, exec_lo, s18
	s_delay_alu instid0(SALU_CYCLE_1)
	s_mov_b32 s18, exec_lo
	v_cmpx_gt_i32_e64 s101, v127
	s_cbranch_execz .LBB166_112
; %bb.111:                              ;   in Loop: Header=BB166_71 Depth=2
	v_add_co_u32 v42, vcc_lo, v200, v134
	s_wait_alu 0xfffd
	v_add_co_ci_u32_e64 v43, null, v201, v135, vcc_lo
	flat_load_b64 v[100:101], v[42:43]
.LBB166_112:                            ;   in Loop: Header=BB166_71 Depth=2
	s_wait_alu 0xfffe
	s_or_b32 exec_lo, exec_lo, s18
	v_mov_b32_e32 v96, 0
	v_dual_mov_b32 v97, 0 :: v_dual_mov_b32 v102, 0
	v_mov_b32_e32 v103, 0
	s_mov_b32 s18, exec_lo
	v_cmpx_gt_i32_e64 s101, v128
	s_cbranch_execz .LBB166_114
; %bb.113:                              ;   in Loop: Header=BB166_71 Depth=2
	v_add_co_u32 v42, vcc_lo, v204, v134
	s_wait_alu 0xfffd
	v_add_co_ci_u32_e64 v43, null, v205, v135, vcc_lo
	flat_load_b64 v[102:103], v[42:43]
.LBB166_114:                            ;   in Loop: Header=BB166_71 Depth=2
	s_wait_alu 0xfffe
	s_or_b32 exec_lo, exec_lo, s18
	s_delay_alu instid0(SALU_CYCLE_1)
	s_mov_b32 s18, exec_lo
	v_cmpx_gt_i32_e64 s101, v129
	s_cbranch_execz .LBB166_116
; %bb.115:                              ;   in Loop: Header=BB166_71 Depth=2
	v_add_co_u32 v42, vcc_lo, v206, v134
	s_wait_alu 0xfffd
	v_add_co_ci_u32_e64 v43, null, v207, v135, vcc_lo
	flat_load_b64 v[96:97], v[42:43]
.LBB166_116:                            ;   in Loop: Header=BB166_71 Depth=2
	s_wait_alu 0xfffe
	s_or_b32 exec_lo, exec_lo, s18
	s_mov_b32 s18, 0
.LBB166_117:                            ;   in Loop: Header=BB166_71 Depth=2
	s_wait_alu 0xfffe
	s_and_b32 vcc_lo, exec_lo, s18
	s_wait_alu 0xfffe
	s_cbranch_vccz .LBB166_119
; %bb.118:                              ;   in Loop: Header=BB166_71 Depth=2
	v_add_co_u32 v42, vcc_lo, v200, v134
	s_wait_alu 0xfffd
	v_add_co_ci_u32_e64 v43, null, v201, v135, vcc_lo
	v_add_co_u32 v52, vcc_lo, v196, v134
	s_wait_alu 0xfffd
	v_add_co_ci_u32_e64 v53, null, v197, v135, vcc_lo
	v_add_co_u32 v54, vcc_lo, v198, v134
	s_wait_alu 0xfffd
	v_add_co_ci_u32_e64 v55, null, v199, v135, vcc_lo
	s_wait_loadcnt_dscnt 0x0
	flat_load_b64 v[98:99], v[40:41]
	flat_load_b64 v[100:101], v[42:43]
	;; [unrolled: 1-line block ×4, first 2 shown]
.LBB166_119:                            ;   in Loop: Header=BB166_71 Depth=2
	ds_load_b64 v[40:41], v106
	v_add_f64_e32 v[36:37], 0, v[36:37]
	v_add_f64_e32 v[16:17], 0, v[16:17]
	v_add_f64_e32 v[48:49], 0, v[48:49]
	v_cmp_gt_i32_e32 vcc_lo, s101, v56
	s_or_b32 s18, s91, vcc_lo
	s_wait_alu 0xfffe
	s_and_b32 s91, s17, s18
	s_wait_loadcnt_dscnt 0x0
	v_mul_f64_e32 v[208:209], v[98:99], v[40:41]
	v_mul_f64_e32 v[210:211], v[100:101], v[40:41]
	;; [unrolled: 1-line block ×4, first 2 shown]
	ds_load_b128 v[52:55], v113 offset:384
	ds_load_b128 v[40:43], v113 offset:400
	ds_store_2addr_b64 v114, v[208:209], v[210:211] offset1:67
	ds_store_2addr_b64 v114, v[212:213], v[214:215] offset0:134 offset1:201
	s_wait_dscnt 0x0
	s_barrier_signal -1
	s_barrier_wait -1
	global_inv scope:SCOPE_SE
	ds_load_2addr_b64 v[208:211], v115 offset1:1
	v_add_f64_e32 v[36:37], v[36:37], v[38:39]
	v_add_f64_e32 v[38:39], v[16:17], v[18:19]
	ds_load_2addr_b64 v[16:19], v115 offset0:2 offset1:3
	v_add_f64_e32 v[48:49], v[48:49], v[50:51]
	s_wait_loadcnt_dscnt 0x0
	s_barrier_signal -1
	s_barrier_wait -1
	global_inv scope:SCOPE_SE
	v_add_f64_e32 v[208:209], 0, v[208:209]
	v_add_f64_e32 v[24:25], v[36:37], v[24:25]
	;; [unrolled: 1-line block ×4, first 2 shown]
	s_delay_alu instid0(VALU_DEP_4) | instskip(NEXT) | instid1(VALU_DEP_4)
	v_add_f64_e32 v[50:51], v[208:209], v[210:211]
	v_add_f64_e32 v[24:25], v[24:25], v[26:27]
	s_delay_alu instid0(VALU_DEP_4) | instskip(NEXT) | instid1(VALU_DEP_4)
	v_add_f64_e32 v[8:9], v[8:9], v[10:11]
	v_add_f64_e32 v[36:37], v[44:45], v[46:47]
	s_delay_alu instid0(VALU_DEP_4) | instskip(NEXT) | instid1(VALU_DEP_1)
	v_add_f64_e32 v[16:17], v[50:51], v[16:17]
	v_add_f64_e32 v[10:11], v[16:17], v[18:19]
	ds_store_2addr_b64 v156, v[8:9], v[24:25] offset1:16
	ds_store_2addr_b64 v156, v[36:37], v[10:11] offset0:32 offset1:48
	s_wait_loadcnt_dscnt 0x0
	s_barrier_signal -1
	s_barrier_wait -1
	global_inv scope:SCOPE_SE
	s_wait_alu 0xfffe
	s_and_saveexec_b32 s18, s91
	s_cbranch_execz .LBB166_121
; %bb.120:                              ;   in Loop: Header=BB166_71 Depth=2
	ds_load_2addr_b64 v[8:11], v116 offset1:1
	ds_load_2addr_b64 v[16:19], v116 offset0:2 offset1:3
	v_ashrrev_i32_e32 v71, 31, v70
	s_wait_dscnt 0x1
	v_add_f64_e32 v[8:9], v[8:9], v[10:11]
	s_wait_dscnt 0x0
	s_delay_alu instid0(VALU_DEP_1) | instskip(NEXT) | instid1(VALU_DEP_1)
	v_add_f64_e32 v[8:9], v[8:9], v[16:17]
	v_add_f64_e32 v[24:25], v[8:9], v[18:19]
	ds_load_2addr_b64 v[8:11], v116 offset0:4 offset1:5
	ds_load_2addr_b64 v[16:19], v116 offset0:6 offset1:7
	s_wait_dscnt 0x1
	v_add_f64_e32 v[8:9], v[24:25], v[8:9]
	s_delay_alu instid0(VALU_DEP_1) | instskip(SKIP_1) | instid1(VALU_DEP_1)
	v_add_f64_e32 v[8:9], v[8:9], v[10:11]
	s_wait_dscnt 0x0
	v_add_f64_e32 v[8:9], v[8:9], v[16:17]
	s_delay_alu instid0(VALU_DEP_1) | instskip(SKIP_4) | instid1(VALU_DEP_1)
	v_add_f64_e32 v[24:25], v[8:9], v[18:19]
	ds_load_2addr_b64 v[8:11], v116 offset0:8 offset1:9
	ds_load_2addr_b64 v[16:19], v116 offset0:10 offset1:11
	s_wait_dscnt 0x1
	v_add_f64_e32 v[8:9], v[24:25], v[8:9]
	v_add_f64_e32 v[8:9], v[8:9], v[10:11]
	s_wait_dscnt 0x0
	s_delay_alu instid0(VALU_DEP_1) | instskip(NEXT) | instid1(VALU_DEP_1)
	v_add_f64_e32 v[8:9], v[8:9], v[16:17]
	v_add_f64_e32 v[16:17], v[8:9], v[18:19]
	ds_load_2addr_b64 v[8:11], v116 offset0:12 offset1:13
	ds_load_b64 v[18:19], v116 offset:112
	s_wait_dscnt 0x1
	v_add_f64_e32 v[8:9], v[16:17], v[8:9]
	s_delay_alu instid0(VALU_DEP_1) | instskip(SKIP_4) | instid1(VALU_DEP_1)
	v_add_f64_e32 v[8:9], v[8:9], v[10:11]
	ds_load_b64 v[10:11], v117
	s_wait_dscnt 0x1
	v_add_f64_e32 v[8:9], v[8:9], v[18:19]
	s_wait_dscnt 0x0
	v_add_f64_e32 v[8:9], v[8:9], v[10:11]
	v_lshlrev_b64_e32 v[10:11], 3, v[70:71]
	s_delay_alu instid0(VALU_DEP_1) | instskip(SKIP_1) | instid1(VALU_DEP_2)
	v_add_co_u32 v10, vcc_lo, s88, v10
	s_wait_alu 0xfffd
	v_add_co_ci_u32_e64 v11, null, s89, v11, vcc_lo
	global_store_b64 v[10:11], v[8:9], off
.LBB166_121:                            ;   in Loop: Header=BB166_71 Depth=2
	s_wait_alu 0xfffe
	s_or_b32 exec_lo, exec_lo, s18
	v_fma_f64 v[0:1], v[72:73], v[0:1], v[68:69]
	v_add_co_u32 v162, vcc_lo, v162, s52
	s_wait_alu 0xfffd
	v_add_co_ci_u32_e64 v163, null, s53, v163, vcc_lo
	v_add_co_u32 v164, vcc_lo, v164, s52
	s_wait_alu 0xfffd
	v_add_co_ci_u32_e64 v165, null, s53, v165, vcc_lo
	;; [unrolled: 3-line block ×9, first 2 shown]
	v_add_co_u32 v178, vcc_lo, v178, s52
	v_fma_f64 v[0:1], v[74:75], v[2:3], v[0:1]
	s_wait_alu 0xfffd
	v_add_co_ci_u32_e64 v179, null, s53, v179, vcc_lo
	v_add_co_u32 v180, vcc_lo, v180, s52
	s_wait_alu 0xfffd
	v_add_co_ci_u32_e64 v181, null, s53, v181, vcc_lo
	v_add_co_u32 v182, vcc_lo, v182, s52
	;; [unrolled: 3-line block ×9, first 2 shown]
	s_wait_alu 0xfffd
	v_add_co_ci_u32_e64 v197, null, s53, v197, vcc_lo
	v_fma_f64 v[0:1], v[76:77], v[4:5], v[0:1]
	v_add_co_u32 v198, vcc_lo, v198, s52
	s_wait_alu 0xfffd
	v_add_co_ci_u32_e64 v199, null, s53, v199, vcc_lo
	v_add_co_u32 v200, vcc_lo, v200, s52
	s_wait_alu 0xfffd
	v_add_co_ci_u32_e64 v201, null, s53, v201, vcc_lo
	;; [unrolled: 3-line block ×4, first 2 shown]
	v_add_co_u32 v206, vcc_lo, v206, s52
	v_add_nc_u32_e32 v70, 64, v70
	s_wait_alu 0xfffd
	v_add_co_ci_u32_e64 v207, null, s53, v207, vcc_lo
	s_add_co_i32 s18, s19, 1
	s_add_co_i32 s19, s19, 2
	;; [unrolled: 1-line block ×3, first 2 shown]
	s_wait_alu 0xfffe
	s_cmp_ge_u32 s19, s30
	s_wait_loadcnt 0x0
	s_wait_storecnt 0x0
	s_barrier_signal -1
	s_barrier_wait -1
	global_inv scope:SCOPE_SE
	v_fma_f64 v[0:1], v[78:79], v[6:7], v[0:1]
	s_delay_alu instid0(VALU_DEP_1) | instskip(NEXT) | instid1(VALU_DEP_1)
	v_fma_f64 v[0:1], v[80:81], v[12:13], v[0:1]
	v_fma_f64 v[0:1], v[82:83], v[14:15], v[0:1]
	s_delay_alu instid0(VALU_DEP_1) | instskip(NEXT) | instid1(VALU_DEP_1)
	v_fma_f64 v[0:1], v[84:85], v[20:21], v[0:1]
	;; [unrolled: 3-line block ×6, first 2 shown]
	v_fma_f64 v[68:69], v[96:97], v[42:43], v[0:1]
	s_cbranch_scc1 .LBB166_123
; %bb.122:                              ;   in Loop: Header=BB166_71 Depth=2
	s_mov_b32 s19, s18
	s_wait_alu 0xfffe
	s_cmp_eq_u32 s97, s19
	s_cselect_b32 s101, s31, 0
	s_and_saveexec_b32 s18, s0
	s_cbranch_execnz .LBB166_68
	s_branch .LBB166_71
.LBB166_123:                            ;   in Loop: Header=BB166_4 Depth=1
	ds_store_b64 v130, v[68:69]
	s_wait_loadcnt_dscnt 0x0
	s_barrier_signal -1
	s_barrier_wait -1
	global_inv scope:SCOPE_SE
	s_and_saveexec_b32 s18, s99
	s_cbranch_execz .LBB166_2
; %bb.124:                              ;   in Loop: Header=BB166_4 Depth=1
	ds_load_2addr_b64 v[0:3], v105 offset1:67
	s_wait_dscnt 0x0
	v_add_f64_e32 v[4:5], v[0:1], v[2:3]
	ds_load_2addr_b64 v[0:3], v105 offset0:134 offset1:201
	s_wait_dscnt 0x0
	v_add_f64_e32 v[0:1], v[4:5], v[0:1]
	s_delay_alu instid0(VALU_DEP_1)
	v_add_f64_e32 v[0:1], v[0:1], v[2:3]
	s_wait_alu 0xfffe
	v_add_co_u32 v2, vcc_lo, s88, v66
	s_wait_alu 0xfffd
	v_add_co_ci_u32_e64 v3, null, s89, v67, vcc_lo
	global_store_b64 v[2:3], v[0:1], off
	s_branch .LBB166_2
.LBB166_125:                            ;   in Loop: Header=BB166_4 Depth=1
	ds_load_b64 v[2:3], v154
	s_wait_dscnt 0x0
	ds_store_b64 v108, v[2:3]
	s_wait_alu 0xfffe
	s_or_b32 exec_lo, exec_lo, s18
	s_and_saveexec_b32 s18, s7
	s_cbranch_execz .LBB166_26
.LBB166_126:                            ;   in Loop: Header=BB166_4 Depth=1
	ds_load_b64 v[2:3], v155
	s_wait_dscnt 0x0
	ds_store_b64 v108, v[2:3] offset:8
	s_wait_alu 0xfffe
	s_or_b32 exec_lo, exec_lo, s18
	s_and_saveexec_b32 s18, s8
	s_cbranch_execz .LBB166_27
.LBB166_127:                            ;   in Loop: Header=BB166_4 Depth=1
	ds_load_b64 v[2:3], v155 offset:264
	s_wait_dscnt 0x0
	ds_store_b64 v108, v[2:3] offset:16
	s_wait_alu 0xfffe
	s_or_b32 exec_lo, exec_lo, s18
	s_and_saveexec_b32 s18, s9
	s_cbranch_execnz .LBB166_28
	s_branch .LBB166_29
.LBB166_128:                            ;   in Loop: Header=BB166_4 Depth=1
	ds_load_b64 v[2:3], v154
	s_wait_dscnt 0x0
	ds_store_b64 v108, v[2:3]
	s_wait_alu 0xfffe
	s_or_b32 exec_lo, exec_lo, s18
	s_and_saveexec_b32 s18, s7
	s_cbranch_execz .LBB166_45
.LBB166_129:                            ;   in Loop: Header=BB166_4 Depth=1
	ds_load_b64 v[2:3], v155
	s_wait_dscnt 0x0
	ds_store_b64 v108, v[2:3] offset:8
	s_wait_alu 0xfffe
	s_or_b32 exec_lo, exec_lo, s18
	s_and_saveexec_b32 s18, s8
	s_cbranch_execz .LBB166_46
.LBB166_130:                            ;   in Loop: Header=BB166_4 Depth=1
	ds_load_b64 v[2:3], v155 offset:264
	s_wait_dscnt 0x0
	ds_store_b64 v108, v[2:3] offset:16
	s_wait_alu 0xfffe
	s_or_b32 exec_lo, exec_lo, s18
	s_and_saveexec_b32 s18, s9
	s_cbranch_execnz .LBB166_47
	s_branch .LBB166_48
.LBB166_131:
	s_nop 0
	s_sendmsg sendmsg(MSG_DEALLOC_VGPRS)
	s_endpgm
	.section	.rodata,"a",@progbits
	.p2align	6, 0x0
	.amdhsa_kernel _ZL26rocblas_hemvn_kernel_upperILb0ELi64ELi4ELi33ELi32ELi16EidPKPKdPdEviT6_lT7_lT5_lS6_lS7_lS5_lT8_i
		.amdhsa_group_segment_fixed_size 9600
		.amdhsa_private_segment_fixed_size 0
		.amdhsa_kernarg_size 376
		.amdhsa_user_sgpr_count 2
		.amdhsa_user_sgpr_dispatch_ptr 0
		.amdhsa_user_sgpr_queue_ptr 0
		.amdhsa_user_sgpr_kernarg_segment_ptr 1
		.amdhsa_user_sgpr_dispatch_id 0
		.amdhsa_user_sgpr_private_segment_size 0
		.amdhsa_wavefront_size32 1
		.amdhsa_uses_dynamic_stack 0
		.amdhsa_enable_private_segment 0
		.amdhsa_system_sgpr_workgroup_id_x 1
		.amdhsa_system_sgpr_workgroup_id_y 0
		.amdhsa_system_sgpr_workgroup_id_z 1
		.amdhsa_system_sgpr_workgroup_info 0
		.amdhsa_system_vgpr_workitem_id 1
		.amdhsa_next_free_vgpr 216
		.amdhsa_next_free_sgpr 103
		.amdhsa_reserve_vcc 1
		.amdhsa_float_round_mode_32 0
		.amdhsa_float_round_mode_16_64 0
		.amdhsa_float_denorm_mode_32 3
		.amdhsa_float_denorm_mode_16_64 3
		.amdhsa_fp16_overflow 0
		.amdhsa_workgroup_processor_mode 1
		.amdhsa_memory_ordered 1
		.amdhsa_forward_progress 1
		.amdhsa_inst_pref_size 75
		.amdhsa_round_robin_scheduling 0
		.amdhsa_exception_fp_ieee_invalid_op 0
		.amdhsa_exception_fp_denorm_src 0
		.amdhsa_exception_fp_ieee_div_zero 0
		.amdhsa_exception_fp_ieee_overflow 0
		.amdhsa_exception_fp_ieee_underflow 0
		.amdhsa_exception_fp_ieee_inexact 0
		.amdhsa_exception_int_div_zero 0
	.end_amdhsa_kernel
	.section	.text._ZL26rocblas_hemvn_kernel_upperILb0ELi64ELi4ELi33ELi32ELi16EidPKPKdPdEviT6_lT7_lT5_lS6_lS7_lS5_lT8_i,"axG",@progbits,_ZL26rocblas_hemvn_kernel_upperILb0ELi64ELi4ELi33ELi32ELi16EidPKPKdPdEviT6_lT7_lT5_lS6_lS7_lS5_lT8_i,comdat
.Lfunc_end166:
	.size	_ZL26rocblas_hemvn_kernel_upperILb0ELi64ELi4ELi33ELi32ELi16EidPKPKdPdEviT6_lT7_lT5_lS6_lS7_lS5_lT8_i, .Lfunc_end166-_ZL26rocblas_hemvn_kernel_upperILb0ELi64ELi4ELi33ELi32ELi16EidPKPKdPdEviT6_lT7_lT5_lS6_lS7_lS5_lT8_i
                                        ; -- End function
	.set _ZL26rocblas_hemvn_kernel_upperILb0ELi64ELi4ELi33ELi32ELi16EidPKPKdPdEviT6_lT7_lT5_lS6_lS7_lS5_lT8_i.num_vgpr, 216
	.set _ZL26rocblas_hemvn_kernel_upperILb0ELi64ELi4ELi33ELi32ELi16EidPKPKdPdEviT6_lT7_lT5_lS6_lS7_lS5_lT8_i.num_agpr, 0
	.set _ZL26rocblas_hemvn_kernel_upperILb0ELi64ELi4ELi33ELi32ELi16EidPKPKdPdEviT6_lT7_lT5_lS6_lS7_lS5_lT8_i.numbered_sgpr, 103
	.set _ZL26rocblas_hemvn_kernel_upperILb0ELi64ELi4ELi33ELi32ELi16EidPKPKdPdEviT6_lT7_lT5_lS6_lS7_lS5_lT8_i.num_named_barrier, 0
	.set _ZL26rocblas_hemvn_kernel_upperILb0ELi64ELi4ELi33ELi32ELi16EidPKPKdPdEviT6_lT7_lT5_lS6_lS7_lS5_lT8_i.private_seg_size, 0
	.set _ZL26rocblas_hemvn_kernel_upperILb0ELi64ELi4ELi33ELi32ELi16EidPKPKdPdEviT6_lT7_lT5_lS6_lS7_lS5_lT8_i.uses_vcc, 1
	.set _ZL26rocblas_hemvn_kernel_upperILb0ELi64ELi4ELi33ELi32ELi16EidPKPKdPdEviT6_lT7_lT5_lS6_lS7_lS5_lT8_i.uses_flat_scratch, 1
	.set _ZL26rocblas_hemvn_kernel_upperILb0ELi64ELi4ELi33ELi32ELi16EidPKPKdPdEviT6_lT7_lT5_lS6_lS7_lS5_lT8_i.has_dyn_sized_stack, 0
	.set _ZL26rocblas_hemvn_kernel_upperILb0ELi64ELi4ELi33ELi32ELi16EidPKPKdPdEviT6_lT7_lT5_lS6_lS7_lS5_lT8_i.has_recursion, 0
	.set _ZL26rocblas_hemvn_kernel_upperILb0ELi64ELi4ELi33ELi32ELi16EidPKPKdPdEviT6_lT7_lT5_lS6_lS7_lS5_lT8_i.has_indirect_call, 0
	.section	.AMDGPU.csdata,"",@progbits
; Kernel info:
; codeLenInByte = 9536
; TotalNumSgprs: 105
; NumVgprs: 216
; ScratchSize: 0
; MemoryBound: 0
; FloatMode: 240
; IeeeMode: 1
; LDSByteSize: 9600 bytes/workgroup (compile time only)
; SGPRBlocks: 0
; VGPRBlocks: 26
; NumSGPRsForWavesPerEU: 105
; NumVGPRsForWavesPerEU: 216
; Occupancy: 7
; WaveLimiterHint : 1
; COMPUTE_PGM_RSRC2:SCRATCH_EN: 0
; COMPUTE_PGM_RSRC2:USER_SGPR: 2
; COMPUTE_PGM_RSRC2:TRAP_HANDLER: 0
; COMPUTE_PGM_RSRC2:TGID_X_EN: 1
; COMPUTE_PGM_RSRC2:TGID_Y_EN: 0
; COMPUTE_PGM_RSRC2:TGID_Z_EN: 1
; COMPUTE_PGM_RSRC2:TIDIG_COMP_CNT: 1
	.section	.text._ZL36rocblas_hemvn_kernel_upper_block_sumILi64EidPKPddEviT1_lS3_lT2_lT0_lPT3_i,"axG",@progbits,_ZL36rocblas_hemvn_kernel_upper_block_sumILi64EidPKPddEviT1_lS3_lT2_lT0_lPT3_i,comdat
	.globl	_ZL36rocblas_hemvn_kernel_upper_block_sumILi64EidPKPddEviT1_lS3_lT2_lT0_lPT3_i ; -- Begin function _ZL36rocblas_hemvn_kernel_upper_block_sumILi64EidPKPddEviT1_lS3_lT2_lT0_lPT3_i
	.p2align	8
	.type	_ZL36rocblas_hemvn_kernel_upper_block_sumILi64EidPKPddEviT1_lS3_lT2_lT0_lPT3_i,@function
_ZL36rocblas_hemvn_kernel_upper_block_sumILi64EidPKPddEviT1_lS3_lT2_lT0_lPT3_i: ; @_ZL36rocblas_hemvn_kernel_upper_block_sumILi64EidPKPddEviT1_lS3_lT2_lT0_lPT3_i
; %bb.0:
	s_load_b32 s18, s[0:1], 0x50
	s_lshr_b32 s2, ttmp7, 16
	s_wait_kmcnt 0x0
	s_cmp_ge_u32 s2, s18
	s_cbranch_scc1 .LBB167_25
; %bb.1:
	s_clause 0x4
	s_load_b64 s[8:9], s[0:1], 0x8
	s_load_b64 s[10:11], s[0:1], 0x18
	s_load_b32 s12, s[0:1], 0x38
	s_load_b32 s14, s[0:1], 0x0
	s_load_b64 s[16:17], s[0:1], 0x48
	v_lshl_or_b32 v0, ttmp9, 6, v0
	s_load_b128 s[4:7], s[0:1], 0x28
	s_delay_alu instid0(VALU_DEP_1) | instskip(NEXT) | instid1(VALU_DEP_1)
	v_ashrrev_i32_e32 v1, 31, v0
	v_lshlrev_b64_e32 v[1:2], 3, v[0:1]
	s_wait_kmcnt 0x0
	v_mul_lo_u32 v3, s12, v0
	v_cmp_neq_f64_e64 s3, s[8:9], 0
	v_cmp_neq_f64_e64 s21, s[10:11], 1.0
	v_cmp_eq_f64_e64 s19, s[10:11], 0
	s_add_nc_u64 s[12:13], s[0:1], 0x58
	v_cmp_eq_f64_e64 s1, s[8:9], 0
	v_cmp_neq_f64_e64 s20, s[10:11], 0
	v_cmp_gt_i32_e64 s0, s14, v0
	v_ashrrev_i32_e32 v4, 31, v3
	v_add_co_u32 v0, vcc_lo, s16, v1
	s_delay_alu instid0(VALU_DEP_1) | instskip(NEXT) | instid1(VALU_DEP_3)
	v_add_co_ci_u32_e64 v1, null, s17, v2, vcc_lo
	v_lshlrev_b64_e32 v[2:3], 3, v[3:4]
	s_ashr_i32 s15, s14, 31
	s_or_b32 s21, s3, s21
	s_cmp_gt_i32 ttmp9, -1
	s_mov_b32 s3, 0
	s_cselect_b32 s22, -1, 0
	s_add_co_i32 s23, ttmp9, 1
	s_wait_alu 0xfffe
	s_lshl_b64 s[14:15], s[14:15], 3
	s_lshl_b64 s[6:7], s[6:7], 3
	s_branch .LBB167_4
.LBB167_2:                              ;   in Loop: Header=BB167_4 Depth=1
	s_or_b32 exec_lo, exec_lo, s25
.LBB167_3:                              ;   in Loop: Header=BB167_4 Depth=1
	s_add_co_i32 s2, s2, 0x10000
	s_wait_alu 0xfffe
	s_cmp_lt_u32 s2, s18
	s_cbranch_scc0 .LBB167_25
.LBB167_4:                              ; =>This Loop Header: Depth=1
                                        ;     Child Loop BB167_16 Depth 2
	s_and_not1_b32 vcc_lo, exec_lo, s21
	s_wait_alu 0xfffe
	s_cbranch_vccnz .LBB167_3
; %bb.5:                                ;   in Loop: Header=BB167_4 Depth=1
	s_lshl_b64 s[16:17], s[2:3], 3
	s_and_not1_b32 vcc_lo, exec_lo, s1
	s_wait_alu 0xfffe
	s_add_nc_u64 s[16:17], s[4:5], s[16:17]
	s_load_b64 s[16:17], s[16:17], 0x0
	s_wait_kmcnt 0x0
	s_add_nc_u64 s[16:17], s[16:17], s[6:7]
	s_cbranch_vccnz .LBB167_9
; %bb.6:                                ;   in Loop: Header=BB167_4 Depth=1
	s_mov_b32 s25, 0
	s_mov_b32 s24, 0
                                        ; implicit-def: $vgpr4_vgpr5
	s_and_saveexec_b32 s26, s0
	s_cbranch_execz .LBB167_10
; %bb.7:                                ;   in Loop: Header=BB167_4 Depth=1
	s_and_not1_b32 vcc_lo, exec_lo, s20
	s_wait_alu 0xfffe
	s_cbranch_vccnz .LBB167_11
; %bb.8:                                ;   in Loop: Header=BB167_4 Depth=1
	v_add_co_u32 v4, vcc_lo, s16, v2
	s_wait_alu 0xfffd
	v_add_co_ci_u32_e64 v5, null, s17, v3, vcc_lo
	flat_load_b64 v[4:5], v[4:5]
	s_wait_loadcnt_dscnt 0x0
	v_mul_f64_e32 v[4:5], s[10:11], v[4:5]
	s_branch .LBB167_12
.LBB167_9:                              ;   in Loop: Header=BB167_4 Depth=1
	s_mov_b32 s24, 0
                                        ; implicit-def: $vgpr4_vgpr5
	s_cbranch_execnz .LBB167_13
	s_branch .LBB167_23
.LBB167_10:                             ;   in Loop: Header=BB167_4 Depth=1
	s_wait_alu 0xfffe
	s_or_b32 exec_lo, exec_lo, s26
	s_delay_alu instid0(SALU_CYCLE_1)
	s_and_b32 vcc_lo, exec_lo, s25
	s_wait_alu 0xfffe
	s_cbranch_vccnz .LBB167_13
	s_branch .LBB167_23
.LBB167_11:                             ;   in Loop: Header=BB167_4 Depth=1
	v_mov_b32_e32 v4, 0
	v_mov_b32_e32 v5, 0
.LBB167_12:                             ;   in Loop: Header=BB167_4 Depth=1
	s_mov_b32 s24, exec_lo
	s_or_b32 exec_lo, exec_lo, s26
	s_delay_alu instid0(SALU_CYCLE_1)
	s_and_b32 vcc_lo, exec_lo, s25
	s_wait_alu 0xfffe
	s_cbranch_vccz .LBB167_23
.LBB167_13:                             ;   in Loop: Header=BB167_4 Depth=1
                                        ; implicit-def: $vgpr4_vgpr5
	s_and_saveexec_b32 s25, s0
	s_cbranch_execz .LBB167_22
; %bb.14:                               ;   in Loop: Header=BB167_4 Depth=1
	v_mov_b32_e32 v6, 0
	v_mov_b32_e32 v7, 0
	s_and_not1_b32 vcc_lo, exec_lo, s22
	s_wait_alu 0xfffe
	s_cbranch_vccnz .LBB167_17
; %bb.15:                               ;   in Loop: Header=BB167_4 Depth=1
	s_load_b32 s26, s[12:13], 0x0
	s_mov_b32 s27, s3
	s_wait_kmcnt 0x0
	s_wait_alu 0xfffe
	s_mul_u64 s[26:27], s[14:15], s[26:27]
	s_wait_alu 0xfffe
	v_mad_co_u64_u32 v[4:5], null, s26, s2, v[0:1]
	s_mov_b32 s26, s23
	v_mad_co_u64_u32 v[5:6], null, s27, s2, v[5:6]
	v_mov_b32_e32 v6, 0
	v_mov_b32_e32 v7, 0
.LBB167_16:                             ;   Parent Loop BB167_4 Depth=1
                                        ; =>  This Inner Loop Header: Depth=2
	global_load_b64 v[8:9], v[4:5], off
	v_add_co_u32 v4, vcc_lo, v4, s14
	s_wait_alu 0xfffd
	v_add_co_ci_u32_e64 v5, null, s15, v5, vcc_lo
	s_wait_alu 0xfffe
	s_add_co_i32 s26, s26, -1
	s_wait_alu 0xfffe
	s_cmp_eq_u32 s26, 0
	s_wait_loadcnt 0x0
	v_add_f64_e32 v[6:7], v[6:7], v[8:9]
	s_cbranch_scc0 .LBB167_16
.LBB167_17:                             ;   in Loop: Header=BB167_4 Depth=1
	s_and_b32 vcc_lo, exec_lo, s19
	s_mov_b32 s26, -1
                                        ; implicit-def: $vgpr4_vgpr5
	s_wait_alu 0xfffe
	s_cbranch_vccz .LBB167_19
; %bb.18:                               ;   in Loop: Header=BB167_4 Depth=1
	s_delay_alu instid0(VALU_DEP_1)
	v_mul_f64_e32 v[4:5], s[8:9], v[6:7]
	s_mov_b32 s26, 0
.LBB167_19:                             ;   in Loop: Header=BB167_4 Depth=1
	s_wait_alu 0xfffe
	s_and_not1_b32 vcc_lo, exec_lo, s26
	s_wait_alu 0xfffe
	s_cbranch_vccnz .LBB167_21
; %bb.20:                               ;   in Loop: Header=BB167_4 Depth=1
	v_add_co_u32 v4, vcc_lo, s16, v2
	s_wait_alu 0xfffd
	v_add_co_ci_u32_e64 v5, null, s17, v3, vcc_lo
	flat_load_b64 v[4:5], v[4:5]
	s_wait_loadcnt_dscnt 0x0
	v_mul_f64_e32 v[4:5], s[10:11], v[4:5]
	s_delay_alu instid0(VALU_DEP_1)
	v_fma_f64 v[4:5], s[8:9], v[6:7], v[4:5]
.LBB167_21:                             ;   in Loop: Header=BB167_4 Depth=1
	s_or_b32 s24, s24, exec_lo
.LBB167_22:                             ;   in Loop: Header=BB167_4 Depth=1
	s_or_b32 exec_lo, exec_lo, s25
.LBB167_23:                             ;   in Loop: Header=BB167_4 Depth=1
	s_and_saveexec_b32 s25, s24
	s_cbranch_execz .LBB167_2
; %bb.24:                               ;   in Loop: Header=BB167_4 Depth=1
	s_wait_alu 0xfffe
	v_add_co_u32 v6, vcc_lo, s16, v2
	s_wait_alu 0xfffd
	v_add_co_ci_u32_e64 v7, null, s17, v3, vcc_lo
	flat_store_b64 v[6:7], v[4:5]
	s_branch .LBB167_2
.LBB167_25:
	s_endpgm
	.section	.rodata,"a",@progbits
	.p2align	6, 0x0
	.amdhsa_kernel _ZL36rocblas_hemvn_kernel_upper_block_sumILi64EidPKPddEviT1_lS3_lT2_lT0_lPT3_i
		.amdhsa_group_segment_fixed_size 0
		.amdhsa_private_segment_fixed_size 0
		.amdhsa_kernarg_size 344
		.amdhsa_user_sgpr_count 2
		.amdhsa_user_sgpr_dispatch_ptr 0
		.amdhsa_user_sgpr_queue_ptr 0
		.amdhsa_user_sgpr_kernarg_segment_ptr 1
		.amdhsa_user_sgpr_dispatch_id 0
		.amdhsa_user_sgpr_private_segment_size 0
		.amdhsa_wavefront_size32 1
		.amdhsa_uses_dynamic_stack 0
		.amdhsa_enable_private_segment 0
		.amdhsa_system_sgpr_workgroup_id_x 1
		.amdhsa_system_sgpr_workgroup_id_y 0
		.amdhsa_system_sgpr_workgroup_id_z 1
		.amdhsa_system_sgpr_workgroup_info 0
		.amdhsa_system_vgpr_workitem_id 0
		.amdhsa_next_free_vgpr 10
		.amdhsa_next_free_sgpr 28
		.amdhsa_reserve_vcc 1
		.amdhsa_float_round_mode_32 0
		.amdhsa_float_round_mode_16_64 0
		.amdhsa_float_denorm_mode_32 3
		.amdhsa_float_denorm_mode_16_64 3
		.amdhsa_fp16_overflow 0
		.amdhsa_workgroup_processor_mode 1
		.amdhsa_memory_ordered 1
		.amdhsa_forward_progress 1
		.amdhsa_inst_pref_size 6
		.amdhsa_round_robin_scheduling 0
		.amdhsa_exception_fp_ieee_invalid_op 0
		.amdhsa_exception_fp_denorm_src 0
		.amdhsa_exception_fp_ieee_div_zero 0
		.amdhsa_exception_fp_ieee_overflow 0
		.amdhsa_exception_fp_ieee_underflow 0
		.amdhsa_exception_fp_ieee_inexact 0
		.amdhsa_exception_int_div_zero 0
	.end_amdhsa_kernel
	.section	.text._ZL36rocblas_hemvn_kernel_upper_block_sumILi64EidPKPddEviT1_lS3_lT2_lT0_lPT3_i,"axG",@progbits,_ZL36rocblas_hemvn_kernel_upper_block_sumILi64EidPKPddEviT1_lS3_lT2_lT0_lPT3_i,comdat
.Lfunc_end167:
	.size	_ZL36rocblas_hemvn_kernel_upper_block_sumILi64EidPKPddEviT1_lS3_lT2_lT0_lPT3_i, .Lfunc_end167-_ZL36rocblas_hemvn_kernel_upper_block_sumILi64EidPKPddEviT1_lS3_lT2_lT0_lPT3_i
                                        ; -- End function
	.set _ZL36rocblas_hemvn_kernel_upper_block_sumILi64EidPKPddEviT1_lS3_lT2_lT0_lPT3_i.num_vgpr, 10
	.set _ZL36rocblas_hemvn_kernel_upper_block_sumILi64EidPKPddEviT1_lS3_lT2_lT0_lPT3_i.num_agpr, 0
	.set _ZL36rocblas_hemvn_kernel_upper_block_sumILi64EidPKPddEviT1_lS3_lT2_lT0_lPT3_i.numbered_sgpr, 28
	.set _ZL36rocblas_hemvn_kernel_upper_block_sumILi64EidPKPddEviT1_lS3_lT2_lT0_lPT3_i.num_named_barrier, 0
	.set _ZL36rocblas_hemvn_kernel_upper_block_sumILi64EidPKPddEviT1_lS3_lT2_lT0_lPT3_i.private_seg_size, 0
	.set _ZL36rocblas_hemvn_kernel_upper_block_sumILi64EidPKPddEviT1_lS3_lT2_lT0_lPT3_i.uses_vcc, 1
	.set _ZL36rocblas_hemvn_kernel_upper_block_sumILi64EidPKPddEviT1_lS3_lT2_lT0_lPT3_i.uses_flat_scratch, 0
	.set _ZL36rocblas_hemvn_kernel_upper_block_sumILi64EidPKPddEviT1_lS3_lT2_lT0_lPT3_i.has_dyn_sized_stack, 0
	.set _ZL36rocblas_hemvn_kernel_upper_block_sumILi64EidPKPddEviT1_lS3_lT2_lT0_lPT3_i.has_recursion, 0
	.set _ZL36rocblas_hemvn_kernel_upper_block_sumILi64EidPKPddEviT1_lS3_lT2_lT0_lPT3_i.has_indirect_call, 0
	.section	.AMDGPU.csdata,"",@progbits
; Kernel info:
; codeLenInByte = 748
; TotalNumSgprs: 30
; NumVgprs: 10
; ScratchSize: 0
; MemoryBound: 0
; FloatMode: 240
; IeeeMode: 1
; LDSByteSize: 0 bytes/workgroup (compile time only)
; SGPRBlocks: 0
; VGPRBlocks: 1
; NumSGPRsForWavesPerEU: 30
; NumVGPRsForWavesPerEU: 10
; Occupancy: 16
; WaveLimiterHint : 1
; COMPUTE_PGM_RSRC2:SCRATCH_EN: 0
; COMPUTE_PGM_RSRC2:USER_SGPR: 2
; COMPUTE_PGM_RSRC2:TRAP_HANDLER: 0
; COMPUTE_PGM_RSRC2:TGID_X_EN: 1
; COMPUTE_PGM_RSRC2:TGID_Y_EN: 0
; COMPUTE_PGM_RSRC2:TGID_Z_EN: 1
; COMPUTE_PGM_RSRC2:TIDIG_COMP_CNT: 0
	.section	.text._ZL50rocblas_symv_kernel_lower_double_buffered_diagonalILi32ELi4E24rocblas_internal_val_ptrIdEPKPKdPKPdEvbiT1_lT2_lllSA_lllS9_lT3_llli,"axG",@progbits,_ZL50rocblas_symv_kernel_lower_double_buffered_diagonalILi32ELi4E24rocblas_internal_val_ptrIdEPKPKdPKPdEvbiT1_lT2_lllSA_lllS9_lT3_llli,comdat
	.globl	_ZL50rocblas_symv_kernel_lower_double_buffered_diagonalILi32ELi4E24rocblas_internal_val_ptrIdEPKPKdPKPdEvbiT1_lT2_lllSA_lllS9_lT3_llli ; -- Begin function _ZL50rocblas_symv_kernel_lower_double_buffered_diagonalILi32ELi4E24rocblas_internal_val_ptrIdEPKPKdPKPdEvbiT1_lT2_lllSA_lllS9_lT3_llli
	.p2align	8
	.type	_ZL50rocblas_symv_kernel_lower_double_buffered_diagonalILi32ELi4E24rocblas_internal_val_ptrIdEPKPKdPKPdEvbiT1_lT2_lllSA_lllS9_lT3_llli,@function
_ZL50rocblas_symv_kernel_lower_double_buffered_diagonalILi32ELi4E24rocblas_internal_val_ptrIdEPKPKdPKPdEvbiT1_lT2_lllSA_lllS9_lT3_llli: ; @_ZL50rocblas_symv_kernel_lower_double_buffered_diagonalILi32ELi4E24rocblas_internal_val_ptrIdEPKPKdPKPdEvbiT1_lT2_lllSA_lllS9_lT3_llli
; %bb.0:
	s_clause 0x2
	s_load_b256 s[12:19], s[0:1], 0x8
	s_load_b128 s[20:23], s[0:1], 0x58
	s_load_b32 s11, s[0:1], 0x88
	s_wait_kmcnt 0x0
	v_dual_mov_b32 v1, s12 :: v_dual_mov_b32 v2, s13
	v_dual_mov_b32 v3, s20 :: v_dual_mov_b32 v4, s21
	s_lshr_b32 s12, ttmp7, 16
	s_clause 0x1
	scratch_store_b64 off, v[1:2], off
	scratch_store_b64 off, v[3:4], off offset:8
	s_wait_alu 0xfffe
	s_cmp_ge_u32 s12, s11
	s_cbranch_scc1 .LBB168_48
; %bb.1:
	s_clause 0x3
	s_load_b128 s[28:31], s[0:1], 0x70
	s_load_b64 s[34:35], s[0:1], 0x28
	s_load_b64 s[2:3], s[0:1], 0x48
	s_load_b32 s4, s[0:1], 0x0
	v_and_b32_e32 v10, 0x3ff, v0
	v_bfe_u32 v11, v0, 10, 10
	s_clause 0x1
	s_load_b64 s[20:21], s[0:1], 0x68
	s_load_b128 s[24:27], s[0:1], 0x38
	s_mov_b32 s13, 0
	v_cmp_eq_u32_e64 s0, 0, v11
	s_wait_kmcnt 0x0
	v_mad_co_u64_u32 v[0:1], null, s30, v10, 0
	v_mad_co_u64_u32 v[2:3], null, s2, v10, 0
	;; [unrolled: 1-line block ×3, first 2 shown]
	s_bitcmp1_b32 s4, 0
	s_add_nc_u64 s[4:5], s[34:35], 1
	s_cselect_b32 s1, -1, 0
	s_lshl_b32 s6, ttmp9, 5
	v_mad_co_u64_u32 v[6:7], null, s31, v10, v[1:2]
	s_ashr_i32 s7, s6, 31
	s_xor_b32 s42, s1, -1
	s_mul_u64 s[36:37], s[30:31], s[6:7]
	s_mul_u64 s[38:39], s[4:5], s[6:7]
	s_mul_u64 s[40:41], s[2:3], s[6:7]
	s_lshl_b64 s[44:45], s[34:35], 2
	v_mov_b32_e32 v1, v6
	v_sub_co_u32 v15, s33, v10, v11
	v_mad_co_u64_u32 v[7:8], null, s35, v11, v[5:6]
	v_mad_co_u64_u32 v[8:9], null, s3, v10, v[3:4]
	s_delay_alu instid0(VALU_DEP_3)
	v_sub_nc_u32_e32 v6, 0, v15
	v_dual_mov_b32 v16, 0 :: v_dual_lshlrev_b32 v13, 3, v10
	v_lshl_add_u32 v12, v11, 5, v10
	v_dual_mov_b32 v5, v7 :: v_dual_lshlrev_b32 v14, 8, v11
	v_mul_u32_u24_e32 v9, 0xf8, v10
	v_lshlrev_b32_e32 v11, 3, v11
	v_max_i32_e32 v6, v15, v6
	s_delay_alu instid0(VALU_DEP_4)
	v_dual_mov_b32 v3, v8 :: v_dual_add_nc_u32 v8, 0x800, v14
	v_add_nc_u32_e32 v7, 0x400, v14
	v_add_nc_u32_e32 v15, 0xc00, v14
	;; [unrolled: 1-line block ×3, first 2 shown]
	v_add3_u32 v19, v13, v9, v11
	v_cmp_gt_u32_e64 s2, 4, v6
	v_cmp_gt_u32_e64 s3, 8, v6
	;; [unrolled: 1-line block ×7, first 2 shown]
	v_add_nc_u32_e32 v6, 0x1c00, v14
	v_add_nc_u32_e32 v20, 0x2800, v11
	;; [unrolled: 1-line block ×5, first 2 shown]
	v_lshlrev_b64_e32 v[0:1], 3, v[0:1]
	v_lshlrev_b64_e32 v[2:3], 3, v[2:3]
	;; [unrolled: 1-line block ×3, first 2 shown]
	v_add_nc_u32_e32 v17, 0x2800, v13
	v_cmp_lt_u32_e64 s1, 15, v10
	v_lshl_add_u32 v21, v12, 3, 0x2000
	v_or_b32_e32 v22, 0x2000, v13
	v_lshlrev_b32_e32 v23, 3, v10
	v_add_nc_u32_e32 v24, v13, v7
	v_add_nc_u32_e32 v25, v13, v8
	;; [unrolled: 1-line block ×7, first 2 shown]
	s_lshl_b64 s[30:31], s[34:35], 5
	s_lshl_b64 s[18:19], s[18:19], 3
	s_lshl_b64 s[26:27], s[26:27], 3
	s_lshl_b64 s[28:29], s[28:29], 3
	s_lshl_b64 s[34:35], s[36:37], 3
	s_lshl_b64 s[36:37], s[40:41], 3
	s_lshl_b64 s[38:39], s[38:39], 3
	s_lshl_b64 s[40:41], s[44:45], 3
	s_branch .LBB168_4
.LBB168_2:                              ;   in Loop: Header=BB168_4 Depth=1
	s_wait_alu 0xfffe
	s_or_b32 exec_lo, exec_lo, s9
.LBB168_3:                              ;   in Loop: Header=BB168_4 Depth=1
	s_delay_alu instid0(SALU_CYCLE_1)
	s_or_b32 exec_lo, exec_lo, s43
	s_add_co_i32 s12, s12, 0x10000
	s_wait_alu 0xfffe
	s_cmp_lt_u32 s12, s11
	s_cbranch_scc0 .LBB168_48
.LBB168_4:                              ; =>This Inner Loop Header: Depth=1
	s_and_b32 vcc_lo, exec_lo, s42
	s_mov_b32 s9, -1
                                        ; implicit-def: $vgpr6_vgpr7
	s_wait_alu 0xfffe
	s_cbranch_vccnz .LBB168_38
; %bb.5:                                ;   in Loop: Header=BB168_4 Depth=1
	s_and_not1_b32 vcc_lo, exec_lo, s9
	s_wait_alu 0xfffe
	s_cbranch_vccz .LBB168_39
.LBB168_6:                              ;   in Loop: Header=BB168_4 Depth=1
	s_and_b32 vcc_lo, exec_lo, s42
	s_mov_b32 s9, -1
                                        ; implicit-def: $vgpr8_vgpr9
	s_wait_alu 0xfffe
	s_cbranch_vccnz .LBB168_40
.LBB168_7:                              ;   in Loop: Header=BB168_4 Depth=1
	s_and_not1_b32 vcc_lo, exec_lo, s9
	s_wait_alu 0xfffe
	s_cbranch_vccnz .LBB168_9
.LBB168_8:                              ;   in Loop: Header=BB168_4 Depth=1
	s_wait_loadcnt_dscnt 0x0
	scratch_load_b64 v[8:9], off, off offset:8
.LBB168_9:                              ;   in Loop: Header=BB168_4 Depth=1
	s_wait_loadcnt_dscnt 0x0
	v_cmp_neq_f64_e32 vcc_lo, 0, v[6:7]
	v_cmp_neq_f64_e64 s9, 1.0, v[8:9]
	s_or_b32 s9, vcc_lo, s9
	s_wait_alu 0xfffe
	s_and_saveexec_b32 s43, s9
	s_cbranch_execz .LBB168_3
; %bb.10:                               ;   in Loop: Header=BB168_4 Depth=1
	v_cmp_neq_f64_e64 s9, 0, v[6:7]
	v_cmp_eq_f64_e32 vcc_lo, 0, v[6:7]
	v_dual_mov_b32 v10, s12 :: v_dual_mov_b32 v11, s13
	s_and_saveexec_b32 s10, vcc_lo
	s_wait_alu 0xfffe
	s_xor_b32 s10, exec_lo, s10
; %bb.11:                               ;   in Loop: Header=BB168_4 Depth=1
	v_dual_mov_b32 v10, s12 :: v_dual_mov_b32 v11, s13
; %bb.12:                               ;   in Loop: Header=BB168_4 Depth=1
	s_wait_alu 0xfffe
	s_or_saveexec_b32 s44, s10
	v_mov_b32_e32 v14, 0
	v_dual_mov_b32 v15, 0 :: v_dual_mov_b32 v12, 0
	v_mov_b32_e32 v13, 0
	s_wait_alu 0xfffe
	s_xor_b32 exec_lo, exec_lo, s44
	s_cbranch_execz .LBB168_14
; %bb.13:                               ;   in Loop: Header=BB168_4 Depth=1
	s_lshl_b64 s[46:47], s[12:13], 3
	s_delay_alu instid0(SALU_CYCLE_1)
	s_add_nc_u64 s[46:47], s[16:17], s[46:47]
	global_load_b64 v[12:13], v16, s[46:47]
	s_wait_loadcnt 0x0
	v_add_co_u32 v12, s10, v12, s18
	s_wait_alu 0xf1ff
	v_add_co_ci_u32_e64 v13, null, s19, v13, s10
.LBB168_14:                             ;   in Loop: Header=BB168_4 Depth=1
	s_or_b32 exec_lo, exec_lo, s44
	v_lshlrev_b64_e32 v[10:11], 3, v[10:11]
	s_and_saveexec_b32 s10, s9
	s_cbranch_execz .LBB168_16
; %bb.15:                               ;   in Loop: Header=BB168_4 Depth=1
	s_delay_alu instid0(VALU_DEP_1) | instskip(SKIP_1) | instid1(VALU_DEP_2)
	v_add_co_u32 v14, s9, s24, v10
	s_wait_alu 0xf1ff
	v_add_co_ci_u32_e64 v15, null, s25, v11, s9
	global_load_b64 v[14:15], v[14:15], off
	s_wait_loadcnt 0x0
	v_add_co_u32 v14, s9, v14, s26
	s_wait_alu 0xf1ff
	v_add_co_ci_u32_e64 v15, null, s27, v15, s9
.LBB168_16:                             ;   in Loop: Header=BB168_4 Depth=1
	s_wait_alu 0xfffe
	s_or_b32 exec_lo, exec_lo, s10
	s_delay_alu instid0(VALU_DEP_1)
	v_add_co_u32 v10, s9, s20, v10
	s_wait_alu 0xf1ff
	v_add_co_ci_u32_e64 v11, null, s21, v11, s9
	global_load_b64 v[10:11], v[10:11], off
	s_wait_loadcnt 0x0
	v_add_co_u32 v10, s9, v10, s28
	s_wait_alu 0xf1ff
	v_add_co_ci_u32_e64 v11, null, s29, v11, s9
	s_delay_alu instid0(VALU_DEP_2) | instskip(SKIP_1) | instid1(VALU_DEP_2)
	v_add_co_u32 v31, s9, v10, s34
	s_wait_alu 0xf1ff
	v_add_co_ci_u32_e64 v32, null, s35, v11, s9
	s_and_saveexec_b32 s9, vcc_lo
	s_wait_alu 0xfffe
	s_xor_b32 s9, exec_lo, s9
	s_cbranch_execz .LBB168_20
; %bb.17:                               ;   in Loop: Header=BB168_4 Depth=1
	s_and_saveexec_b32 s10, s0
	s_cbranch_execz .LBB168_19
; %bb.18:                               ;   in Loop: Header=BB168_4 Depth=1
	v_add_co_u32 v6, vcc_lo, v31, v0
	s_wait_alu 0xfffd
	v_add_co_ci_u32_e64 v7, null, v32, v1, vcc_lo
	flat_load_b64 v[10:11], v[6:7]
	s_wait_loadcnt_dscnt 0x0
	v_mul_f64_e32 v[8:9], v[8:9], v[10:11]
	flat_store_b64 v[6:7], v[8:9]
.LBB168_19:                             ;   in Loop: Header=BB168_4 Depth=1
	s_wait_alu 0xfffe
	s_or_b32 exec_lo, exec_lo, s10
                                        ; implicit-def: $vgpr6_vgpr7
                                        ; implicit-def: $vgpr8_vgpr9
                                        ; implicit-def: $vgpr31
                                        ; implicit-def: $vgpr32
                                        ; implicit-def: $vgpr12_vgpr13
                                        ; implicit-def: $vgpr14_vgpr15
.LBB168_20:                             ;   in Loop: Header=BB168_4 Depth=1
	s_wait_alu 0xfffe
	s_and_not1_saveexec_b32 s9, s9
	s_cbranch_execz .LBB168_3
; %bb.21:                               ;   in Loop: Header=BB168_4 Depth=1
	v_mov_b32_e32 v10, 0
	v_mov_b32_e32 v11, 0
	s_and_saveexec_b32 s9, s0
	s_cbranch_execz .LBB168_25
; %bb.22:                               ;   in Loop: Header=BB168_4 Depth=1
	v_mov_b32_e32 v10, 0
	v_mov_b32_e32 v11, 0
	s_mov_b32 s10, exec_lo
	v_cmpx_neq_f64_e32 0, v[8:9]
	s_cbranch_execz .LBB168_24
; %bb.23:                               ;   in Loop: Header=BB168_4 Depth=1
	v_add_co_u32 v10, vcc_lo, v31, v0
	s_wait_alu 0xfffd
	v_add_co_ci_u32_e64 v11, null, v32, v1, vcc_lo
	flat_load_b64 v[10:11], v[10:11]
	s_wait_loadcnt_dscnt 0x0
	v_mul_f64_e32 v[10:11], v[8:9], v[10:11]
.LBB168_24:                             ;   in Loop: Header=BB168_4 Depth=1
	s_wait_alu 0xfffe
	s_or_b32 exec_lo, exec_lo, s10
	v_add_co_u32 v14, vcc_lo, v14, s36
	s_wait_alu 0xfffd
	v_add_co_ci_u32_e64 v15, null, s37, v15, vcc_lo
	s_delay_alu instid0(VALU_DEP_2) | instskip(SKIP_1) | instid1(VALU_DEP_2)
	v_add_co_u32 v14, vcc_lo, v14, v2
	s_wait_alu 0xfffd
	v_add_co_ci_u32_e64 v15, null, v15, v3, vcc_lo
	flat_load_b64 v[14:15], v[14:15]
	s_wait_loadcnt_dscnt 0x0
	ds_store_b64 v17, v[14:15]
.LBB168_25:                             ;   in Loop: Header=BB168_4 Depth=1
	s_wait_alu 0xfffe
	s_or_b32 exec_lo, exec_lo, s9
	v_add_co_u32 v12, vcc_lo, v12, s38
	s_wait_alu 0xfffd
	v_add_co_ci_u32_e64 v13, null, s39, v13, vcc_lo
	s_delay_alu instid0(VALU_DEP_2) | instskip(SKIP_1) | instid1(VALU_DEP_2)
	v_add_co_u32 v12, vcc_lo, v12, v4
	s_wait_alu 0xfffd
	v_add_co_ci_u32_e64 v13, null, v13, v5, vcc_lo
	s_delay_alu instid0(VALU_DEP_2) | instskip(SKIP_1) | instid1(VALU_DEP_2)
	;; [unrolled: 4-line block ×5, first 2 shown]
	v_add_co_u32 v12, vcc_lo, v35, s30
	s_wait_alu 0xfffd
	v_add_co_ci_u32_e64 v13, null, s31, v36, vcc_lo
	s_clause 0x3
	flat_load_b64 v[14:15], v[14:15]
	flat_load_b64 v[33:34], v[33:34]
	;; [unrolled: 1-line block ×4, first 2 shown]
	s_wait_loadcnt_dscnt 0x303
	ds_store_b64 v18, v[14:15]
	s_wait_loadcnt_dscnt 0x203
	ds_store_b64 v24, v[33:34]
	;; [unrolled: 2-line block ×4, first 2 shown]
	s_and_saveexec_b32 s9, s1
	s_cbranch_execz .LBB168_27
; %bb.26:                               ;   in Loop: Header=BB168_4 Depth=1
	v_add_co_u32 v12, vcc_lo, v12, s30
	s_wait_alu 0xfffd
	v_add_co_ci_u32_e64 v13, null, s31, v13, vcc_lo
	s_delay_alu instid0(VALU_DEP_2) | instskip(SKIP_1) | instid1(VALU_DEP_2)
	v_add_co_u32 v14, vcc_lo, v12, s40
	s_wait_alu 0xfffd
	v_add_co_ci_u32_e64 v15, null, s41, v13, vcc_lo
	s_delay_alu instid0(VALU_DEP_2) | instskip(SKIP_1) | instid1(VALU_DEP_2)
	;; [unrolled: 4-line block ×3, first 2 shown]
	v_add_co_u32 v35, vcc_lo, v33, s30
	s_wait_alu 0xfffd
	v_add_co_ci_u32_e64 v36, null, s31, v34, vcc_lo
	s_clause 0x3
	flat_load_b64 v[12:13], v[12:13]
	flat_load_b64 v[14:15], v[14:15]
	;; [unrolled: 1-line block ×4, first 2 shown]
	s_wait_loadcnt_dscnt 0x202
	ds_store_2addr_stride64_b64 v18, v[12:13], v[14:15] offset0:8 offset1:10
	s_wait_loadcnt_dscnt 0x1
	ds_store_2addr_stride64_b64 v18, v[33:34], v[35:36] offset0:12 offset1:14
.LBB168_27:                             ;   in Loop: Header=BB168_4 Depth=1
	s_wait_alu 0xfffe
	s_or_b32 exec_lo, exec_lo, s9
	s_wait_storecnt_dscnt 0x0
	s_barrier_signal -1
	s_barrier_wait -1
	global_inv scope:SCOPE_SE
	s_and_saveexec_b32 s9, s33
	s_cbranch_execnz .LBB168_41
; %bb.28:                               ;   in Loop: Header=BB168_4 Depth=1
	s_wait_alu 0xfffe
	s_or_b32 exec_lo, exec_lo, s9
	s_and_saveexec_b32 s9, s2
	s_cbranch_execnz .LBB168_42
.LBB168_29:                             ;   in Loop: Header=BB168_4 Depth=1
	s_wait_alu 0xfffe
	s_or_b32 exec_lo, exec_lo, s9
	s_and_saveexec_b32 s9, s3
	s_cbranch_execnz .LBB168_43
.LBB168_30:                             ;   in Loop: Header=BB168_4 Depth=1
	s_wait_alu 0xfffe
	s_or_b32 exec_lo, exec_lo, s9
	s_and_saveexec_b32 s9, s4
	s_cbranch_execnz .LBB168_44
.LBB168_31:                             ;   in Loop: Header=BB168_4 Depth=1
	s_wait_alu 0xfffe
	s_or_b32 exec_lo, exec_lo, s9
	s_and_saveexec_b32 s9, s5
	s_cbranch_execnz .LBB168_45
.LBB168_32:                             ;   in Loop: Header=BB168_4 Depth=1
	s_wait_alu 0xfffe
	s_or_b32 exec_lo, exec_lo, s9
	s_and_saveexec_b32 s9, s6
	s_cbranch_execnz .LBB168_46
.LBB168_33:                             ;   in Loop: Header=BB168_4 Depth=1
	s_wait_alu 0xfffe
	s_or_b32 exec_lo, exec_lo, s9
	s_and_saveexec_b32 s9, s7
	s_cbranch_execnz .LBB168_47
.LBB168_34:                             ;   in Loop: Header=BB168_4 Depth=1
	s_wait_alu 0xfffe
	s_or_b32 exec_lo, exec_lo, s9
	s_and_saveexec_b32 s9, s8
	s_cbranch_execz .LBB168_36
.LBB168_35:                             ;   in Loop: Header=BB168_4 Depth=1
	ds_load_b64 v[12:13], v19 offset:224
	s_wait_dscnt 0x0
	ds_store_b64 v27, v[12:13]
.LBB168_36:                             ;   in Loop: Header=BB168_4 Depth=1
	s_wait_alu 0xfffe
	s_or_b32 exec_lo, exec_lo, s9
	s_wait_loadcnt_dscnt 0x0
	s_barrier_signal -1
	s_barrier_wait -1
	global_inv scope:SCOPE_SE
	ds_load_2addr_b64 v[12:15], v20 offset1:4
	ds_load_b64 v[33:34], v18
	ds_load_b64 v[35:36], v24
	;; [unrolled: 1-line block ×4, first 2 shown]
	s_wait_dscnt 0x3
	v_fma_f64 v[12:13], v[33:34], v[12:13], 0
	s_wait_dscnt 0x2
	s_delay_alu instid0(VALU_DEP_1) | instskip(SKIP_3) | instid1(VALU_DEP_1)
	v_fma_f64 v[33:34], v[35:36], v[14:15], v[12:13]
	ds_load_2addr_b64 v[12:15], v20 offset0:8 offset1:12
	s_wait_dscnt 0x0
	v_fma_f64 v[12:13], v[37:38], v[12:13], v[33:34]
	v_fma_f64 v[33:34], v[39:40], v[14:15], v[12:13]
	ds_load_2addr_b64 v[12:15], v20 offset0:16 offset1:20
	ds_load_b64 v[35:36], v28
	ds_load_b64 v[37:38], v29
	;; [unrolled: 1-line block ×4, first 2 shown]
	s_wait_dscnt 0x3
	v_fma_f64 v[12:13], v[35:36], v[12:13], v[33:34]
	s_wait_dscnt 0x2
	s_delay_alu instid0(VALU_DEP_1) | instskip(SKIP_3) | instid1(VALU_DEP_1)
	v_fma_f64 v[33:34], v[37:38], v[14:15], v[12:13]
	ds_load_2addr_b64 v[12:15], v20 offset0:24 offset1:28
	s_wait_dscnt 0x0
	v_fma_f64 v[12:13], v[39:40], v[12:13], v[33:34]
	v_fma_f64 v[12:13], v[41:42], v[14:15], v[12:13]
	ds_store_b64 v21, v[12:13]
	s_wait_loadcnt_dscnt 0x0
	s_barrier_signal -1
	s_barrier_wait -1
	global_inv scope:SCOPE_SE
	s_and_saveexec_b32 s9, s0
	s_cbranch_execz .LBB168_2
; %bb.37:                               ;   in Loop: Header=BB168_4 Depth=1
	ds_load_2addr_b64 v[12:15], v22 offset1:32
	v_cmp_neq_f64_e32 vcc_lo, 0, v[8:9]
	s_wait_dscnt 0x0
	v_add_f64_e32 v[12:13], 0, v[12:13]
	s_delay_alu instid0(VALU_DEP_1) | instskip(SKIP_3) | instid1(VALU_DEP_1)
	v_add_f64_e32 v[33:34], v[12:13], v[14:15]
	ds_load_2addr_b64 v[12:15], v22 offset0:64 offset1:96
	s_wait_dscnt 0x0
	v_add_f64_e32 v[12:13], v[33:34], v[12:13]
	v_add_f64_e32 v[12:13], v[12:13], v[14:15]
	s_delay_alu instid0(VALU_DEP_1) | instskip(SKIP_2) | instid1(VALU_DEP_1)
	v_mul_f64_e32 v[14:15], v[6:7], v[12:13]
	v_fma_f64 v[6:7], v[6:7], v[12:13], v[10:11]
	s_wait_alu 0xfffd
	v_dual_cndmask_b32 v7, v15, v7 :: v_dual_cndmask_b32 v6, v14, v6
	v_add_co_u32 v8, vcc_lo, v31, v0
	s_wait_alu 0xfffd
	v_add_co_ci_u32_e64 v9, null, v32, v1, vcc_lo
	flat_store_b64 v[8:9], v[6:7]
	s_branch .LBB168_2
.LBB168_38:                             ;   in Loop: Header=BB168_4 Depth=1
	scratch_load_b64 v[6:7], off, off
	s_mul_u64 s[44:45], s[14:15], s[12:13]
	s_wait_alu 0xfffe
	s_lshl_b64 s[44:45], s[44:45], 3
	s_wait_loadcnt 0x0
	s_wait_alu 0xfffe
	v_add_co_u32 v6, vcc_lo, v6, s44
	s_wait_alu 0xfffd
	v_add_co_ci_u32_e64 v7, null, s45, v7, vcc_lo
	flat_load_b64 v[6:7], v[6:7]
	s_cbranch_execnz .LBB168_6
.LBB168_39:                             ;   in Loop: Header=BB168_4 Depth=1
	s_wait_loadcnt_dscnt 0x0
	scratch_load_b64 v[6:7], off, off
	s_and_b32 vcc_lo, exec_lo, s42
	s_mov_b32 s9, -1
                                        ; implicit-def: $vgpr8_vgpr9
	s_wait_alu 0xfffe
	s_cbranch_vccz .LBB168_7
.LBB168_40:                             ;   in Loop: Header=BB168_4 Depth=1
	scratch_load_b64 v[8:9], off, off offset:8
	s_wait_alu 0xfffe
	s_mul_u64 s[44:45], s[22:23], s[12:13]
	s_wait_alu 0xfffe
	s_lshl_b64 s[44:45], s[44:45], 3
	s_wait_loadcnt 0x0
	s_wait_alu 0xfffe
	v_add_co_u32 v8, vcc_lo, v8, s44
	s_wait_alu 0xfffd
	v_add_co_ci_u32_e64 v9, null, s45, v9, vcc_lo
	flat_load_b64 v[8:9], v[8:9]
	s_cbranch_execz .LBB168_8
	s_branch .LBB168_9
.LBB168_41:                             ;   in Loop: Header=BB168_4 Depth=1
	ds_load_b64 v[12:13], v19
	s_wait_dscnt 0x0
	ds_store_b64 v18, v[12:13]
	s_wait_alu 0xfffe
	s_or_b32 exec_lo, exec_lo, s9
	s_and_saveexec_b32 s9, s2
	s_cbranch_execz .LBB168_29
.LBB168_42:                             ;   in Loop: Header=BB168_4 Depth=1
	ds_load_b64 v[12:13], v19 offset:32
	s_wait_dscnt 0x0
	ds_store_b64 v24, v[12:13]
	s_wait_alu 0xfffe
	s_or_b32 exec_lo, exec_lo, s9
	s_and_saveexec_b32 s9, s3
	s_cbranch_execz .LBB168_30
.LBB168_43:                             ;   in Loop: Header=BB168_4 Depth=1
	ds_load_b64 v[12:13], v19 offset:64
	s_wait_dscnt 0x0
	ds_store_b64 v25, v[12:13]
	s_wait_alu 0xfffe
	s_or_b32 exec_lo, exec_lo, s9
	s_and_saveexec_b32 s9, s4
	s_cbranch_execz .LBB168_31
.LBB168_44:                             ;   in Loop: Header=BB168_4 Depth=1
	ds_load_b64 v[12:13], v19 offset:96
	s_wait_dscnt 0x0
	ds_store_b64 v26, v[12:13]
	s_wait_alu 0xfffe
	s_or_b32 exec_lo, exec_lo, s9
	s_and_saveexec_b32 s9, s5
	s_cbranch_execz .LBB168_32
.LBB168_45:                             ;   in Loop: Header=BB168_4 Depth=1
	ds_load_b64 v[12:13], v19 offset:128
	s_wait_dscnt 0x0
	ds_store_b64 v18, v[12:13] offset:4096
	s_wait_alu 0xfffe
	s_or_b32 exec_lo, exec_lo, s9
	s_and_saveexec_b32 s9, s6
	s_cbranch_execz .LBB168_33
.LBB168_46:                             ;   in Loop: Header=BB168_4 Depth=1
	ds_load_b64 v[12:13], v19 offset:160
	s_wait_dscnt 0x0
	ds_store_b64 v18, v[12:13] offset:5120
	s_wait_alu 0xfffe
	s_or_b32 exec_lo, exec_lo, s9
	s_and_saveexec_b32 s9, s7
	s_cbranch_execz .LBB168_34
.LBB168_47:                             ;   in Loop: Header=BB168_4 Depth=1
	ds_load_b64 v[12:13], v19 offset:192
	s_wait_dscnt 0x0
	ds_store_b64 v18, v[12:13] offset:6144
	s_wait_alu 0xfffe
	s_or_b32 exec_lo, exec_lo, s9
	s_and_saveexec_b32 s9, s8
	s_cbranch_execnz .LBB168_35
	s_branch .LBB168_36
.LBB168_48:
	s_endpgm
	.section	.rodata,"a",@progbits
	.p2align	6, 0x0
	.amdhsa_kernel _ZL50rocblas_symv_kernel_lower_double_buffered_diagonalILi32ELi4E24rocblas_internal_val_ptrIdEPKPKdPKPdEvbiT1_lT2_lllSA_lllS9_lT3_llli
		.amdhsa_group_segment_fixed_size 10496
		.amdhsa_private_segment_fixed_size 24
		.amdhsa_kernarg_size 140
		.amdhsa_user_sgpr_count 2
		.amdhsa_user_sgpr_dispatch_ptr 0
		.amdhsa_user_sgpr_queue_ptr 0
		.amdhsa_user_sgpr_kernarg_segment_ptr 1
		.amdhsa_user_sgpr_dispatch_id 0
		.amdhsa_user_sgpr_private_segment_size 0
		.amdhsa_wavefront_size32 1
		.amdhsa_uses_dynamic_stack 0
		.amdhsa_enable_private_segment 1
		.amdhsa_system_sgpr_workgroup_id_x 1
		.amdhsa_system_sgpr_workgroup_id_y 0
		.amdhsa_system_sgpr_workgroup_id_z 1
		.amdhsa_system_sgpr_workgroup_info 0
		.amdhsa_system_vgpr_workitem_id 1
		.amdhsa_next_free_vgpr 97
		.amdhsa_next_free_sgpr 48
		.amdhsa_reserve_vcc 1
		.amdhsa_float_round_mode_32 0
		.amdhsa_float_round_mode_16_64 0
		.amdhsa_float_denorm_mode_32 3
		.amdhsa_float_denorm_mode_16_64 3
		.amdhsa_fp16_overflow 0
		.amdhsa_workgroup_processor_mode 1
		.amdhsa_memory_ordered 1
		.amdhsa_forward_progress 1
		.amdhsa_inst_pref_size 21
		.amdhsa_round_robin_scheduling 0
		.amdhsa_exception_fp_ieee_invalid_op 0
		.amdhsa_exception_fp_denorm_src 0
		.amdhsa_exception_fp_ieee_div_zero 0
		.amdhsa_exception_fp_ieee_overflow 0
		.amdhsa_exception_fp_ieee_underflow 0
		.amdhsa_exception_fp_ieee_inexact 0
		.amdhsa_exception_int_div_zero 0
	.end_amdhsa_kernel
	.section	.text._ZL50rocblas_symv_kernel_lower_double_buffered_diagonalILi32ELi4E24rocblas_internal_val_ptrIdEPKPKdPKPdEvbiT1_lT2_lllSA_lllS9_lT3_llli,"axG",@progbits,_ZL50rocblas_symv_kernel_lower_double_buffered_diagonalILi32ELi4E24rocblas_internal_val_ptrIdEPKPKdPKPdEvbiT1_lT2_lllSA_lllS9_lT3_llli,comdat
.Lfunc_end168:
	.size	_ZL50rocblas_symv_kernel_lower_double_buffered_diagonalILi32ELi4E24rocblas_internal_val_ptrIdEPKPKdPKPdEvbiT1_lT2_lllSA_lllS9_lT3_llli, .Lfunc_end168-_ZL50rocblas_symv_kernel_lower_double_buffered_diagonalILi32ELi4E24rocblas_internal_val_ptrIdEPKPKdPKPdEvbiT1_lT2_lllSA_lllS9_lT3_llli
                                        ; -- End function
	.set _ZL50rocblas_symv_kernel_lower_double_buffered_diagonalILi32ELi4E24rocblas_internal_val_ptrIdEPKPKdPKPdEvbiT1_lT2_lllSA_lllS9_lT3_llli.num_vgpr, 43
	.set _ZL50rocblas_symv_kernel_lower_double_buffered_diagonalILi32ELi4E24rocblas_internal_val_ptrIdEPKPKdPKPdEvbiT1_lT2_lllSA_lllS9_lT3_llli.num_agpr, 0
	.set _ZL50rocblas_symv_kernel_lower_double_buffered_diagonalILi32ELi4E24rocblas_internal_val_ptrIdEPKPKdPKPdEvbiT1_lT2_lllSA_lllS9_lT3_llli.numbered_sgpr, 48
	.set _ZL50rocblas_symv_kernel_lower_double_buffered_diagonalILi32ELi4E24rocblas_internal_val_ptrIdEPKPKdPKPdEvbiT1_lT2_lllSA_lllS9_lT3_llli.num_named_barrier, 0
	.set _ZL50rocblas_symv_kernel_lower_double_buffered_diagonalILi32ELi4E24rocblas_internal_val_ptrIdEPKPKdPKPdEvbiT1_lT2_lllSA_lllS9_lT3_llli.private_seg_size, 24
	.set _ZL50rocblas_symv_kernel_lower_double_buffered_diagonalILi32ELi4E24rocblas_internal_val_ptrIdEPKPKdPKPdEvbiT1_lT2_lllSA_lllS9_lT3_llli.uses_vcc, 1
	.set _ZL50rocblas_symv_kernel_lower_double_buffered_diagonalILi32ELi4E24rocblas_internal_val_ptrIdEPKPKdPKPdEvbiT1_lT2_lllSA_lllS9_lT3_llli.uses_flat_scratch, 1
	.set _ZL50rocblas_symv_kernel_lower_double_buffered_diagonalILi32ELi4E24rocblas_internal_val_ptrIdEPKPKdPKPdEvbiT1_lT2_lllSA_lllS9_lT3_llli.has_dyn_sized_stack, 0
	.set _ZL50rocblas_symv_kernel_lower_double_buffered_diagonalILi32ELi4E24rocblas_internal_val_ptrIdEPKPKdPKPdEvbiT1_lT2_lllSA_lllS9_lT3_llli.has_recursion, 0
	.set _ZL50rocblas_symv_kernel_lower_double_buffered_diagonalILi32ELi4E24rocblas_internal_val_ptrIdEPKPKdPKPdEvbiT1_lT2_lllSA_lllS9_lT3_llli.has_indirect_call, 0
	.section	.AMDGPU.csdata,"",@progbits
; Kernel info:
; codeLenInByte = 2672
; TotalNumSgprs: 50
; NumVgprs: 43
; ScratchSize: 24
; MemoryBound: 0
; FloatMode: 240
; IeeeMode: 1
; LDSByteSize: 10496 bytes/workgroup (compile time only)
; SGPRBlocks: 0
; VGPRBlocks: 12
; NumSGPRsForWavesPerEU: 50
; NumVGPRsForWavesPerEU: 97
; Occupancy: 12
; WaveLimiterHint : 1
; COMPUTE_PGM_RSRC2:SCRATCH_EN: 1
; COMPUTE_PGM_RSRC2:USER_SGPR: 2
; COMPUTE_PGM_RSRC2:TRAP_HANDLER: 0
; COMPUTE_PGM_RSRC2:TGID_X_EN: 1
; COMPUTE_PGM_RSRC2:TGID_Y_EN: 0
; COMPUTE_PGM_RSRC2:TGID_Z_EN: 1
; COMPUTE_PGM_RSRC2:TIDIG_COMP_CNT: 1
	.section	.text._ZL54rocblas_symv_kernel_lower_double_buffered_non_diagonalILi32ELi4ELi4E24rocblas_internal_val_ptrIdEPKPKdPKPdEvbiT2_lT3_lllSA_lllT4_llli,"axG",@progbits,_ZL54rocblas_symv_kernel_lower_double_buffered_non_diagonalILi32ELi4ELi4E24rocblas_internal_val_ptrIdEPKPKdPKPdEvbiT2_lT3_lllSA_lllT4_llli,comdat
	.globl	_ZL54rocblas_symv_kernel_lower_double_buffered_non_diagonalILi32ELi4ELi4E24rocblas_internal_val_ptrIdEPKPKdPKPdEvbiT2_lT3_lllSA_lllT4_llli ; -- Begin function _ZL54rocblas_symv_kernel_lower_double_buffered_non_diagonalILi32ELi4ELi4E24rocblas_internal_val_ptrIdEPKPKdPKPdEvbiT2_lT3_lllSA_lllT4_llli
	.p2align	8
	.type	_ZL54rocblas_symv_kernel_lower_double_buffered_non_diagonalILi32ELi4ELi4E24rocblas_internal_val_ptrIdEPKPKdPKPdEvbiT2_lT3_lllSA_lllT4_llli,@function
_ZL54rocblas_symv_kernel_lower_double_buffered_non_diagonalILi32ELi4ELi4E24rocblas_internal_val_ptrIdEPKPKdPKPdEvbiT2_lT3_lllSA_lllT4_llli: ; @_ZL54rocblas_symv_kernel_lower_double_buffered_non_diagonalILi32ELi4ELi4E24rocblas_internal_val_ptrIdEPKPKdPKPdEvbiT2_lT3_lllSA_lllT4_llli
; %bb.0:
	s_load_b64 s[12:13], s[0:1], 0x4
	s_clause 0x1
	s_load_b256 s[4:11], s[2:3], 0x8
	s_load_b32 s1, s[2:3], 0x78
	v_bfe_u32 v2, v0, 10, 10
	v_and_b32_e32 v1, 0x3ff, v0
	v_bfe_u32 v0, v0, 20, 10
	s_wait_kmcnt 0x0
	s_delay_alu instid0(VALU_DEP_3)
	v_mul_u32_u24_e32 v3, s13, v2
	s_lshr_b32 s0, s12, 16
	v_mov_b32_e32 v4, s5
	s_mul_i32 s0, s0, s13
	s_delay_alu instid0(VALU_DEP_2) | instid1(SALU_CYCLE_1)
	v_mad_u32_u24 v5, s0, v1, v3
	v_mov_b32_e32 v3, s4
	s_lshr_b32 s4, ttmp7, 16
	s_wait_alu 0xfffe
	s_cmp_ge_u32 s4, s1
	v_add_lshl_u32 v0, v5, v0, 3
	ds_store_b64 v0, v[3:4] offset:6400
	s_cbranch_scc1 .LBB169_32
; %bb.1:
	s_clause 0x3
	s_load_b32 s24, s[2:3], 0x0
	s_load_b64 s[20:21], s[2:3], 0x48
	s_load_b64 s[28:29], s[2:3], 0x28
	s_load_b128 s[12:15], s[2:3], 0x38
	v_dual_mov_b32 v4, 0 :: v_dual_add_nc_u32 v61, 0x1900, v0
	v_lshl_add_u32 v0, v2, 5, v1
	s_clause 0x1
	s_load_b64 s[22:23], s[2:3], 0x58
	s_load_b128 s[16:19], s[2:3], 0x60
	v_cmp_eq_u32_e64 s0, 0, v2
	v_add_nc_u32_e32 v22, 5, v1
	s_add_nc_u64 s[2:3], s[2:3], 0x80
	v_lshrrev_b32_e32 v20, 4, v0
	s_mov_b32 s5, 0
	s_delay_alu instid0(VALU_DEP_1)
	v_lshlrev_b32_e32 v15, 2, v20
	v_lshl_add_u32 v63, v20, 5, 0x1800
	s_wait_kmcnt 0x0
	s_bitcmp1_b32 s24, 0
	v_mad_co_u64_u32 v[5:6], null, s20, v1, 0
	v_and_b32_e32 v3, 15, v1
	s_cselect_b32 s27, -1, 0
	s_lshl_b32 s26, ttmp9, 5
	s_add_nc_u64 s[24:25], s[28:29], 1
	s_xor_b32 s45, s27, -1
	s_ashr_i32 s27, s26, 31
	s_delay_alu instid0(VALU_DEP_2) | instskip(SKIP_3) | instid1(VALU_DEP_3)
	v_mov_b32_e32 v0, v6
	v_or_b32_e32 v18, 16, v3
	v_mad_co_u64_u32 v[7:8], null, s28, v15, v[3:4]
	v_mad_co_u64_u32 v[9:10], null, s20, v3, 0
	v_mad_co_u64_u32 v[11:12], null, s20, v18, 0
	v_mad_co_u64_u32 v[13:14], null, s21, v1, v[0:1]
	s_delay_alu instid0(VALU_DEP_4) | instskip(NEXT) | instid1(VALU_DEP_4)
	v_dual_mov_b32 v0, v8 :: v_dual_lshlrev_b32 v19, 3, v1
	v_dual_mov_b32 v2, v10 :: v_dual_lshlrev_b32 v21, 3, v3
	s_and_b32 s33, ttmp7, 0xffff
	s_delay_alu instid0(VALU_DEP_2) | instskip(SKIP_4) | instid1(VALU_DEP_4)
	v_mad_co_u64_u32 v[15:16], null, s29, v15, v[0:1]
	v_mov_b32_e32 v0, v12
	v_mov_b32_e32 v6, v13
	v_mad_co_u64_u32 v[13:14], null, s18, v1, 0
	v_mad_co_u64_u32 v[16:17], null, s21, v3, v[2:3]
	;; [unrolled: 1-line block ×3, first 2 shown]
	v_add_nc_u32_e32 v62, 0x1800, v19
	v_mov_b32_e32 v8, v15
	v_mov_b32_e32 v0, v14
	v_add_nc_u32_e32 v64, 0x1000, v19
	v_add_nc_u32_e32 v19, 3, v1
	;; [unrolled: 1-line block ×3, first 2 shown]
	v_dual_mov_b32 v12, v17 :: v_dual_add_nc_u32 v17, 1, v1
	v_mad_co_u64_u32 v[14:15], null, s19, v1, v[0:1]
	v_dual_mov_b32 v10, v16 :: v_dual_lshlrev_b32 v15, 7, v1
	s_delay_alu instid0(VALU_DEP_3)
	v_and_b32_e32 v17, 15, v17
	v_and_b32_e32 v18, 15, v18
	;; [unrolled: 1-line block ×3, first 2 shown]
	v_lshlrev_b32_e32 v0, 8, v20
	v_lshlrev_b32_e32 v16, 9, v20
	v_lshl_or_b32 v66, v17, 3, v15
	v_and_b32_e32 v17, 15, v22
	v_add_nc_u32_e32 v20, 4, v1
	v_lshl_or_b32 v67, v18, 3, v15
	v_lshl_or_b32 v68, v19, 3, v15
	v_add_nc_u32_e32 v18, 6, v1
	v_add_nc_u32_e32 v19, 7, v1
	v_lshl_or_b32 v70, v17, 3, v15
	v_add_nc_u32_e32 v17, 9, v1
	v_and_b32_e32 v20, 15, v20
	v_and_b32_e32 v18, 15, v18
	;; [unrolled: 1-line block ×3, first 2 shown]
	v_xor_b32_e32 v3, 8, v3
	v_and_b32_e32 v17, 15, v17
	v_lshl_or_b32 v69, v20, 3, v15
	v_add_nc_u32_e32 v20, 10, v1
	v_lshl_or_b32 v71, v18, 3, v15
	v_lshl_or_b32 v72, v19, 3, v15
	;; [unrolled: 1-line block ×4, first 2 shown]
	v_add_nc_u32_e32 v3, 11, v1
	v_add_nc_u32_e32 v17, 12, v1
	;; [unrolled: 1-line block ×4, first 2 shown]
	v_add_nc_u32_e32 v1, -1, v1
	v_or_b32_e32 v2, 0x1000, v21
	v_and_b32_e32 v20, 15, v20
	v_and_b32_e32 v3, 15, v3
	;; [unrolled: 1-line block ×6, first 2 shown]
	v_lshlrev_b64_e32 v[5:6], 3, v[5:6]
	v_lshlrev_b64_e32 v[7:8], 3, v[7:8]
	;; [unrolled: 1-line block ×5, first 2 shown]
	v_or_b32_e32 v65, v15, v21
	v_lshl_or_b32 v75, v20, 3, v15
	v_lshl_or_b32 v76, v3, 3, v15
	;; [unrolled: 1-line block ×6, first 2 shown]
	v_add_nc_u32_e32 v81, v2, v0
	v_add_nc_u32_e32 v82, v21, v16
	s_mul_u64 s[38:39], s[24:25], s[26:27]
	s_mul_u64 s[34:35], s[20:21], s[26:27]
	;; [unrolled: 1-line block ×3, first 2 shown]
	s_lshl_b64 s[30:31], s[28:29], 4
	s_not_b32 s44, ttmp9
	s_lshl_b32 s46, s33, 5
	s_lshl_b64 s[24:25], s[20:21], 8
	s_lshl_b64 s[26:27], s[18:19], 8
	;; [unrolled: 1-line block ×3, first 2 shown]
	s_sub_nc_u64 s[30:31], 0, s[30:31]
	s_lshl_b64 s[14:15], s[14:15], 3
	s_lshl_b64 s[34:35], s[34:35], 3
	;; [unrolled: 1-line block ×6, first 2 shown]
	s_branch .LBB169_3
.LBB169_2:                              ;   in Loop: Header=BB169_3 Depth=1
	s_or_b32 exec_lo, exec_lo, s47
	s_add_co_i32 s4, s4, 0x10000
	s_wait_alu 0xfffe
	s_cmp_lt_u32 s4, s1
	s_cbranch_scc0 .LBB169_32
.LBB169_3:                              ; =>This Loop Header: Depth=1
                                        ;     Child Loop BB169_17 Depth 2
                                        ;       Child Loop BB169_19 Depth 3
                                        ;     Child Loop BB169_27 Depth 2
                                        ;     Child Loop BB169_31 Depth 2
	s_and_b32 vcc_lo, exec_lo, s45
	s_mov_b32 s40, -1
                                        ; implicit-def: $vgpr15_vgpr16
	s_wait_alu 0xfffe
	s_cbranch_vccz .LBB169_5
; %bb.4:                                ;   in Loop: Header=BB169_3 Depth=1
	s_wait_loadcnt 0x0
	ds_load_b64 v[0:1], v61
	s_mul_u64 s[40:41], s[6:7], s[4:5]
	s_wait_alu 0xfffe
	s_lshl_b64 s[40:41], s[40:41], 3
	s_wait_dscnt 0x0
	s_wait_alu 0xfffe
	v_add_co_u32 v0, vcc_lo, v0, s40
	s_wait_alu 0xfffd
	v_add_co_ci_u32_e64 v1, null, s41, v1, vcc_lo
	s_mov_b32 s40, 0
	flat_load_b64 v[15:16], v[0:1]
.LBB169_5:                              ;   in Loop: Header=BB169_3 Depth=1
	s_wait_alu 0xfffe
	s_and_not1_b32 vcc_lo, exec_lo, s40
	s_wait_alu 0xfffe
	s_cbranch_vccnz .LBB169_7
; %bb.6:                                ;   in Loop: Header=BB169_3 Depth=1
	s_wait_loadcnt_dscnt 0x0
	ds_load_b64 v[15:16], v61
.LBB169_7:                              ;   in Loop: Header=BB169_3 Depth=1
	s_mov_b32 s47, exec_lo
	s_wait_loadcnt_dscnt 0x0
	v_cmpx_neq_f64_e32 0, v[15:16]
	s_cbranch_execz .LBB169_2
; %bb.8:                                ;   in Loop: Header=BB169_3 Depth=1
	s_load_b64 s[40:41], s[2:3], 0x0
	s_wait_kmcnt 0x0
	s_add_co_i32 s42, s40, -1
	s_wait_alu 0xfffe
	s_cmp_eq_u32 ttmp9, s42
	s_cbranch_scc1 .LBB169_2
; %bb.9:                                ;   in Loop: Header=BB169_3 Depth=1
	s_lshl_b64 s[42:43], s[4:5], 3
	s_wait_alu 0xfffe
	s_add_nc_u64 s[48:49], s[12:13], s[42:43]
	global_load_b64 v[2:3], v4, s[48:49]
	s_add_nc_u64 s[48:49], s[8:9], s[42:43]
	global_load_b64 v[0:1], v4, s[48:49]
	s_wait_loadcnt 0x1
	v_add_co_u32 v2, vcc_lo, v2, s14
	s_wait_alu 0xfffd
	v_add_co_ci_u32_e64 v3, null, s15, v3, vcc_lo
	s_delay_alu instid0(VALU_DEP_2) | instskip(SKIP_1) | instid1(VALU_DEP_2)
	v_add_co_u32 v2, vcc_lo, v2, s34
	s_wait_alu 0xfffd
	v_add_co_ci_u32_e64 v3, null, s35, v3, vcc_lo
	s_and_saveexec_b32 s48, s0
	s_cbranch_execz .LBB169_11
; %bb.10:                               ;   in Loop: Header=BB169_3 Depth=1
	v_add_co_u32 v17, vcc_lo, v2, v5
	s_wait_alu 0xfffd
	v_add_co_ci_u32_e64 v18, null, v3, v6, vcc_lo
	flat_load_b64 v[17:18], v[17:18]
	s_wait_loadcnt_dscnt 0x0
	ds_store_b64 v62, v[17:18]
.LBB169_11:                             ;   in Loop: Header=BB169_3 Depth=1
	s_wait_alu 0xfffe
	s_or_b32 exec_lo, exec_lo, s48
	s_cvt_f32_u32 s48, s41
	s_sub_co_i32 s49, 0, s41
	s_add_nc_u64 s[42:43], s[22:23], s[42:43]
	s_add_co_i32 s40, s40, s44
	s_wait_alu 0xfffe
	v_rcp_iflag_f32_e32 v17, s48
	s_load_b64 s[42:43], s[42:43], 0x0
	s_delay_alu instid0(TRANS32_DEP_1) | instskip(SKIP_2) | instid1(SALU_CYCLE_2)
	v_readfirstlane_b32 s48, v17
	s_mul_f32 s48, s48, 0x4f7ffffe
	s_wait_alu 0xfffe
	s_cvt_u32_f32 s48, s48
	s_wait_alu 0xfffe
	s_delay_alu instid0(SALU_CYCLE_2)
	s_mul_i32 s49, s49, s48
	s_wait_alu 0xfffe
	s_mul_hi_u32 s49, s48, s49
	s_wait_alu 0xfffe
	s_add_co_i32 s48, s48, s49
	s_wait_alu 0xfffe
	s_mul_hi_u32 s48, s40, s48
	s_wait_alu 0xfffe
	s_mul_i32 s49, s48, s41
	s_add_co_i32 s50, s48, 1
	s_wait_alu 0xfffe
	s_sub_co_i32 s49, s40, s49
	s_wait_alu 0xfffe
	s_sub_co_i32 s51, s49, s41
	s_cmp_ge_u32 s49, s41
	s_cselect_b32 s48, s50, s48
	s_wait_alu 0xfffe
	s_cselect_b32 s49, s51, s49
	s_add_co_i32 s50, s48, 1
	s_wait_alu 0xfffe
	s_cmp_ge_u32 s49, s41
	s_cselect_b32 s49, s50, s48
	s_add_co_i32 s48, s41, -1
	s_wait_alu 0xfffe
	s_cmp_lg_u32 s33, s48
	s_mov_b32 s48, s49
	s_cbranch_scc1 .LBB169_13
; %bb.12:                               ;   in Loop: Header=BB169_3 Depth=1
	s_mul_i32 s41, s49, s41
	s_wait_alu 0xfffe
	s_sub_co_i32 s40, s40, s41
	s_wait_alu 0xfffe
	s_add_co_i32 s48, s40, s49
.LBB169_13:                             ;   in Loop: Header=BB169_3 Depth=1
	s_wait_alu 0xfffe
	s_cmp_eq_u32 s48, 0
	s_cbranch_scc1 .LBB169_2
; %bb.14:                               ;   in Loop: Header=BB169_3 Depth=1
	s_wait_kmcnt 0x0
	s_add_nc_u64 s[40:41], s[42:43], s[16:17]
	s_cmp_lt_i32 s48, 1
	s_wait_alu 0xfffe
	s_add_nc_u64 s[40:41], s[40:41], s[36:37]
	s_wait_loadcnt_dscnt 0x0
	s_barrier_signal -1
	s_barrier_wait -1
	global_inv scope:SCOPE_SE
	s_cbranch_scc1 .LBB169_23
; %bb.15:                               ;   in Loop: Header=BB169_3 Depth=1
	v_add_co_u32 v0, vcc_lo, v0, s10
	s_wait_alu 0xfffd
	v_add_co_ci_u32_e64 v1, null, s11, v1, vcc_lo
	s_mul_i32 s42, s46, s49
	v_add_co_u32 v0, vcc_lo, v0, s38
	s_wait_alu 0xfffe
	s_ashr_i32 s43, s42, 31
	s_wait_alu 0xfffd
	v_add_co_ci_u32_e64 v1, null, s39, v1, vcc_lo
	s_wait_alu 0xfffe
	s_lshl_b64 s[50:51], s[42:43], 3
	s_mul_u64 s[52:53], s[20:21], s[42:43]
	s_wait_alu 0xfffe
	v_add_co_u32 v27, vcc_lo, v0, s50
	s_wait_alu 0xfffd
	v_add_co_ci_u32_e64 v28, null, s51, v1, vcc_lo
	s_mul_u64 s[50:51], s[18:19], s[42:43]
	v_add_co_u32 v0, vcc_lo, v27, v7
	s_wait_alu 0xfffd
	v_add_co_ci_u32_e64 v1, null, v28, v8, vcc_lo
	s_wait_alu 0xfffe
	s_lshl_b64 s[50:51], s[50:51], 3
	v_add_co_u32 v17, vcc_lo, v0, s28
	s_wait_alu 0xfffd
	v_add_co_ci_u32_e64 v18, null, s29, v1, vcc_lo
	s_wait_alu 0xfffe
	s_add_nc_u64 s[42:43], s[40:41], s[50:51]
	v_add_co_u32 v19, vcc_lo, v17, s28
	s_wait_alu 0xfffd
	v_add_co_ci_u32_e64 v20, null, s29, v18, vcc_lo
	s_lshl_b64 s[50:51], s[52:53], 3
	v_add_co_u32 v21, vcc_lo, v19, s28
	s_wait_alu 0xfffd
	v_add_co_ci_u32_e64 v22, null, s29, v20, vcc_lo
	s_clause 0x3
	flat_load_b64 v[37:38], v[0:1] offset:256
	flat_load_b64 v[39:40], v[17:18] offset:256
	;; [unrolled: 1-line block ×4, first 2 shown]
	s_wait_alu 0xfffe
	v_add_co_u32 v83, vcc_lo, v2, s50
	v_mov_b32_e32 v17, 0
	s_wait_alu 0xfffd
	v_add_co_ci_u32_e64 v84, null, s51, v3, vcc_lo
	v_mov_b32_e32 v18, 0
	s_cmp_eq_u32 s48, 1
	s_cbranch_scc1 .LBB169_24
; %bb.16:                               ;   in Loop: Header=BB169_3 Depth=1
	v_add_co_u32 v27, vcc_lo, 0x100, v27
	v_mov_b32_e32 v19, 0
	v_dual_mov_b32 v21, 0 :: v_dual_mov_b32 v20, 0
	v_dual_mov_b32 v23, 0 :: v_dual_mov_b32 v22, 0
	v_mov_b32_e32 v17, 0
	s_wait_alu 0xfffd
	v_add_co_ci_u32_e64 v28, null, 0, v28, vcc_lo
	v_mov_b32_e32 v24, 0
	v_dual_mov_b32 v18, 0 :: v_dual_mov_b32 v25, s42
	v_mov_b32_e32 v26, s43
	s_add_co_i32 s42, s48, -2
	s_mov_b32 s43, 0
.LBB169_17:                             ;   Parent Loop BB169_3 Depth=1
                                        ; =>  This Loop Header: Depth=2
                                        ;       Child Loop BB169_19 Depth 3
	v_add_co_u32 v0, vcc_lo, v27, v7
	s_wait_alu 0xfffd
	v_add_co_ci_u32_e64 v1, null, v28, v8, vcc_lo
	s_delay_alu instid0(VALU_DEP_2)
	v_add_co_u32 v2, vcc_lo, v0, s28
	flat_load_b64 v[45:46], v[0:1] offset:128
	s_wait_alu 0xfffd
	v_add_co_ci_u32_e64 v3, null, s29, v1, vcc_lo
	flat_load_b64 v[47:48], v[2:3] offset:128
	v_add_co_u32 v2, vcc_lo, v2, s28
	s_wait_alu 0xfffd
	v_add_co_ci_u32_e64 v3, null, s29, v3, vcc_lo
	flat_load_b64 v[49:50], v[2:3] offset:128
	v_add_co_u32 v2, vcc_lo, v2, s28
	s_wait_alu 0xfffd
	v_add_co_ci_u32_e64 v3, null, s29, v3, vcc_lo
	v_add_co_u32 v83, vcc_lo, v83, s24
	s_wait_alu 0xfffd
	v_add_co_ci_u32_e64 v84, null, s25, v84, vcc_lo
	flat_load_b64 v[51:52], v[2:3] offset:128
	v_add_co_u32 v2, vcc_lo, v2, s30
	s_wait_alu 0xfffd
	v_add_co_ci_u32_e64 v3, null, s31, v3, vcc_lo
	v_add_co_u32 v29, vcc_lo, v83, v9
	s_wait_alu 0xfffd
	v_add_co_ci_u32_e64 v30, null, v84, v10, vcc_lo
	;; [unrolled: 3-line block ×5, first 2 shown]
	s_clause 0x1
	flat_load_b64 v[55:56], v[29:30]
	flat_load_b64 v[53:54], v[33:34]
	s_clause 0x3
	flat_load_b64 v[35:36], v[0:1] offset:256
	flat_load_b64 v[33:34], v[2:3] offset:256
	;; [unrolled: 1-line block ×4, first 2 shown]
	ds_load_b128 v[0:3], v63
	ds_load_b128 v[57:60], v63 offset:16
	s_wait_loadcnt_dscnt 0x0
	s_barrier_signal -1
	s_barrier_wait -1
	global_inv scope:SCOPE_SE
	v_fma_f64 v[85:86], v[37:38], v[0:1], 0
	s_delay_alu instid0(VALU_DEP_1) | instskip(SKIP_1) | instid1(VALU_DEP_1)
	v_fma_f64 v[85:86], v[39:40], v[2:3], v[85:86]
	v_fma_f64 v[0:1], v[45:46], v[0:1], 0
	;; [unrolled: 1-line block ×3, first 2 shown]
	s_delay_alu instid0(VALU_DEP_3) | instskip(NEXT) | instid1(VALU_DEP_2)
	v_fma_f64 v[2:3], v[41:42], v[57:58], v[85:86]
	v_fma_f64 v[0:1], v[49:50], v[57:58], v[0:1]
	s_delay_alu instid0(VALU_DEP_2) | instskip(NEXT) | instid1(VALU_DEP_2)
	v_fma_f64 v[2:3], v[43:44], v[59:60], v[2:3]
	v_fma_f64 v[0:1], v[51:52], v[59:60], v[0:1]
	ds_store_2addr_b64 v81, v[2:3], v[0:1] offset1:16
	s_wait_loadcnt_dscnt 0x0
	s_barrier_signal -1
	s_barrier_wait -1
	global_inv scope:SCOPE_SE
	s_and_saveexec_b32 s48, s0
	s_cbranch_execz .LBB169_21
; %bb.18:                               ;   in Loop: Header=BB169_17 Depth=2
	ds_load_2addr_b64 v[57:60], v64 offset1:32
	v_add_co_u32 v25, vcc_lo, v25, s26
	s_wait_alu 0xfffd
	v_add_co_ci_u32_e64 v26, null, s27, v26, vcc_lo
	ds_load_2addr_b64 v[85:88], v64 offset0:64 offset1:96
	s_mov_b32 s49, 0
	s_wait_dscnt 0x1
	v_add_f64_e32 v[0:1], 0, v[57:58]
	v_add_co_u32 v57, vcc_lo, v25, v13
	s_wait_alu 0xfffd
	v_add_co_ci_u32_e64 v58, null, v26, v14, vcc_lo
	flat_load_b64 v[2:3], v[57:58]
	v_add_f64_e32 v[0:1], v[0:1], v[59:60]
	s_wait_dscnt 0x1
	s_delay_alu instid0(VALU_DEP_1) | instskip(NEXT) | instid1(VALU_DEP_1)
	v_add_f64_e32 v[0:1], v[0:1], v[85:86]
	v_add_f64_e32 v[0:1], v[0:1], v[87:88]
	ds_load_2addr_b64 v[85:88], v64 offset0:128 offset1:160
	s_wait_dscnt 0x0
	v_add_f64_e32 v[0:1], v[0:1], v[85:86]
	s_delay_alu instid0(VALU_DEP_1) | instskip(SKIP_3) | instid1(VALU_DEP_1)
	v_add_f64_e32 v[0:1], v[0:1], v[87:88]
	ds_load_2addr_b64 v[85:88], v64 offset0:192 offset1:224
	s_wait_dscnt 0x0
	v_add_f64_e32 v[0:1], v[0:1], v[85:86]
	v_add_f64_e32 v[0:1], v[0:1], v[87:88]
	s_delay_alu instid0(VALU_DEP_1)
	v_mul_f64_e32 v[59:60], v[15:16], v[0:1]
.LBB169_19:                             ;   Parent Loop BB169_3 Depth=1
                                        ;     Parent Loop BB169_17 Depth=2
                                        ; =>    This Inner Loop Header: Depth=3
	s_wait_loadcnt 0x0
	s_delay_alu instid0(VALU_DEP_1)
	v_add_f64_e32 v[0:1], v[2:3], v[59:60]
	flat_atomic_cmpswap_b64 v[0:1], v[57:58], v[0:3] th:TH_ATOMIC_RETURN scope:SCOPE_DEV
	s_wait_loadcnt_dscnt 0x0
	v_cmp_eq_u64_e32 vcc_lo, v[0:1], v[2:3]
	v_dual_mov_b32 v3, v1 :: v_dual_mov_b32 v2, v0
	s_wait_alu 0xfffe
	s_or_b32 s49, vcc_lo, s49
	s_wait_alu 0xfffe
	s_and_not1_b32 exec_lo, exec_lo, s49
	s_cbranch_execnz .LBB169_19
; %bb.20:                               ;   in Loop: Header=BB169_17 Depth=2
	s_or_b32 exec_lo, exec_lo, s49
.LBB169_21:                             ;   in Loop: Header=BB169_17 Depth=2
	s_wait_alu 0xfffe
	s_or_b32 exec_lo, exec_lo, s48
	v_fma_f64 v[0:1], v[55:56], v[37:38], v[19:20]
	v_fma_f64 v[2:3], v[55:56], v[39:40], v[23:24]
	;; [unrolled: 1-line block ×4, first 2 shown]
	s_add_co_i32 s48, s43, 1
	s_cmp_eq_u32 s43, s42
	s_delay_alu instid0(VALU_DEP_4) | instskip(NEXT) | instid1(VALU_DEP_4)
	v_fma_f64 v[19:20], v[53:54], v[45:46], v[0:1]
	v_fma_f64 v[23:24], v[53:54], v[47:48], v[2:3]
	s_delay_alu instid0(VALU_DEP_4) | instskip(NEXT) | instid1(VALU_DEP_4)
	v_fma_f64 v[21:22], v[53:54], v[49:50], v[21:22]
	v_fma_f64 v[17:18], v[53:54], v[51:52], v[17:18]
	v_add_co_u32 v0, vcc_lo, 0x100, v27
	s_wait_alu 0xfffd
	v_add_co_ci_u32_e64 v1, null, 0, v28, vcc_lo
	s_cbranch_scc1 .LBB169_25
; %bb.22:                               ;   in Loop: Header=BB169_17 Depth=2
	v_dual_mov_b32 v28, v1 :: v_dual_mov_b32 v27, v0
	v_dual_mov_b32 v38, v36 :: v_dual_mov_b32 v37, v35
	;; [unrolled: 1-line block ×5, first 2 shown]
	s_wait_alu 0xfffe
	s_mov_b32 s43, s48
	s_branch .LBB169_17
.LBB169_23:                             ;   in Loop: Header=BB169_3 Depth=1
	v_dual_mov_b32 v0, 0 :: v_dual_mov_b32 v17, 0
	v_dual_mov_b32 v1, 0 :: v_dual_mov_b32 v2, 0
	;; [unrolled: 1-line block ×4, first 2 shown]
	s_branch .LBB169_29
.LBB169_24:                             ;   in Loop: Header=BB169_3 Depth=1
	v_mov_b32_e32 v21, 0
	v_dual_mov_b32 v19, 0 :: v_dual_mov_b32 v22, 0
	v_dual_mov_b32 v23, 0 :: v_dual_mov_b32 v20, 0
	s_wait_loadcnt_dscnt 0x303
	v_mov_b32_e32 v35, v37
	v_dual_mov_b32 v25, s42 :: v_dual_mov_b32 v26, s43
	s_wait_loadcnt_dscnt 0x0
	v_dual_mov_b32 v29, v43 :: v_dual_mov_b32 v30, v44
	v_dual_mov_b32 v31, v41 :: v_dual_mov_b32 v32, v42
	;; [unrolled: 1-line block ×3, first 2 shown]
	v_mov_b32_e32 v24, 0
	v_mov_b32_e32 v36, v38
.LBB169_25:                             ;   in Loop: Header=BB169_3 Depth=1
	v_add_co_u32 v0, vcc_lo, v27, v7
	s_wait_alu 0xfffd
	v_add_co_ci_u32_e64 v1, null, v28, v8, vcc_lo
	flat_load_b64 v[27:28], v[0:1] offset:384
	v_add_co_u32 v0, vcc_lo, v0, s28
	s_wait_alu 0xfffd
	v_add_co_ci_u32_e64 v1, null, s29, v1, vcc_lo
	flat_load_b64 v[37:38], v[0:1] offset:384
	;; [unrolled: 4-line block ×3, first 2 shown]
	v_add_co_u32 v0, vcc_lo, v0, s28
	s_wait_alu 0xfffd
	v_add_co_ci_u32_e64 v1, null, s29, v1, vcc_lo
	v_add_co_u32 v2, vcc_lo, v83, s24
	s_wait_alu 0xfffd
	v_add_co_ci_u32_e64 v3, null, s25, v84, vcc_lo
	flat_load_b64 v[41:42], v[0:1] offset:384
	v_add_co_u32 v0, vcc_lo, v2, v9
	s_wait_alu 0xfffd
	v_add_co_ci_u32_e64 v1, null, v3, v10, vcc_lo
	v_add_co_u32 v2, vcc_lo, v2, v11
	s_wait_alu 0xfffd
	v_add_co_ci_u32_e64 v3, null, v3, v12, vcc_lo
	s_clause 0x1
	flat_load_b64 v[45:46], v[0:1]
	flat_load_b64 v[43:44], v[2:3]
	ds_load_b128 v[0:3], v63
	ds_load_b128 v[47:50], v63 offset:16
	s_wait_loadcnt_dscnt 0x0
	s_barrier_signal -1
	s_barrier_wait -1
	global_inv scope:SCOPE_SE
	v_fma_f64 v[51:52], v[35:36], v[0:1], 0
	s_delay_alu instid0(VALU_DEP_1) | instskip(SKIP_1) | instid1(VALU_DEP_1)
	v_fma_f64 v[51:52], v[33:34], v[2:3], v[51:52]
	v_fma_f64 v[0:1], v[27:28], v[0:1], 0
	;; [unrolled: 1-line block ×3, first 2 shown]
	s_delay_alu instid0(VALU_DEP_3) | instskip(NEXT) | instid1(VALU_DEP_2)
	v_fma_f64 v[2:3], v[31:32], v[47:48], v[51:52]
	v_fma_f64 v[0:1], v[39:40], v[47:48], v[0:1]
	s_delay_alu instid0(VALU_DEP_2) | instskip(NEXT) | instid1(VALU_DEP_2)
	v_fma_f64 v[2:3], v[29:30], v[49:50], v[2:3]
	v_fma_f64 v[0:1], v[41:42], v[49:50], v[0:1]
	ds_store_2addr_b64 v81, v[2:3], v[0:1] offset1:16
	s_wait_loadcnt_dscnt 0x0
	s_barrier_signal -1
	s_barrier_wait -1
	global_inv scope:SCOPE_SE
	s_and_saveexec_b32 s42, s0
	s_cbranch_execz .LBB169_28
; %bb.26:                               ;   in Loop: Header=BB169_3 Depth=1
	ds_load_2addr_b64 v[47:50], v64 offset1:32
	v_add_co_u32 v2, vcc_lo, v25, s26
	s_wait_alu 0xfffd
	v_add_co_ci_u32_e64 v3, null, s27, v26, vcc_lo
	s_mov_b32 s43, 0
	v_add_co_u32 v25, vcc_lo, v2, v13
	s_wait_alu 0xfffd
	v_add_co_ci_u32_e64 v26, null, v3, v14, vcc_lo
	flat_load_b64 v[2:3], v[25:26]
	s_wait_dscnt 0x1
	v_add_f64_e32 v[0:1], 0, v[47:48]
	s_delay_alu instid0(VALU_DEP_1) | instskip(SKIP_3) | instid1(VALU_DEP_1)
	v_add_f64_e32 v[0:1], v[0:1], v[49:50]
	ds_load_2addr_b64 v[47:50], v64 offset0:64 offset1:96
	s_wait_dscnt 0x0
	v_add_f64_e32 v[0:1], v[0:1], v[47:48]
	v_add_f64_e32 v[0:1], v[0:1], v[49:50]
	ds_load_2addr_b64 v[47:50], v64 offset0:128 offset1:160
	s_wait_dscnt 0x0
	v_add_f64_e32 v[0:1], v[0:1], v[47:48]
	s_delay_alu instid0(VALU_DEP_1) | instskip(SKIP_3) | instid1(VALU_DEP_1)
	v_add_f64_e32 v[0:1], v[0:1], v[49:50]
	ds_load_2addr_b64 v[47:50], v64 offset0:192 offset1:224
	s_wait_dscnt 0x0
	v_add_f64_e32 v[0:1], v[0:1], v[47:48]
	v_add_f64_e32 v[0:1], v[0:1], v[49:50]
	s_delay_alu instid0(VALU_DEP_1)
	v_mul_f64_e32 v[47:48], v[15:16], v[0:1]
.LBB169_27:                             ;   Parent Loop BB169_3 Depth=1
                                        ; =>  This Inner Loop Header: Depth=2
	s_wait_loadcnt 0x0
	s_delay_alu instid0(VALU_DEP_1)
	v_add_f64_e32 v[0:1], v[2:3], v[47:48]
	flat_atomic_cmpswap_b64 v[0:1], v[25:26], v[0:3] th:TH_ATOMIC_RETURN scope:SCOPE_DEV
	s_wait_loadcnt_dscnt 0x0
	v_cmp_eq_u64_e32 vcc_lo, v[0:1], v[2:3]
	v_dual_mov_b32 v3, v1 :: v_dual_mov_b32 v2, v0
	s_wait_alu 0xfffe
	s_or_b32 s43, vcc_lo, s43
	s_wait_alu 0xfffe
	s_and_not1_b32 exec_lo, exec_lo, s43
	s_cbranch_execnz .LBB169_27
.LBB169_28:                             ;   in Loop: Header=BB169_3 Depth=1
	s_wait_alu 0xfffe
	s_or_b32 exec_lo, exec_lo, s42
	v_fma_f64 v[0:1], v[45:46], v[35:36], v[19:20]
	v_fma_f64 v[2:3], v[45:46], v[33:34], v[23:24]
	;; [unrolled: 1-line block ×4, first 2 shown]
	s_delay_alu instid0(VALU_DEP_4) | instskip(NEXT) | instid1(VALU_DEP_4)
	v_fma_f64 v[19:20], v[43:44], v[27:28], v[0:1]
	v_fma_f64 v[17:18], v[43:44], v[37:38], v[2:3]
	s_delay_alu instid0(VALU_DEP_4) | instskip(NEXT) | instid1(VALU_DEP_4)
	v_fma_f64 v[2:3], v[43:44], v[39:40], v[21:22]
	v_fma_f64 v[0:1], v[43:44], v[41:42], v[23:24]
.LBB169_29:                             ;   in Loop: Header=BB169_3 Depth=1
	ds_store_2addr_b64 v82, v[19:20], v[17:18] offset1:16
	ds_store_2addr_b64 v82, v[2:3], v[0:1] offset0:32 offset1:48
	s_wait_loadcnt_dscnt 0x0
	s_barrier_signal -1
	s_barrier_wait -1
	global_inv scope:SCOPE_SE
	s_and_b32 exec_lo, exec_lo, s0
	s_cbranch_execz .LBB169_2
; %bb.30:                               ;   in Loop: Header=BB169_3 Depth=1
	ds_load_b64 v[0:1], v65
	ds_load_b64 v[2:3], v66
	;; [unrolled: 1-line block ×4, first 2 shown]
	s_wait_dscnt 0x3
	v_add_f64_e32 v[0:1], 0, v[0:1]
	s_wait_dscnt 0x2
	s_delay_alu instid0(VALU_DEP_1) | instskip(SKIP_1) | instid1(VALU_DEP_1)
	v_add_f64_e32 v[0:1], v[0:1], v[2:3]
	s_wait_dscnt 0x1
	v_add_f64_e32 v[0:1], v[0:1], v[17:18]
	s_wait_dscnt 0x0
	s_delay_alu instid0(VALU_DEP_1)
	v_add_f64_e32 v[0:1], v[0:1], v[19:20]
	ds_load_b64 v[2:3], v69
	ds_load_b64 v[17:18], v70
	;; [unrolled: 1-line block ×4, first 2 shown]
	s_wait_dscnt 0x3
	v_add_f64_e32 v[0:1], v[0:1], v[2:3]
	s_wait_dscnt 0x2
	s_delay_alu instid0(VALU_DEP_1)
	v_add_f64_e32 v[0:1], v[0:1], v[17:18]
	s_wait_alu 0xfffe
	v_add_co_u32 v17, vcc_lo, s40, v13
	s_wait_alu 0xfffd
	v_add_co_ci_u32_e64 v18, null, s41, v14, vcc_lo
	s_mov_b32 s40, 0
	s_wait_dscnt 0x1
	v_add_f64_e32 v[0:1], v[0:1], v[19:20]
	s_wait_dscnt 0x0
	s_delay_alu instid0(VALU_DEP_1)
	v_add_f64_e32 v[0:1], v[0:1], v[21:22]
	ds_load_b64 v[2:3], v73
	ds_load_b64 v[19:20], v74
	;; [unrolled: 1-line block ×4, first 2 shown]
	s_wait_dscnt 0x3
	v_add_f64_e32 v[0:1], v[0:1], v[2:3]
	flat_load_b64 v[2:3], v[17:18]
	s_wait_dscnt 0x3
	v_add_f64_e32 v[0:1], v[0:1], v[19:20]
	s_wait_dscnt 0x2
	s_delay_alu instid0(VALU_DEP_1) | instskip(SKIP_1) | instid1(VALU_DEP_1)
	v_add_f64_e32 v[0:1], v[0:1], v[21:22]
	s_wait_dscnt 0x1
	v_add_f64_e32 v[0:1], v[0:1], v[23:24]
	ds_load_b64 v[19:20], v77
	ds_load_b64 v[21:22], v78
	;; [unrolled: 1-line block ×4, first 2 shown]
	s_wait_dscnt 0x3
	v_add_f64_e32 v[0:1], v[0:1], v[19:20]
	s_wait_dscnt 0x2
	s_delay_alu instid0(VALU_DEP_1) | instskip(SKIP_1) | instid1(VALU_DEP_1)
	v_add_f64_e32 v[0:1], v[0:1], v[21:22]
	s_wait_dscnt 0x1
	v_add_f64_e32 v[0:1], v[0:1], v[23:24]
	s_wait_dscnt 0x0
	s_delay_alu instid0(VALU_DEP_1) | instskip(NEXT) | instid1(VALU_DEP_1)
	v_add_f64_e32 v[0:1], v[0:1], v[25:26]
	v_mul_f64_e32 v[15:16], v[15:16], v[0:1]
.LBB169_31:                             ;   Parent Loop BB169_3 Depth=1
                                        ; =>  This Inner Loop Header: Depth=2
	s_wait_loadcnt 0x0
	s_delay_alu instid0(VALU_DEP_1)
	v_add_f64_e32 v[0:1], v[2:3], v[15:16]
	flat_atomic_cmpswap_b64 v[0:1], v[17:18], v[0:3] th:TH_ATOMIC_RETURN scope:SCOPE_DEV
	s_wait_loadcnt_dscnt 0x0
	v_cmp_eq_u64_e32 vcc_lo, v[0:1], v[2:3]
	v_dual_mov_b32 v3, v1 :: v_dual_mov_b32 v2, v0
	s_wait_alu 0xfffe
	s_or_b32 s40, vcc_lo, s40
	s_wait_alu 0xfffe
	s_and_not1_b32 exec_lo, exec_lo, s40
	s_cbranch_execnz .LBB169_31
	s_branch .LBB169_2
.LBB169_32:
	s_endpgm
	.section	.rodata,"a",@progbits
	.p2align	6, 0x0
	.amdhsa_kernel _ZL54rocblas_symv_kernel_lower_double_buffered_non_diagonalILi32ELi4ELi4E24rocblas_internal_val_ptrIdEPKPKdPKPdEvbiT2_lT3_lllSA_lllT4_llli
		.amdhsa_group_segment_fixed_size 7424
		.amdhsa_private_segment_fixed_size 0
		.amdhsa_kernarg_size 384
		.amdhsa_user_sgpr_count 4
		.amdhsa_user_sgpr_dispatch_ptr 1
		.amdhsa_user_sgpr_queue_ptr 0
		.amdhsa_user_sgpr_kernarg_segment_ptr 1
		.amdhsa_user_sgpr_dispatch_id 0
		.amdhsa_user_sgpr_private_segment_size 0
		.amdhsa_wavefront_size32 1
		.amdhsa_uses_dynamic_stack 0
		.amdhsa_enable_private_segment 0
		.amdhsa_system_sgpr_workgroup_id_x 1
		.amdhsa_system_sgpr_workgroup_id_y 1
		.amdhsa_system_sgpr_workgroup_id_z 1
		.amdhsa_system_sgpr_workgroup_info 0
		.amdhsa_system_vgpr_workitem_id 2
		.amdhsa_next_free_vgpr 89
		.amdhsa_next_free_sgpr 54
		.amdhsa_reserve_vcc 1
		.amdhsa_float_round_mode_32 0
		.amdhsa_float_round_mode_16_64 0
		.amdhsa_float_denorm_mode_32 3
		.amdhsa_float_denorm_mode_16_64 3
		.amdhsa_fp16_overflow 0
		.amdhsa_workgroup_processor_mode 1
		.amdhsa_memory_ordered 1
		.amdhsa_forward_progress 1
		.amdhsa_inst_pref_size 30
		.amdhsa_round_robin_scheduling 0
		.amdhsa_exception_fp_ieee_invalid_op 0
		.amdhsa_exception_fp_denorm_src 0
		.amdhsa_exception_fp_ieee_div_zero 0
		.amdhsa_exception_fp_ieee_overflow 0
		.amdhsa_exception_fp_ieee_underflow 0
		.amdhsa_exception_fp_ieee_inexact 0
		.amdhsa_exception_int_div_zero 0
	.end_amdhsa_kernel
	.section	.text._ZL54rocblas_symv_kernel_lower_double_buffered_non_diagonalILi32ELi4ELi4E24rocblas_internal_val_ptrIdEPKPKdPKPdEvbiT2_lT3_lllSA_lllT4_llli,"axG",@progbits,_ZL54rocblas_symv_kernel_lower_double_buffered_non_diagonalILi32ELi4ELi4E24rocblas_internal_val_ptrIdEPKPKdPKPdEvbiT2_lT3_lllSA_lllT4_llli,comdat
.Lfunc_end169:
	.size	_ZL54rocblas_symv_kernel_lower_double_buffered_non_diagonalILi32ELi4ELi4E24rocblas_internal_val_ptrIdEPKPKdPKPdEvbiT2_lT3_lllSA_lllT4_llli, .Lfunc_end169-_ZL54rocblas_symv_kernel_lower_double_buffered_non_diagonalILi32ELi4ELi4E24rocblas_internal_val_ptrIdEPKPKdPKPdEvbiT2_lT3_lllSA_lllT4_llli
                                        ; -- End function
	.set _ZL54rocblas_symv_kernel_lower_double_buffered_non_diagonalILi32ELi4ELi4E24rocblas_internal_val_ptrIdEPKPKdPKPdEvbiT2_lT3_lllSA_lllT4_llli.num_vgpr, 89
	.set _ZL54rocblas_symv_kernel_lower_double_buffered_non_diagonalILi32ELi4ELi4E24rocblas_internal_val_ptrIdEPKPKdPKPdEvbiT2_lT3_lllSA_lllT4_llli.num_agpr, 0
	.set _ZL54rocblas_symv_kernel_lower_double_buffered_non_diagonalILi32ELi4ELi4E24rocblas_internal_val_ptrIdEPKPKdPKPdEvbiT2_lT3_lllSA_lllT4_llli.numbered_sgpr, 54
	.set _ZL54rocblas_symv_kernel_lower_double_buffered_non_diagonalILi32ELi4ELi4E24rocblas_internal_val_ptrIdEPKPKdPKPdEvbiT2_lT3_lllSA_lllT4_llli.num_named_barrier, 0
	.set _ZL54rocblas_symv_kernel_lower_double_buffered_non_diagonalILi32ELi4ELi4E24rocblas_internal_val_ptrIdEPKPKdPKPdEvbiT2_lT3_lllSA_lllT4_llli.private_seg_size, 0
	.set _ZL54rocblas_symv_kernel_lower_double_buffered_non_diagonalILi32ELi4ELi4E24rocblas_internal_val_ptrIdEPKPKdPKPdEvbiT2_lT3_lllSA_lllT4_llli.uses_vcc, 1
	.set _ZL54rocblas_symv_kernel_lower_double_buffered_non_diagonalILi32ELi4ELi4E24rocblas_internal_val_ptrIdEPKPKdPKPdEvbiT2_lT3_lllSA_lllT4_llli.uses_flat_scratch, 1
	.set _ZL54rocblas_symv_kernel_lower_double_buffered_non_diagonalILi32ELi4ELi4E24rocblas_internal_val_ptrIdEPKPKdPKPdEvbiT2_lT3_lllSA_lllT4_llli.has_dyn_sized_stack, 0
	.set _ZL54rocblas_symv_kernel_lower_double_buffered_non_diagonalILi32ELi4ELi4E24rocblas_internal_val_ptrIdEPKPKdPKPdEvbiT2_lT3_lllSA_lllT4_llli.has_recursion, 0
	.set _ZL54rocblas_symv_kernel_lower_double_buffered_non_diagonalILi32ELi4ELi4E24rocblas_internal_val_ptrIdEPKPKdPKPdEvbiT2_lT3_lllSA_lllT4_llli.has_indirect_call, 0
	.section	.AMDGPU.csdata,"",@progbits
; Kernel info:
; codeLenInByte = 3824
; TotalNumSgprs: 56
; NumVgprs: 89
; ScratchSize: 0
; MemoryBound: 0
; FloatMode: 240
; IeeeMode: 1
; LDSByteSize: 7424 bytes/workgroup (compile time only)
; SGPRBlocks: 0
; VGPRBlocks: 11
; NumSGPRsForWavesPerEU: 56
; NumVGPRsForWavesPerEU: 89
; Occupancy: 16
; WaveLimiterHint : 1
; COMPUTE_PGM_RSRC2:SCRATCH_EN: 0
; COMPUTE_PGM_RSRC2:USER_SGPR: 4
; COMPUTE_PGM_RSRC2:TRAP_HANDLER: 0
; COMPUTE_PGM_RSRC2:TGID_X_EN: 1
; COMPUTE_PGM_RSRC2:TGID_Y_EN: 1
; COMPUTE_PGM_RSRC2:TGID_Z_EN: 1
; COMPUTE_PGM_RSRC2:TIDIG_COMP_CNT: 2
	.section	.text._ZL58rocblas_symv_kernel_lower_double_buffered_diagonal_genericILi32ELi4E24rocblas_internal_val_ptrIdEPKPKdPKPdEvbiT1_lT2_lllSA_lllS9_lT3_lllii,"axG",@progbits,_ZL58rocblas_symv_kernel_lower_double_buffered_diagonal_genericILi32ELi4E24rocblas_internal_val_ptrIdEPKPKdPKPdEvbiT1_lT2_lllSA_lllS9_lT3_lllii,comdat
	.globl	_ZL58rocblas_symv_kernel_lower_double_buffered_diagonal_genericILi32ELi4E24rocblas_internal_val_ptrIdEPKPKdPKPdEvbiT1_lT2_lllSA_lllS9_lT3_lllii ; -- Begin function _ZL58rocblas_symv_kernel_lower_double_buffered_diagonal_genericILi32ELi4E24rocblas_internal_val_ptrIdEPKPKdPKPdEvbiT1_lT2_lllSA_lllS9_lT3_lllii
	.p2align	8
	.type	_ZL58rocblas_symv_kernel_lower_double_buffered_diagonal_genericILi32ELi4E24rocblas_internal_val_ptrIdEPKPKdPKPdEvbiT1_lT2_lllSA_lllS9_lT3_lllii,@function
_ZL58rocblas_symv_kernel_lower_double_buffered_diagonal_genericILi32ELi4E24rocblas_internal_val_ptrIdEPKPKdPKPdEvbiT1_lT2_lllSA_lllS9_lT3_lllii: ; @_ZL58rocblas_symv_kernel_lower_double_buffered_diagonal_genericILi32ELi4E24rocblas_internal_val_ptrIdEPKPKdPKPdEvbiT1_lT2_lllSA_lllS9_lT3_lllii
; %bb.0:
	s_clause 0x2
	s_load_b256 s[12:19], s[0:1], 0x8
	s_load_b128 s[20:23], s[0:1], 0x58
	s_load_b64 s[34:35], s[0:1], 0x88
	s_wait_kmcnt 0x0
	v_dual_mov_b32 v1, s12 :: v_dual_mov_b32 v2, s13
	v_dual_mov_b32 v3, s20 :: v_dual_mov_b32 v4, s21
	s_lshr_b32 s12, ttmp7, 16
	s_clause 0x1
	scratch_store_b64 off, v[1:2], off
	scratch_store_b64 off, v[3:4], off offset:8
	s_wait_alu 0xfffe
	s_cmp_ge_u32 s12, s35
	s_cbranch_scc1 .LBB170_75
; %bb.1:
	s_clause 0x4
	s_load_b128 s[28:31], s[0:1], 0x70
	s_load_b64 s[20:21], s[0:1], 0x28
	s_load_b64 s[2:3], s[0:1], 0x48
	s_load_b32 s4, s[0:1], 0x0
	s_load_b64 s[36:37], s[0:1], 0x68
	v_and_b32_e32 v10, 0x3ff, v0
	v_bfe_u32 v11, v0, 10, 10
	s_load_b128 s[24:27], s[0:1], 0x38
	s_add_nc_u64 s[38:39], s[0:1], 0x90
	s_mov_b32 s13, 0
	s_delay_alu instid0(VALU_DEP_1) | instskip(SKIP_1) | instid1(VALU_DEP_2)
	v_lshlrev_b32_e32 v15, 3, v11
	v_cmp_eq_u32_e64 s0, 0, v11
	v_add_nc_u32_e32 v21, 0x2800, v15
	s_wait_kmcnt 0x0
	v_mad_co_u64_u32 v[4:5], null, s30, v10, 0
	v_mad_co_u64_u32 v[1:2], null, s20, v11, 0
	s_bitcmp1_b32 s4, 0
	s_add_nc_u64 s[4:5], s[20:21], 1
	s_cselect_b32 s8, -1, 0
	s_lshl_b32 s6, ttmp9, 5
	v_mov_b32_e32 v3, v5
	v_mad_co_u64_u32 v[6:7], null, s2, v10, 0
	v_dual_mov_b32 v0, 0 :: v_dual_lshlrev_b32 v13, 3, v10
	s_ashr_i32 s7, s6, 31
	s_xor_b32 s46, s8, -1
	s_mul_u64 s[10:11], s[30:31], s[6:7]
	s_mul_u64 s[40:41], s[4:5], s[6:7]
	s_delay_alu instid0(VALU_DEP_2) | instskip(SKIP_2) | instid1(VALU_DEP_3)
	v_dual_mov_b32 v5, v7 :: v_dual_add_nc_u32 v18, 0x2800, v13
	v_mad_co_u64_u32 v[7:8], null, s31, v10, v[3:4]
	v_mad_co_u64_u32 v[2:3], null, s21, v11, v[2:3]
	;; [unrolled: 1-line block ×3, first 2 shown]
	v_sub_co_u32 v3, s47, v10, v11
	v_lshlrev_b32_e32 v9, 8, v11
	v_mov_b32_e32 v5, v7
	s_mul_u64 s[44:45], s[2:3], s[6:7]
	v_lshl_add_u32 v12, v11, 5, v10
	v_mov_b32_e32 v7, v8
	v_sub_nc_u32_e32 v8, 0, v3
	s_lshl_b64 s[30:31], s[20:21], 5
	s_lshr_b32 s48, s34, 2
	s_cmp_gt_u32 s34, 3
	v_mul_u32_u24_e32 v14, 0xf8, v10
	v_max_i32_e32 v3, v3, v8
	s_cselect_b32 s49, -1, 0
	s_lshl_b64 s[40:41], s[40:41], 3
	s_and_b32 s2, s34, 3
	v_lshl_add_u32 v22, v12, 3, 0x2000
	v_cmp_gt_u32_e64 s3, 4, v3
	v_cmp_gt_u32_e64 s4, 8, v3
	v_cmp_gt_u32_e64 s5, 12, v3
	v_cmp_gt_u32_e64 s6, 16, v3
	v_cmp_gt_u32_e64 s7, 20, v3
	v_cmp_gt_u32_e64 s8, 24, v3
	v_cmp_gt_u32_e64 s9, 28, v3
	v_lshlrev_b64_e32 v[2:3], 3, v[1:2]
	v_add_nc_u32_e32 v19, v13, v9
	s_wait_alu 0xfffe
	v_cmp_gt_u32_e64 s2, s2, v11
	v_add3_u32 v20, v13, v14, v15
	v_add_nc_u32_e32 v8, 0x400, v9
	v_add_nc_u32_e32 v11, 0x800, v9
	v_add_co_u32 v12, vcc_lo, s40, v2
	v_add_nc_u32_e32 v14, 0xc00, v9
	v_add_nc_u32_e32 v16, 0x1c00, v9
	;; [unrolled: 1-line block ×5, first 2 shown]
	v_add_co_ci_u32_e64 v17, null, s41, v3, vcc_lo
	v_add_co_u32 v24, vcc_lo, v12, v13
	v_lshlrev_b64_e32 v[4:5], 3, v[4:5]
	v_lshlrev_b64_e32 v[6:7], 3, v[6:7]
	v_cmp_gt_i32_e64 s33, s34, v10
	v_cmp_le_i32_e64 s1, s34, v10
	v_or_b32_e32 v23, 0x2000, v13
	s_wait_alu 0xfffd
	v_add_co_ci_u32_e64 v25, null, 0, v17, vcc_lo
	v_lshlrev_b32_e32 v26, 3, v10
	v_add_nc_u32_e32 v27, v13, v8
	v_add_nc_u32_e32 v28, v13, v11
	;; [unrolled: 1-line block ×7, first 2 shown]
	s_lshl_b64 s[18:19], s[18:19], 3
	s_lshl_b64 s[26:27], s[26:27], 3
	;; [unrolled: 1-line block ×5, first 2 shown]
	s_branch .LBB170_4
.LBB170_2:                              ;   in Loop: Header=BB170_4 Depth=1
	s_wait_alu 0xfffe
	s_or_b32 exec_lo, exec_lo, s11
.LBB170_3:                              ;   in Loop: Header=BB170_4 Depth=1
	s_wait_alu 0xfffe
	s_or_b32 exec_lo, exec_lo, s34
	s_add_co_i32 s12, s12, 0x10000
	s_wait_alu 0xfffe
	s_cmp_lt_u32 s12, s35
	s_cbranch_scc0 .LBB170_75
.LBB170_4:                              ; =>This Loop Header: Depth=1
                                        ;     Child Loop BB170_46 Depth 2
	s_and_b32 vcc_lo, exec_lo, s46
	s_mov_b32 s10, -1
                                        ; implicit-def: $vgpr8_vgpr9
	s_wait_alu 0xfffe
	s_cbranch_vccnz .LBB170_65
; %bb.5:                                ;   in Loop: Header=BB170_4 Depth=1
	s_and_not1_b32 vcc_lo, exec_lo, s10
	s_wait_alu 0xfffe
	s_cbranch_vccz .LBB170_66
.LBB170_6:                              ;   in Loop: Header=BB170_4 Depth=1
	s_and_b32 vcc_lo, exec_lo, s46
	s_mov_b32 s10, -1
                                        ; implicit-def: $vgpr10_vgpr11
	s_wait_alu 0xfffe
	s_cbranch_vccnz .LBB170_67
.LBB170_7:                              ;   in Loop: Header=BB170_4 Depth=1
	s_and_not1_b32 vcc_lo, exec_lo, s10
	s_wait_alu 0xfffe
	s_cbranch_vccnz .LBB170_9
.LBB170_8:                              ;   in Loop: Header=BB170_4 Depth=1
	s_wait_loadcnt_dscnt 0x0
	scratch_load_b64 v[10:11], off, off offset:8
.LBB170_9:                              ;   in Loop: Header=BB170_4 Depth=1
	s_wait_loadcnt_dscnt 0x0
	v_cmp_neq_f64_e32 vcc_lo, 0, v[8:9]
	v_cmp_neq_f64_e64 s10, 1.0, v[10:11]
	s_or_b32 s10, vcc_lo, s10
	s_wait_alu 0xfffe
	s_and_saveexec_b32 s34, s10
	s_cbranch_execz .LBB170_3
; %bb.10:                               ;   in Loop: Header=BB170_4 Depth=1
	v_cmp_neq_f64_e64 s10, 0, v[8:9]
	v_cmp_eq_f64_e32 vcc_lo, 0, v[8:9]
	v_dual_mov_b32 v17, s13 :: v_dual_mov_b32 v16, s12
	s_and_saveexec_b32 s11, vcc_lo
	s_wait_alu 0xfffe
	s_xor_b32 s11, exec_lo, s11
; %bb.11:                               ;   in Loop: Header=BB170_4 Depth=1
	v_dual_mov_b32 v17, s13 :: v_dual_mov_b32 v16, s12
; %bb.12:                               ;   in Loop: Header=BB170_4 Depth=1
	s_wait_alu 0xfffe
	s_or_saveexec_b32 s50, s11
	v_mov_b32_e32 v12, 0
	v_dual_mov_b32 v13, 0 :: v_dual_mov_b32 v14, 0
	v_mov_b32_e32 v15, 0
	s_wait_alu 0xfffe
	s_xor_b32 exec_lo, exec_lo, s50
	s_cbranch_execz .LBB170_14
; %bb.13:                               ;   in Loop: Header=BB170_4 Depth=1
	s_lshl_b64 s[52:53], s[12:13], 3
	s_wait_alu 0xfffe
	s_add_nc_u64 s[52:53], s[16:17], s[52:53]
	global_load_b64 v[14:15], v0, s[52:53]
	s_wait_loadcnt 0x0
	v_add_co_u32 v14, s11, v14, s18
	s_wait_alu 0xf1ff
	v_add_co_ci_u32_e64 v15, null, s19, v15, s11
.LBB170_14:                             ;   in Loop: Header=BB170_4 Depth=1
	s_or_b32 exec_lo, exec_lo, s50
	v_lshlrev_b64_e32 v[16:17], 3, v[16:17]
	s_and_saveexec_b32 s11, s10
	s_cbranch_execz .LBB170_16
; %bb.15:                               ;   in Loop: Header=BB170_4 Depth=1
	s_delay_alu instid0(VALU_DEP_1) | instskip(SKIP_1) | instid1(VALU_DEP_2)
	v_add_co_u32 v12, s10, s24, v16
	s_wait_alu 0xf1ff
	v_add_co_ci_u32_e64 v13, null, s25, v17, s10
	global_load_b64 v[12:13], v[12:13], off
	s_wait_loadcnt 0x0
	v_add_co_u32 v12, s10, v12, s26
	s_wait_alu 0xf1ff
	v_add_co_ci_u32_e64 v13, null, s27, v13, s10
.LBB170_16:                             ;   in Loop: Header=BB170_4 Depth=1
	s_wait_alu 0xfffe
	s_or_b32 exec_lo, exec_lo, s11
	s_delay_alu instid0(VALU_DEP_1)
	v_add_co_u32 v16, s10, s36, v16
	s_wait_alu 0xf1ff
	v_add_co_ci_u32_e64 v17, null, s37, v17, s10
	global_load_b64 v[16:17], v[16:17], off
	s_wait_loadcnt 0x0
	v_add_co_u32 v1, s10, v16, s28
	s_wait_alu 0xf1ff
	v_add_co_ci_u32_e64 v16, null, s29, v17, s10
	s_delay_alu instid0(VALU_DEP_2) | instskip(SKIP_1) | instid1(VALU_DEP_2)
	v_add_co_u32 v34, s10, v1, s42
	s_wait_alu 0xf1ff
	v_add_co_ci_u32_e64 v35, null, s43, v16, s10
	s_and_saveexec_b32 s10, vcc_lo
	s_wait_alu 0xfffe
	s_xor_b32 s10, exec_lo, s10
	s_cbranch_execz .LBB170_23
; %bb.17:                               ;   in Loop: Header=BB170_4 Depth=1
	s_and_saveexec_b32 s11, s0
	s_cbranch_execz .LBB170_22
; %bb.18:                               ;   in Loop: Header=BB170_4 Depth=1
	s_mov_b32 s51, s33
	s_and_saveexec_b32 s50, s1
	s_cbranch_execz .LBB170_20
; %bb.19:                               ;   in Loop: Header=BB170_4 Depth=1
	s_load_b32 s51, s[38:39], 0x0
	s_wait_kmcnt 0x0
	s_add_co_i32 s51, s51, -1
	s_wait_alu 0xfffe
	s_cmp_lt_u32 ttmp9, s51
	s_cselect_b32 s51, -1, 0
	s_and_not1_b32 s52, s33, exec_lo
	s_wait_alu 0xfffe
	s_and_b32 s51, s51, exec_lo
	s_wait_alu 0xfffe
	s_or_b32 s51, s52, s51
.LBB170_20:                             ;   in Loop: Header=BB170_4 Depth=1
	s_wait_alu 0xfffe
	s_or_b32 exec_lo, exec_lo, s50
	s_delay_alu instid0(SALU_CYCLE_1)
	s_and_b32 exec_lo, exec_lo, s51
	s_cbranch_execz .LBB170_22
; %bb.21:                               ;   in Loop: Header=BB170_4 Depth=1
	v_add_co_u32 v8, vcc_lo, v34, v4
	s_wait_alu 0xfffd
	v_add_co_ci_u32_e64 v9, null, v35, v5, vcc_lo
	flat_load_b64 v[12:13], v[8:9]
	s_wait_loadcnt_dscnt 0x0
	v_mul_f64_e32 v[10:11], v[10:11], v[12:13]
	flat_store_b64 v[8:9], v[10:11]
.LBB170_22:                             ;   in Loop: Header=BB170_4 Depth=1
	s_wait_alu 0xfffe
	s_or_b32 exec_lo, exec_lo, s11
                                        ; implicit-def: $vgpr8_vgpr9
                                        ; implicit-def: $vgpr10_vgpr11
                                        ; implicit-def: $vgpr34
                                        ; implicit-def: $vgpr35
                                        ; implicit-def: $vgpr14_vgpr15
                                        ; implicit-def: $vgpr12_vgpr13
.LBB170_23:                             ;   in Loop: Header=BB170_4 Depth=1
	s_wait_alu 0xfffe
	s_and_not1_saveexec_b32 s10, s10
	s_cbranch_execz .LBB170_3
; %bb.24:                               ;   in Loop: Header=BB170_4 Depth=1
	s_load_b32 s10, s[38:39], 0x0
	v_add_co_u32 v1, vcc_lo, v12, s44
	s_wait_alu 0xfffd
	v_add_co_ci_u32_e64 v16, null, s45, v13, vcc_lo
	s_mov_b32 s11, -1
                                        ; implicit-def: $vgpr12_vgpr13
	s_wait_kmcnt 0x0
	s_add_co_i32 s10, s10, -1
	s_wait_alu 0xfffe
	s_cmp_lg_u32 ttmp9, s10
	s_cselect_b32 s10, -1, 0
	s_wait_alu 0xfffe
	s_and_b32 vcc_lo, exec_lo, s10
	s_wait_alu 0xfffe
	s_cbranch_vccz .LBB170_30
; %bb.25:                               ;   in Loop: Header=BB170_4 Depth=1
	v_mov_b32_e32 v12, 0
	v_mov_b32_e32 v13, 0
	s_and_saveexec_b32 s11, s0
	s_cbranch_execz .LBB170_29
; %bb.26:                               ;   in Loop: Header=BB170_4 Depth=1
	v_add_co_u32 v12, vcc_lo, v1, v6
	s_wait_alu 0xfffd
	v_add_co_ci_u32_e64 v13, null, v16, v7, vcc_lo
	s_mov_b32 s50, exec_lo
	flat_load_b64 v[36:37], v[12:13]
	v_mov_b32_e32 v12, 0
	v_mov_b32_e32 v13, 0
	s_wait_loadcnt_dscnt 0x0
	ds_store_b64 v18, v[36:37]
	v_cmpx_neq_f64_e32 0, v[10:11]
	s_cbranch_execz .LBB170_28
; %bb.27:                               ;   in Loop: Header=BB170_4 Depth=1
	v_add_co_u32 v12, vcc_lo, v34, v4
	s_wait_alu 0xfffd
	v_add_co_ci_u32_e64 v13, null, v35, v5, vcc_lo
	flat_load_b64 v[12:13], v[12:13]
	s_wait_loadcnt_dscnt 0x0
	v_mul_f64_e32 v[12:13], v[10:11], v[12:13]
.LBB170_28:                             ;   in Loop: Header=BB170_4 Depth=1
	s_wait_alu 0xfffe
	s_or_b32 exec_lo, exec_lo, s50
.LBB170_29:                             ;   in Loop: Header=BB170_4 Depth=1
	s_wait_alu 0xfffe
	s_or_b32 exec_lo, exec_lo, s11
	s_mov_b32 s11, 0
.LBB170_30:                             ;   in Loop: Header=BB170_4 Depth=1
	s_wait_alu 0xfffe
	s_and_not1_b32 vcc_lo, exec_lo, s11
	s_wait_alu 0xfffe
	s_cbranch_vccnz .LBB170_40
; %bb.31:                               ;   in Loop: Header=BB170_4 Depth=1
	v_mov_b32_e32 v12, 0
	v_mov_b32_e32 v13, 0
	s_and_saveexec_b32 s11, s0
	s_cbranch_execz .LBB170_39
; %bb.32:                               ;   in Loop: Header=BB170_4 Depth=1
	s_and_saveexec_b32 s50, s1
	s_wait_alu 0xfffe
	s_xor_b32 s50, exec_lo, s50
; %bb.33:                               ;   in Loop: Header=BB170_4 Depth=1
	v_mov_b32_e32 v1, v0
                                        ; implicit-def: $vgpr16
	ds_store_b64 v18, v[0:1]
                                        ; implicit-def: $vgpr1
; %bb.34:                               ;   in Loop: Header=BB170_4 Depth=1
	s_wait_alu 0xfffe
	s_or_saveexec_b32 s50, s50
	v_mov_b32_e32 v12, 0
	v_mov_b32_e32 v13, 0
	s_wait_alu 0xfffe
	s_xor_b32 exec_lo, exec_lo, s50
	s_cbranch_execz .LBB170_38
; %bb.35:                               ;   in Loop: Header=BB170_4 Depth=1
	v_add_co_u32 v12, vcc_lo, v1, v6
	s_wait_alu 0xfffd
	v_add_co_ci_u32_e64 v13, null, v16, v7, vcc_lo
	s_mov_b32 s51, exec_lo
	flat_load_b64 v[16:17], v[12:13]
	v_mov_b32_e32 v12, 0
	v_mov_b32_e32 v13, 0
	s_wait_loadcnt_dscnt 0x0
	ds_store_b64 v18, v[16:17]
	v_cmpx_neq_f64_e32 0, v[10:11]
	s_cbranch_execz .LBB170_37
; %bb.36:                               ;   in Loop: Header=BB170_4 Depth=1
	v_add_co_u32 v12, vcc_lo, v34, v4
	s_wait_alu 0xfffd
	v_add_co_ci_u32_e64 v13, null, v35, v5, vcc_lo
	flat_load_b64 v[12:13], v[12:13]
	s_wait_loadcnt_dscnt 0x0
	v_mul_f64_e32 v[12:13], v[10:11], v[12:13]
.LBB170_37:                             ;   in Loop: Header=BB170_4 Depth=1
	s_wait_alu 0xfffe
	s_or_b32 exec_lo, exec_lo, s51
.LBB170_38:                             ;   in Loop: Header=BB170_4 Depth=1
	s_delay_alu instid0(SALU_CYCLE_1)
	s_or_b32 exec_lo, exec_lo, s50
.LBB170_39:                             ;   in Loop: Header=BB170_4 Depth=1
	s_wait_alu 0xfffe
	s_or_b32 exec_lo, exec_lo, s11
.LBB170_40:                             ;   in Loop: Header=BB170_4 Depth=1
	v_add_co_u32 v1, vcc_lo, v14, s40
	s_wait_alu 0xfffd
	v_add_co_ci_u32_e64 v16, null, s41, v15, vcc_lo
	s_mov_b32 s11, -1
	v_add_co_u32 v1, vcc_lo, v1, v2
	s_wait_alu 0xfffd
	v_add_co_ci_u32_e64 v17, null, v16, v3, vcc_lo
	s_delay_alu instid0(VALU_DEP_2) | instskip(SKIP_1) | instid1(VALU_DEP_2)
	v_add_co_u32 v16, vcc_lo, v1, v26
	s_wait_alu 0xfffd
	v_add_co_ci_u32_e64 v17, null, 0, v17, vcc_lo
	s_and_not1_b32 vcc_lo, exec_lo, s10
	s_wait_alu 0xfffe
	s_cbranch_vccnz .LBB170_42
; %bb.41:                               ;   in Loop: Header=BB170_4 Depth=1
	v_add_co_u32 v36, vcc_lo, v16, s30
	s_wait_alu 0xfffd
	v_add_co_ci_u32_e64 v37, null, s31, v17, vcc_lo
	s_mov_b32 s11, 0
	v_add_co_u32 v38, vcc_lo, v36, s30
	s_wait_alu 0xfffd
	v_add_co_ci_u32_e64 v39, null, s31, v37, vcc_lo
	s_delay_alu instid0(VALU_DEP_2) | instskip(SKIP_1) | instid1(VALU_DEP_2)
	v_add_co_u32 v40, vcc_lo, v38, s30
	s_wait_alu 0xfffd
	v_add_co_ci_u32_e64 v41, null, s31, v39, vcc_lo
	s_delay_alu instid0(VALU_DEP_2) | instskip(SKIP_1) | instid1(VALU_DEP_2)
	;; [unrolled: 4-line block ×5, first 2 shown]
	v_add_co_u32 v48, vcc_lo, v46, s30
	s_wait_alu 0xfffd
	v_add_co_ci_u32_e64 v49, null, s31, v47, vcc_lo
	s_clause 0x7
	flat_load_b64 v[50:51], v[16:17]
	flat_load_b64 v[36:37], v[36:37]
	;; [unrolled: 1-line block ×8, first 2 shown]
	s_wait_loadcnt_dscnt 0x606
	ds_store_2addr_stride64_b64 v19, v[50:51], v[36:37] offset1:2
	s_wait_loadcnt_dscnt 0x405
	ds_store_2addr_stride64_b64 v19, v[38:39], v[40:41] offset0:4 offset1:6
	s_wait_loadcnt_dscnt 0x204
	ds_store_2addr_stride64_b64 v19, v[42:43], v[44:45] offset0:8 offset1:10
	;; [unrolled: 2-line block ×3, first 2 shown]
.LBB170_42:                             ;   in Loop: Header=BB170_4 Depth=1
	s_wait_alu 0xfffe
	s_and_not1_b32 vcc_lo, exec_lo, s11
	s_wait_alu 0xfffe
	s_cbranch_vccnz .LBB170_50
; %bb.43:                               ;   in Loop: Header=BB170_4 Depth=1
	s_mov_b32 s50, s13
	s_mov_b32 s51, s13
	s_wait_alu 0xfffe
	v_dual_mov_b32 v36, s50 :: v_dual_mov_b32 v37, s51
	ds_store_2addr_stride64_b64 v19, v[36:37], v[36:37] offset1:2
	ds_store_2addr_stride64_b64 v19, v[36:37], v[36:37] offset0:4 offset1:6
	ds_store_2addr_stride64_b64 v19, v[36:37], v[36:37] offset0:8 offset1:10
	;; [unrolled: 1-line block ×3, first 2 shown]
	s_and_saveexec_b32 s11, s33
	s_cbranch_execz .LBB170_49
; %bb.44:                               ;   in Loop: Header=BB170_4 Depth=1
	s_and_not1_b32 vcc_lo, exec_lo, s49
	s_mov_b32 s50, 0
	s_wait_alu 0xfffe
	s_cbranch_vccnz .LBB170_47
; %bb.45:                               ;   in Loop: Header=BB170_4 Depth=1
	v_add_co_u32 v14, vcc_lo, v14, v24
	s_wait_alu 0xfffd
	v_add_co_ci_u32_e64 v15, null, v15, v25, vcc_lo
	v_mov_b32_e32 v1, v19
	s_mov_b32 s51, s48
.LBB170_46:                             ;   Parent Loop BB170_4 Depth=1
                                        ; =>  This Inner Loop Header: Depth=2
	flat_load_b64 v[36:37], v[14:15]
	v_add_co_u32 v14, vcc_lo, v14, s30
	s_wait_alu 0xfffd
	v_add_co_ci_u32_e64 v15, null, s31, v15, vcc_lo
	s_wait_alu 0xfffe
	s_add_co_i32 s51, s51, -1
	s_mov_b32 s50, s48
	s_wait_alu 0xfffe
	s_cmp_lg_u32 s51, 0
	s_wait_loadcnt_dscnt 0x0
	ds_store_b64 v1, v[36:37]
	v_add_nc_u32_e32 v1, 0x400, v1
	s_cbranch_scc1 .LBB170_46
.LBB170_47:                             ;   in Loop: Header=BB170_4 Depth=1
	s_and_b32 exec_lo, exec_lo, s2
	s_cbranch_execz .LBB170_49
; %bb.48:                               ;   in Loop: Header=BB170_4 Depth=1
	s_lshl_b32 s52, s50, 2
	s_mov_b32 s53, s13
	v_lshl_add_u32 v1, s50, 10, v19
	s_wait_alu 0xfffe
	s_mul_u64 s[52:53], s[20:21], s[52:53]
	s_wait_alu 0xfffe
	s_lshl_b64 s[52:53], s[52:53], 3
	s_wait_alu 0xfffe
	v_add_co_u32 v14, vcc_lo, v16, s52
	s_wait_alu 0xfffd
	v_add_co_ci_u32_e64 v15, null, s53, v17, vcc_lo
	flat_load_b64 v[14:15], v[14:15]
	s_wait_loadcnt_dscnt 0x0
	ds_store_b64 v1, v[14:15]
.LBB170_49:                             ;   in Loop: Header=BB170_4 Depth=1
	s_wait_alu 0xfffe
	s_or_b32 exec_lo, exec_lo, s11
.LBB170_50:                             ;   in Loop: Header=BB170_4 Depth=1
	s_wait_storecnt_dscnt 0x0
	s_barrier_signal -1
	s_barrier_wait -1
	global_inv scope:SCOPE_SE
	s_and_saveexec_b32 s11, s47
	s_cbranch_execnz .LBB170_68
; %bb.51:                               ;   in Loop: Header=BB170_4 Depth=1
	s_wait_alu 0xfffe
	s_or_b32 exec_lo, exec_lo, s11
	s_and_saveexec_b32 s11, s3
	s_cbranch_execnz .LBB170_69
.LBB170_52:                             ;   in Loop: Header=BB170_4 Depth=1
	s_wait_alu 0xfffe
	s_or_b32 exec_lo, exec_lo, s11
	s_and_saveexec_b32 s11, s4
	s_cbranch_execnz .LBB170_70
.LBB170_53:                             ;   in Loop: Header=BB170_4 Depth=1
	s_wait_alu 0xfffe
	s_or_b32 exec_lo, exec_lo, s11
	s_and_saveexec_b32 s11, s5
	s_cbranch_execnz .LBB170_71
.LBB170_54:                             ;   in Loop: Header=BB170_4 Depth=1
	s_wait_alu 0xfffe
	s_or_b32 exec_lo, exec_lo, s11
	s_and_saveexec_b32 s11, s6
	s_cbranch_execnz .LBB170_72
.LBB170_55:                             ;   in Loop: Header=BB170_4 Depth=1
	s_wait_alu 0xfffe
	s_or_b32 exec_lo, exec_lo, s11
	s_and_saveexec_b32 s11, s7
	s_cbranch_execnz .LBB170_73
.LBB170_56:                             ;   in Loop: Header=BB170_4 Depth=1
	s_wait_alu 0xfffe
	s_or_b32 exec_lo, exec_lo, s11
	s_and_saveexec_b32 s11, s8
	s_cbranch_execnz .LBB170_74
.LBB170_57:                             ;   in Loop: Header=BB170_4 Depth=1
	s_wait_alu 0xfffe
	s_or_b32 exec_lo, exec_lo, s11
	s_and_saveexec_b32 s11, s9
	s_cbranch_execz .LBB170_59
.LBB170_58:                             ;   in Loop: Header=BB170_4 Depth=1
	ds_load_b64 v[14:15], v20 offset:224
	s_wait_dscnt 0x0
	ds_store_b64 v30, v[14:15]
.LBB170_59:                             ;   in Loop: Header=BB170_4 Depth=1
	s_wait_alu 0xfffe
	s_or_b32 exec_lo, exec_lo, s11
	s_wait_loadcnt_dscnt 0x0
	s_barrier_signal -1
	s_barrier_wait -1
	global_inv scope:SCOPE_SE
	ds_load_2addr_b64 v[14:17], v21 offset1:4
	ds_load_b64 v[36:37], v19
	ds_load_b64 v[38:39], v27
	;; [unrolled: 1-line block ×4, first 2 shown]
	s_wait_dscnt 0x3
	v_fma_f64 v[14:15], v[36:37], v[14:15], 0
	s_wait_dscnt 0x2
	s_delay_alu instid0(VALU_DEP_1) | instskip(SKIP_3) | instid1(VALU_DEP_1)
	v_fma_f64 v[36:37], v[38:39], v[16:17], v[14:15]
	ds_load_2addr_b64 v[14:17], v21 offset0:8 offset1:12
	s_wait_dscnt 0x0
	v_fma_f64 v[14:15], v[40:41], v[14:15], v[36:37]
	v_fma_f64 v[36:37], v[42:43], v[16:17], v[14:15]
	ds_load_2addr_b64 v[14:17], v21 offset0:16 offset1:20
	ds_load_b64 v[38:39], v31
	ds_load_b64 v[40:41], v32
	ds_load_b64 v[42:43], v33
	ds_load_b64 v[44:45], v30
	s_wait_dscnt 0x3
	v_fma_f64 v[14:15], v[38:39], v[14:15], v[36:37]
	s_wait_dscnt 0x2
	s_delay_alu instid0(VALU_DEP_1) | instskip(SKIP_3) | instid1(VALU_DEP_1)
	v_fma_f64 v[36:37], v[40:41], v[16:17], v[14:15]
	ds_load_2addr_b64 v[14:17], v21 offset0:24 offset1:28
	s_wait_dscnt 0x0
	v_fma_f64 v[14:15], v[42:43], v[14:15], v[36:37]
	v_fma_f64 v[14:15], v[44:45], v[16:17], v[14:15]
	ds_store_b64 v22, v[14:15]
	s_wait_loadcnt_dscnt 0x0
	s_barrier_signal -1
	s_barrier_wait -1
	global_inv scope:SCOPE_SE
	s_and_saveexec_b32 s11, s0
	s_cbranch_execz .LBB170_2
; %bb.60:                               ;   in Loop: Header=BB170_4 Depth=1
	ds_load_2addr_b64 v[14:17], v23 offset1:32
	v_cmp_neq_f64_e32 vcc_lo, 0, v[10:11]
	s_wait_dscnt 0x0
	v_add_f64_e32 v[14:15], 0, v[14:15]
	s_delay_alu instid0(VALU_DEP_1) | instskip(SKIP_3) | instid1(VALU_DEP_1)
	v_add_f64_e32 v[36:37], v[14:15], v[16:17]
	ds_load_2addr_b64 v[14:17], v23 offset0:64 offset1:96
	s_wait_dscnt 0x0
	v_add_f64_e32 v[14:15], v[36:37], v[14:15]
	v_add_f64_e32 v[14:15], v[14:15], v[16:17]
	s_delay_alu instid0(VALU_DEP_1) | instskip(SKIP_2) | instid1(VALU_DEP_1)
	v_mul_f64_e32 v[16:17], v[8:9], v[14:15]
	v_fma_f64 v[8:9], v[8:9], v[14:15], v[12:13]
	s_wait_alu 0xfffd
	v_dual_cndmask_b32 v9, v17, v9 :: v_dual_cndmask_b32 v8, v16, v8
	s_and_b32 vcc_lo, exec_lo, s10
	s_mov_b32 s10, -1
	s_wait_alu 0xfffe
	s_cbranch_vccz .LBB170_62
; %bb.61:                               ;   in Loop: Header=BB170_4 Depth=1
	v_add_co_u32 v10, vcc_lo, v34, v4
	s_wait_alu 0xfffd
	v_add_co_ci_u32_e64 v11, null, v35, v5, vcc_lo
	s_mov_b32 s10, 0
	flat_store_b64 v[10:11], v[8:9]
.LBB170_62:                             ;   in Loop: Header=BB170_4 Depth=1
	s_wait_alu 0xfffe
	s_and_not1_b32 vcc_lo, exec_lo, s10
	s_wait_alu 0xfffe
	s_cbranch_vccnz .LBB170_2
; %bb.63:                               ;   in Loop: Header=BB170_4 Depth=1
	s_and_b32 exec_lo, exec_lo, s33
	s_cbranch_execz .LBB170_2
; %bb.64:                               ;   in Loop: Header=BB170_4 Depth=1
	v_add_co_u32 v10, vcc_lo, v34, v4
	s_wait_alu 0xfffd
	v_add_co_ci_u32_e64 v11, null, v35, v5, vcc_lo
	flat_store_b64 v[10:11], v[8:9]
	s_branch .LBB170_2
.LBB170_65:                             ;   in Loop: Header=BB170_4 Depth=1
	scratch_load_b64 v[8:9], off, off
	s_mul_u64 s[10:11], s[14:15], s[12:13]
	s_wait_alu 0xfffe
	s_lshl_b64 s[10:11], s[10:11], 3
	s_wait_loadcnt 0x0
	s_wait_alu 0xfffe
	v_add_co_u32 v8, vcc_lo, v8, s10
	s_wait_alu 0xfffd
	v_add_co_ci_u32_e64 v9, null, s11, v9, vcc_lo
	flat_load_b64 v[8:9], v[8:9]
	s_cbranch_execnz .LBB170_6
.LBB170_66:                             ;   in Loop: Header=BB170_4 Depth=1
	s_wait_loadcnt_dscnt 0x0
	scratch_load_b64 v[8:9], off, off
	s_and_b32 vcc_lo, exec_lo, s46
	s_mov_b32 s10, -1
                                        ; implicit-def: $vgpr10_vgpr11
	s_wait_alu 0xfffe
	s_cbranch_vccz .LBB170_7
.LBB170_67:                             ;   in Loop: Header=BB170_4 Depth=1
	scratch_load_b64 v[10:11], off, off offset:8
	s_mul_u64 s[10:11], s[22:23], s[12:13]
	s_wait_alu 0xfffe
	s_lshl_b64 s[10:11], s[10:11], 3
	s_wait_loadcnt 0x0
	s_wait_alu 0xfffe
	v_add_co_u32 v10, vcc_lo, v10, s10
	s_wait_alu 0xfffd
	v_add_co_ci_u32_e64 v11, null, s11, v11, vcc_lo
	flat_load_b64 v[10:11], v[10:11]
	s_cbranch_execz .LBB170_8
	s_branch .LBB170_9
.LBB170_68:                             ;   in Loop: Header=BB170_4 Depth=1
	ds_load_b64 v[14:15], v20
	s_wait_dscnt 0x0
	ds_store_b64 v19, v[14:15]
	s_wait_alu 0xfffe
	s_or_b32 exec_lo, exec_lo, s11
	s_and_saveexec_b32 s11, s3
	s_cbranch_execz .LBB170_52
.LBB170_69:                             ;   in Loop: Header=BB170_4 Depth=1
	ds_load_b64 v[14:15], v20 offset:32
	s_wait_dscnt 0x0
	ds_store_b64 v27, v[14:15]
	s_wait_alu 0xfffe
	s_or_b32 exec_lo, exec_lo, s11
	s_and_saveexec_b32 s11, s4
	s_cbranch_execz .LBB170_53
.LBB170_70:                             ;   in Loop: Header=BB170_4 Depth=1
	ds_load_b64 v[14:15], v20 offset:64
	s_wait_dscnt 0x0
	ds_store_b64 v28, v[14:15]
	s_wait_alu 0xfffe
	s_or_b32 exec_lo, exec_lo, s11
	s_and_saveexec_b32 s11, s5
	s_cbranch_execz .LBB170_54
.LBB170_71:                             ;   in Loop: Header=BB170_4 Depth=1
	ds_load_b64 v[14:15], v20 offset:96
	s_wait_dscnt 0x0
	ds_store_b64 v29, v[14:15]
	s_wait_alu 0xfffe
	s_or_b32 exec_lo, exec_lo, s11
	s_and_saveexec_b32 s11, s6
	s_cbranch_execz .LBB170_55
.LBB170_72:                             ;   in Loop: Header=BB170_4 Depth=1
	ds_load_b64 v[14:15], v20 offset:128
	s_wait_dscnt 0x0
	ds_store_b64 v19, v[14:15] offset:4096
	s_wait_alu 0xfffe
	s_or_b32 exec_lo, exec_lo, s11
	s_and_saveexec_b32 s11, s7
	s_cbranch_execz .LBB170_56
.LBB170_73:                             ;   in Loop: Header=BB170_4 Depth=1
	ds_load_b64 v[14:15], v20 offset:160
	s_wait_dscnt 0x0
	ds_store_b64 v19, v[14:15] offset:5120
	s_wait_alu 0xfffe
	s_or_b32 exec_lo, exec_lo, s11
	s_and_saveexec_b32 s11, s8
	s_cbranch_execz .LBB170_57
.LBB170_74:                             ;   in Loop: Header=BB170_4 Depth=1
	ds_load_b64 v[14:15], v20 offset:192
	s_wait_dscnt 0x0
	ds_store_b64 v19, v[14:15] offset:6144
	s_wait_alu 0xfffe
	s_or_b32 exec_lo, exec_lo, s11
	s_and_saveexec_b32 s11, s9
	s_cbranch_execnz .LBB170_58
	s_branch .LBB170_59
.LBB170_75:
	s_endpgm
	.section	.rodata,"a",@progbits
	.p2align	6, 0x0
	.amdhsa_kernel _ZL58rocblas_symv_kernel_lower_double_buffered_diagonal_genericILi32ELi4E24rocblas_internal_val_ptrIdEPKPKdPKPdEvbiT1_lT2_lllSA_lllS9_lT3_lllii
		.amdhsa_group_segment_fixed_size 10496
		.amdhsa_private_segment_fixed_size 24
		.amdhsa_kernarg_size 400
		.amdhsa_user_sgpr_count 2
		.amdhsa_user_sgpr_dispatch_ptr 0
		.amdhsa_user_sgpr_queue_ptr 0
		.amdhsa_user_sgpr_kernarg_segment_ptr 1
		.amdhsa_user_sgpr_dispatch_id 0
		.amdhsa_user_sgpr_private_segment_size 0
		.amdhsa_wavefront_size32 1
		.amdhsa_uses_dynamic_stack 0
		.amdhsa_enable_private_segment 1
		.amdhsa_system_sgpr_workgroup_id_x 1
		.amdhsa_system_sgpr_workgroup_id_y 0
		.amdhsa_system_sgpr_workgroup_id_z 1
		.amdhsa_system_sgpr_workgroup_info 0
		.amdhsa_system_vgpr_workitem_id 1
		.amdhsa_next_free_vgpr 97
		.amdhsa_next_free_sgpr 54
		.amdhsa_reserve_vcc 1
		.amdhsa_float_round_mode_32 0
		.amdhsa_float_round_mode_16_64 0
		.amdhsa_float_denorm_mode_32 3
		.amdhsa_float_denorm_mode_16_64 3
		.amdhsa_fp16_overflow 0
		.amdhsa_workgroup_processor_mode 1
		.amdhsa_memory_ordered 1
		.amdhsa_forward_progress 1
		.amdhsa_inst_pref_size 27
		.amdhsa_round_robin_scheduling 0
		.amdhsa_exception_fp_ieee_invalid_op 0
		.amdhsa_exception_fp_denorm_src 0
		.amdhsa_exception_fp_ieee_div_zero 0
		.amdhsa_exception_fp_ieee_overflow 0
		.amdhsa_exception_fp_ieee_underflow 0
		.amdhsa_exception_fp_ieee_inexact 0
		.amdhsa_exception_int_div_zero 0
	.end_amdhsa_kernel
	.section	.text._ZL58rocblas_symv_kernel_lower_double_buffered_diagonal_genericILi32ELi4E24rocblas_internal_val_ptrIdEPKPKdPKPdEvbiT1_lT2_lllSA_lllS9_lT3_lllii,"axG",@progbits,_ZL58rocblas_symv_kernel_lower_double_buffered_diagonal_genericILi32ELi4E24rocblas_internal_val_ptrIdEPKPKdPKPdEvbiT1_lT2_lllSA_lllS9_lT3_lllii,comdat
.Lfunc_end170:
	.size	_ZL58rocblas_symv_kernel_lower_double_buffered_diagonal_genericILi32ELi4E24rocblas_internal_val_ptrIdEPKPKdPKPdEvbiT1_lT2_lllSA_lllS9_lT3_lllii, .Lfunc_end170-_ZL58rocblas_symv_kernel_lower_double_buffered_diagonal_genericILi32ELi4E24rocblas_internal_val_ptrIdEPKPKdPKPdEvbiT1_lT2_lllSA_lllS9_lT3_lllii
                                        ; -- End function
	.set _ZL58rocblas_symv_kernel_lower_double_buffered_diagonal_genericILi32ELi4E24rocblas_internal_val_ptrIdEPKPKdPKPdEvbiT1_lT2_lllSA_lllS9_lT3_lllii.num_vgpr, 52
	.set _ZL58rocblas_symv_kernel_lower_double_buffered_diagonal_genericILi32ELi4E24rocblas_internal_val_ptrIdEPKPKdPKPdEvbiT1_lT2_lllSA_lllS9_lT3_lllii.num_agpr, 0
	.set _ZL58rocblas_symv_kernel_lower_double_buffered_diagonal_genericILi32ELi4E24rocblas_internal_val_ptrIdEPKPKdPKPdEvbiT1_lT2_lllSA_lllS9_lT3_lllii.numbered_sgpr, 54
	.set _ZL58rocblas_symv_kernel_lower_double_buffered_diagonal_genericILi32ELi4E24rocblas_internal_val_ptrIdEPKPKdPKPdEvbiT1_lT2_lllSA_lllS9_lT3_lllii.num_named_barrier, 0
	.set _ZL58rocblas_symv_kernel_lower_double_buffered_diagonal_genericILi32ELi4E24rocblas_internal_val_ptrIdEPKPKdPKPdEvbiT1_lT2_lllSA_lllS9_lT3_lllii.private_seg_size, 24
	.set _ZL58rocblas_symv_kernel_lower_double_buffered_diagonal_genericILi32ELi4E24rocblas_internal_val_ptrIdEPKPKdPKPdEvbiT1_lT2_lllSA_lllS9_lT3_lllii.uses_vcc, 1
	.set _ZL58rocblas_symv_kernel_lower_double_buffered_diagonal_genericILi32ELi4E24rocblas_internal_val_ptrIdEPKPKdPKPdEvbiT1_lT2_lllSA_lllS9_lT3_lllii.uses_flat_scratch, 1
	.set _ZL58rocblas_symv_kernel_lower_double_buffered_diagonal_genericILi32ELi4E24rocblas_internal_val_ptrIdEPKPKdPKPdEvbiT1_lT2_lllSA_lllS9_lT3_lllii.has_dyn_sized_stack, 0
	.set _ZL58rocblas_symv_kernel_lower_double_buffered_diagonal_genericILi32ELi4E24rocblas_internal_val_ptrIdEPKPKdPKPdEvbiT1_lT2_lllSA_lllS9_lT3_lllii.has_recursion, 0
	.set _ZL58rocblas_symv_kernel_lower_double_buffered_diagonal_genericILi32ELi4E24rocblas_internal_val_ptrIdEPKPKdPKPdEvbiT1_lT2_lllSA_lllS9_lT3_lllii.has_indirect_call, 0
	.section	.AMDGPU.csdata,"",@progbits
; Kernel info:
; codeLenInByte = 3416
; TotalNumSgprs: 56
; NumVgprs: 52
; ScratchSize: 24
; MemoryBound: 0
; FloatMode: 240
; IeeeMode: 1
; LDSByteSize: 10496 bytes/workgroup (compile time only)
; SGPRBlocks: 0
; VGPRBlocks: 12
; NumSGPRsForWavesPerEU: 56
; NumVGPRsForWavesPerEU: 97
; Occupancy: 12
; WaveLimiterHint : 1
; COMPUTE_PGM_RSRC2:SCRATCH_EN: 1
; COMPUTE_PGM_RSRC2:USER_SGPR: 2
; COMPUTE_PGM_RSRC2:TRAP_HANDLER: 0
; COMPUTE_PGM_RSRC2:TGID_X_EN: 1
; COMPUTE_PGM_RSRC2:TGID_Y_EN: 0
; COMPUTE_PGM_RSRC2:TGID_Z_EN: 1
; COMPUTE_PGM_RSRC2:TIDIG_COMP_CNT: 1
	.section	.text._ZL62rocblas_symv_kernel_lower_double_buffered_non_diagonal_genericILi32ELi4ELi4E24rocblas_internal_val_ptrIdEPKPKdPKPdEvbiT2_lT3_lllSA_lllT4_lllii,"axG",@progbits,_ZL62rocblas_symv_kernel_lower_double_buffered_non_diagonal_genericILi32ELi4ELi4E24rocblas_internal_val_ptrIdEPKPKdPKPdEvbiT2_lT3_lllSA_lllT4_lllii,comdat
	.globl	_ZL62rocblas_symv_kernel_lower_double_buffered_non_diagonal_genericILi32ELi4ELi4E24rocblas_internal_val_ptrIdEPKPKdPKPdEvbiT2_lT3_lllSA_lllT4_lllii ; -- Begin function _ZL62rocblas_symv_kernel_lower_double_buffered_non_diagonal_genericILi32ELi4ELi4E24rocblas_internal_val_ptrIdEPKPKdPKPdEvbiT2_lT3_lllSA_lllT4_lllii
	.p2align	8
	.type	_ZL62rocblas_symv_kernel_lower_double_buffered_non_diagonal_genericILi32ELi4ELi4E24rocblas_internal_val_ptrIdEPKPKdPKPdEvbiT2_lT3_lllSA_lllT4_lllii,@function
_ZL62rocblas_symv_kernel_lower_double_buffered_non_diagonal_genericILi32ELi4ELi4E24rocblas_internal_val_ptrIdEPKPKdPKPdEvbiT2_lT3_lllSA_lllT4_lllii: ; @_ZL62rocblas_symv_kernel_lower_double_buffered_non_diagonal_genericILi32ELi4ELi4E24rocblas_internal_val_ptrIdEPKPKdPKPdEvbiT2_lT3_lllSA_lllT4_lllii
; %bb.0:
	s_load_b64 s[0:1], s[0:1], 0x4
	s_clause 0x1
	s_load_b256 s[4:11], s[2:3], 0x8
	s_load_b64 s[20:21], s[2:3], 0x78
	v_bfe_u32 v2, v0, 10, 10
	v_and_b32_e32 v1, 0x3ff, v0
	v_bfe_u32 v0, v0, 20, 10
	s_wait_kmcnt 0x0
	s_delay_alu instid0(VALU_DEP_3)
	v_mul_u32_u24_e32 v3, s1, v2
	s_lshr_b32 s0, s0, 16
	v_mov_b32_e32 v4, s5
	s_wait_alu 0xfffe
	s_mul_i32 s0, s0, s1
	s_wait_alu 0xfffe
	v_mad_u32_u24 v5, s0, v1, v3
	v_mov_b32_e32 v3, s4
	s_lshr_b32 s4, ttmp7, 16
	s_wait_alu 0xfffe
	s_cmp_ge_u32 s4, s21
	v_add_lshl_u32 v0, v5, v0, 3
	ds_store_b64 v0, v[3:4] offset:6400
	s_cbranch_scc1 .LBB171_43
; %bb.1:
	s_clause 0x3
	s_load_b32 s1, s[2:3], 0x0
	s_load_b64 s[38:39], s[2:3], 0x28
	s_load_b64 s[22:23], s[2:3], 0x48
	s_load_b128 s[12:15], s[2:3], 0x38
	v_dual_mov_b32 v4, 0 :: v_dual_add_nc_u32 v61, 0x1900, v0
	v_lshl_add_u32 v0, v2, 5, v1
	v_cmp_eq_u32_e64 s0, 0, v2
	s_clause 0x1
	s_load_b64 s[24:25], s[2:3], 0x58
	s_load_b128 s[16:19], s[2:3], 0x60
	v_cmp_gt_i32_e32 vcc_lo, s20, v1
	s_add_nc_u64 s[26:27], s[2:3], 0x80
	v_lshrrev_b32_e32 v20, 4, v0
	s_mov_b32 s5, 0
	s_delay_alu instid0(VALU_DEP_1)
	v_lshlrev_b32_e32 v2, 2, v20
	v_lshl_add_u32 v63, v20, 5, 0x1800
	s_wait_kmcnt 0x0
	s_bitcmp1_b32 s1, 0
	s_add_nc_u64 s[28:29], s[38:39], 1
	v_mad_co_u64_u32 v[5:6], null, s22, v1, 0
	v_and_b32_e32 v3, 15, v1
	s_cselect_b32 s1, -1, 0
	s_lshl_b32 s30, ttmp9, 5
	s_wait_alu 0xfffe
	s_xor_b32 s58, s1, -1
	v_mad_co_u64_u32 v[15:16], null, s18, v1, 0
	s_delay_alu instid0(VALU_DEP_3) | instskip(SKIP_3) | instid1(VALU_DEP_4)
	v_mov_b32_e32 v0, v6
	v_mad_co_u64_u32 v[7:8], null, s38, v2, v[3:4]
	v_lshlrev_b32_e32 v21, 3, v1
	v_or_b32_e32 v22, 16, v3
	v_mad_co_u64_u32 v[9:10], null, s23, v1, v[0:1]
	v_mad_co_u64_u32 v[10:11], null, s22, v3, 0
	v_mov_b32_e32 v0, v8
	v_cmp_gt_i32_e64 s1, s20, v3
	s_ashr_i32 s31, s30, 31
	v_add_nc_u32_e32 v62, 0x1800, v21
	v_dual_mov_b32 v6, v9 :: v_dual_lshlrev_b32 v9, 8, v20
	v_mad_co_u64_u32 v[12:13], null, s39, v2, v[0:1]
	v_mad_co_u64_u32 v[13:14], null, s22, v22, 0
	v_mov_b32_e32 v0, v11
	s_delay_alu instid0(VALU_DEP_4)
	v_lshlrev_b64_e32 v[5:6], 3, v[5:6]
	v_add_nc_u32_e32 v64, 0x1000, v21
	v_cmp_gt_i32_e64 s2, s20, v22
	v_mov_b32_e32 v8, v12
	s_and_b32 s3, ttmp7, 0xffff
	v_mov_b32_e32 v2, v14
	s_mul_u64 s[44:45], s[28:29], s[30:31]
	s_mul_u64 s[42:43], s[22:23], s[30:31]
	;; [unrolled: 1-line block ×3, first 2 shown]
	s_lshl_b64 s[30:31], s[38:39], 4
	v_mad_co_u64_u32 v[17:18], null, s23, v22, v[2:3]
	v_lshlrev_b32_e32 v2, 3, v3
	s_mul_u64 s[48:49], s[38:39], 3
	s_not_b32 s33, ttmp9
	s_lshl_b32 s59, s3, 5
	s_lshl_b64 s[28:29], s[22:23], 5
	s_mul_u64 s[34:35], s[38:39], 24
	s_delay_alu instid0(VALU_DEP_2)
	v_dual_mov_b32 v14, v17 :: v_dual_lshlrev_b32 v17, 9, v20
	v_mad_co_u64_u32 v[11:12], null, s23, v3, v[0:1]
	v_mov_b32_e32 v0, v16
	v_add_nc_u32_e32 v12, 2, v1
	v_add_nc_u32_e32 v20, 5, v1
	v_xor_b32_e32 v3, 8, v3
	v_add_nc_u32_e32 v82, v2, v17
	v_mad_co_u64_u32 v[18:19], null, s19, v1, v[0:1]
	v_or_b32_e32 v0, 0x1000, v2
	v_add_nc_u32_e32 v19, 4, v1
	v_and_b32_e32 v12, 15, v12
	s_lshl_b64 s[36:37], s[18:19], 8
	s_and_b32 s20, s0, vcc_lo
	v_add_nc_u32_e32 v65, v0, v9
	v_add_nc_u32_e32 v9, 1, v1
	v_lshlrev_b32_e32 v0, 7, v1
	v_dual_mov_b32 v16, v18 :: v_dual_and_b32 v19, 15, v19
	v_add_nc_u32_e32 v18, 3, v1
	s_delay_alu instid0(VALU_DEP_4) | instskip(NEXT) | instid1(VALU_DEP_4)
	v_and_b32_e32 v9, 15, v9
	v_lshl_or_b32 v68, v12, 3, v0
	v_add_nc_u32_e32 v12, 6, v1
	v_lshl_or_b32 v70, v19, 3, v0
	v_and_b32_e32 v18, 15, v18
	v_lshl_or_b32 v67, v9, 3, v0
	v_and_b32_e32 v9, 15, v20
	v_and_b32_e32 v12, 15, v12
	v_add_nc_u32_e32 v19, 10, v1
	v_lshl_or_b32 v69, v18, 3, v0
	v_add_nc_u32_e32 v18, 7, v1
	v_lshl_or_b32 v71, v9, 3, v0
	;; [unrolled: 2-line block ×3, first 2 shown]
	v_add_nc_u32_e32 v12, 13, v1
	v_and_b32_e32 v18, 15, v18
	v_lshl_or_b32 v74, v3, 3, v0
	v_and_b32_e32 v9, 15, v9
	v_add_nc_u32_e32 v3, 11, v1
	v_and_b32_e32 v12, 15, v12
	v_lshl_or_b32 v73, v18, 3, v0
	v_add_nc_u32_e32 v18, 14, v1
	v_lshl_or_b32 v75, v9, 3, v0
	v_add_nc_u32_e32 v9, 12, v1
	v_add_nc_u32_e32 v1, -1, v1
	v_and_b32_e32 v19, 15, v19
	v_and_b32_e32 v3, 15, v3
	;; [unrolled: 1-line block ×5, first 2 shown]
	v_lshl_or_b32 v79, v12, 3, v0
	v_lshlrev_b64_e32 v[7:8], 3, v[7:8]
	v_or_b32_e32 v66, v0, v2
	v_lshl_or_b32 v78, v9, 3, v0
	v_lshlrev_b64_e32 v[9:10], 3, v[10:11]
	v_lshlrev_b64_e32 v[11:12], 3, v[13:14]
	;; [unrolled: 1-line block ×3, first 2 shown]
	v_lshl_or_b32 v76, v19, 3, v0
	v_lshl_or_b32 v77, v3, 3, v0
	;; [unrolled: 1-line block ×4, first 2 shown]
	s_lshl_b64 s[38:39], s[38:39], 3
	s_sub_nc_u64 s[40:41], 0, s[30:31]
	s_lshl_b64 s[14:15], s[14:15], 3
	s_lshl_b64 s[42:43], s[42:43], 3
	;; [unrolled: 1-line block ×7, first 2 shown]
	s_branch .LBB171_3
.LBB171_2:                              ;   in Loop: Header=BB171_3 Depth=1
	s_or_b32 exec_lo, exec_lo, s60
	s_add_co_i32 s4, s4, 0x10000
	s_wait_alu 0xfffe
	s_cmp_lt_u32 s4, s21
	s_cbranch_scc0 .LBB171_43
.LBB171_3:                              ; =>This Loop Header: Depth=1
                                        ;     Child Loop BB171_19 Depth 2
                                        ;       Child Loop BB171_21 Depth 3
                                        ;     Child Loop BB171_29 Depth 2
                                        ;     Child Loop BB171_38 Depth 2
	;; [unrolled: 1-line block ×3, first 2 shown]
	s_and_b32 vcc_lo, exec_lo, s58
	s_wait_kmcnt 0x0
	s_mov_b32 s50, -1
                                        ; implicit-def: $vgpr15_vgpr16
	s_wait_alu 0xfffe
	s_cbranch_vccz .LBB171_5
; %bb.4:                                ;   in Loop: Header=BB171_3 Depth=1
	s_wait_loadcnt 0x0
	ds_load_b64 v[0:1], v61
	s_mul_u64 s[50:51], s[6:7], s[4:5]
	s_wait_alu 0xfffe
	s_lshl_b64 s[50:51], s[50:51], 3
	s_wait_dscnt 0x0
	s_wait_alu 0xfffe
	v_add_co_u32 v0, vcc_lo, v0, s50
	s_wait_alu 0xfffd
	v_add_co_ci_u32_e64 v1, null, s51, v1, vcc_lo
	s_mov_b32 s50, 0
	flat_load_b64 v[15:16], v[0:1]
.LBB171_5:                              ;   in Loop: Header=BB171_3 Depth=1
	s_wait_alu 0xfffe
	s_and_not1_b32 vcc_lo, exec_lo, s50
	s_wait_alu 0xfffe
	s_cbranch_vccnz .LBB171_7
; %bb.6:                                ;   in Loop: Header=BB171_3 Depth=1
	s_wait_loadcnt_dscnt 0x0
	ds_load_b64 v[15:16], v61
.LBB171_7:                              ;   in Loop: Header=BB171_3 Depth=1
	s_mov_b32 s60, exec_lo
	s_wait_loadcnt_dscnt 0x0
	v_cmpx_neq_f64_e32 0, v[15:16]
	s_cbranch_execz .LBB171_2
; %bb.8:                                ;   in Loop: Header=BB171_3 Depth=1
	s_load_b64 s[54:55], s[26:27], 0x0
	s_wait_kmcnt 0x0
	s_add_co_i32 s56, s54, -1
	s_wait_alu 0xfffe
	s_cmp_eq_u32 ttmp9, s56
	s_cbranch_scc1 .LBB171_2
; %bb.9:                                ;   in Loop: Header=BB171_3 Depth=1
	s_lshl_b64 s[50:51], s[4:5], 3
	s_wait_alu 0xfffe
	s_add_nc_u64 s[52:53], s[12:13], s[50:51]
	global_load_b64 v[2:3], v4, s[52:53]
	s_add_nc_u64 s[52:53], s[8:9], s[50:51]
	global_load_b64 v[0:1], v4, s[52:53]
	s_wait_loadcnt 0x1
	v_readfirstlane_b32 s52, v2
	v_readfirstlane_b32 s53, v3
	s_wait_alu 0xfffe
	s_add_nc_u64 s[52:53], s[52:53], s[14:15]
	s_wait_alu 0xfffe
	s_add_nc_u64 s[52:53], s[52:53], s[42:43]
	s_and_saveexec_b32 s57, s0
	s_cbranch_execz .LBB171_11
; %bb.10:                               ;   in Loop: Header=BB171_3 Depth=1
	s_wait_alu 0xfffe
	v_add_co_u32 v2, vcc_lo, s52, v5
	s_wait_alu 0xfffd
	v_add_co_ci_u32_e64 v3, null, s53, v6, vcc_lo
	flat_load_b64 v[2:3], v[2:3]
	s_wait_loadcnt_dscnt 0x0
	ds_store_b64 v62, v[2:3]
.LBB171_11:                             ;   in Loop: Header=BB171_3 Depth=1
	s_wait_alu 0xfffe
	s_or_b32 exec_lo, exec_lo, s57
	s_cvt_f32_u32 s57, s55
	s_sub_co_i32 s61, 0, s55
	s_add_co_i32 s56, s56, s33
	s_add_nc_u64 s[50:51], s[24:25], s[50:51]
	s_wait_alu 0xfffe
	v_rcp_iflag_f32_e32 v2, s57
	s_load_b64 s[50:51], s[50:51], 0x0
	s_delay_alu instid0(TRANS32_DEP_1) | instskip(SKIP_2) | instid1(SALU_CYCLE_2)
	v_readfirstlane_b32 s57, v2
	s_mul_f32 s57, s57, 0x4f7ffffe
	s_wait_alu 0xfffe
	s_cvt_u32_f32 s57, s57
	s_wait_alu 0xfffe
	s_delay_alu instid0(SALU_CYCLE_2) | instskip(NEXT) | instid1(SALU_CYCLE_1)
	s_mul_i32 s61, s61, s57
	s_mul_hi_u32 s61, s57, s61
	s_delay_alu instid0(SALU_CYCLE_1)
	s_add_co_i32 s57, s57, s61
	s_wait_alu 0xfffe
	s_mul_hi_u32 s57, s56, s57
	s_wait_alu 0xfffe
	s_mul_i32 s61, s57, s55
	s_add_co_i32 s62, s57, 1
	s_sub_co_i32 s61, s56, s61
	s_delay_alu instid0(SALU_CYCLE_1)
	s_sub_co_i32 s63, s61, s55
	s_cmp_ge_u32 s61, s55
	s_cselect_b32 s57, s62, s57
	s_cselect_b32 s61, s63, s61
	s_wait_alu 0xfffe
	s_add_co_i32 s62, s57, 1
	s_cmp_ge_u32 s61, s55
	s_cselect_b32 s57, s62, s57
	s_add_co_i32 s63, s55, -1
	s_wait_alu 0xfffe
	s_mov_b32 s62, s57
	s_cmp_eq_u32 s3, s63
	s_cselect_b32 s61, -1, 0
	s_cmp_lg_u32 s3, s63
	s_cbranch_scc1 .LBB171_13
; %bb.12:                               ;   in Loop: Header=BB171_3 Depth=1
	s_mul_i32 s55, s57, s55
	s_wait_alu 0xfffe
	s_sub_co_i32 s55, s56, s55
	s_wait_alu 0xfffe
	s_add_co_i32 s62, s55, s57
.LBB171_13:                             ;   in Loop: Header=BB171_3 Depth=1
	s_cmp_lg_u32 s3, s63
	s_cselect_b32 s55, -1, 0
	s_cmp_eq_u32 s62, 0
	s_cselect_b32 s56, -1, 0
	s_wait_alu 0xfffe
	s_and_b32 s55, s55, s56
	s_wait_alu 0xfffe
	s_and_b32 vcc_lo, exec_lo, s55
	s_wait_alu 0xfffe
	s_cbranch_vccnz .LBB171_2
; %bb.14:                               ;   in Loop: Header=BB171_3 Depth=1
	s_wait_loadcnt 0x0
	v_add_co_u32 v0, vcc_lo, v0, s10
	s_wait_alu 0xfffd
	v_add_co_ci_u32_e64 v1, null, s11, v1, vcc_lo
	s_mul_i32 s56, s59, s57
	v_add_co_u32 v0, vcc_lo, v0, s44
	s_wait_alu 0xfffe
	s_ashr_i32 s57, s56, 31
	s_wait_alu 0xfffd
	v_add_co_ci_u32_e64 v1, null, s45, v1, vcc_lo
	s_wait_alu 0xfffe
	s_lshl_b64 s[66:67], s[56:57], 3
	v_mov_b32_e32 v21, 0
	s_wait_alu 0xfffe
	v_add_co_u32 v83, vcc_lo, v0, s66
	v_mov_b32_e32 v29, 0
	v_mov_b32_e32 v43, 0
	s_mul_u64 s[64:65], s[22:23], s[56:57]
	v_dual_mov_b32 v22, 0 :: v_dual_mov_b32 v39, 0
	v_dual_mov_b32 v30, 0 :: v_dual_mov_b32 v41, 0
	;; [unrolled: 1-line block ×3, first 2 shown]
	s_wait_alu 0xfffd
	v_add_co_ci_u32_e64 v84, null, s67, v1, vcc_lo
	v_mov_b32_e32 v40, 0
	v_mov_b32_e32 v42, 0
	;; [unrolled: 1-line block ×3, first 2 shown]
	s_lshl_b64 s[64:65], s[64:65], 3
	s_add_co_i32 s54, s54, -2
	s_add_nc_u64 s[52:53], s[52:53], s[64:65]
	s_wait_alu 0xfffe
	s_cmp_ge_u32 ttmp9, s54
	s_wait_dscnt 0x0
	s_barrier_signal -1
	s_barrier_wait -1
	global_inv scope:SCOPE_SE
	s_cbranch_scc1 .LBB171_16
; %bb.15:                               ;   in Loop: Header=BB171_3 Depth=1
	v_add_co_u32 v0, vcc_lo, v83, v7
	s_wait_alu 0xfffd
	v_add_co_ci_u32_e64 v1, null, v84, v8, vcc_lo
	s_lshl_b64 s[54:55], s[28:29], 3
	v_add_co_u32 v2, vcc_lo, v0, s38
	s_wait_alu 0xfffd
	v_add_co_ci_u32_e64 v3, null, s39, v1, vcc_lo
	v_add_co_u32 v17, vcc_lo, v0, s30
	s_wait_alu 0xfffe
	s_add_nc_u64 s[54:55], s[52:53], s[54:55]
	s_wait_alu 0xfffd
	v_add_co_ci_u32_e64 v18, null, s31, v1, vcc_lo
	v_add_co_u32 v19, vcc_lo, v0, s34
	s_wait_alu 0xfffd
	v_add_co_ci_u32_e64 v20, null, s35, v1, vcc_lo
	s_wait_alu 0xfffe
	v_add_co_u32 v23, vcc_lo, s54, v9
	s_wait_alu 0xfffd
	v_add_co_ci_u32_e64 v24, null, s55, v10, vcc_lo
	s_clause 0x3
	flat_load_b64 v[29:30], v[0:1] offset:256
	flat_load_b64 v[41:42], v[2:3] offset:256
	;; [unrolled: 1-line block ×4, first 2 shown]
	flat_load_b64 v[39:40], v[23:24]
.LBB171_16:                             ;   in Loop: Header=BB171_3 Depth=1
	s_wait_kmcnt 0x0
	s_add_nc_u64 s[50:51], s[50:51], s[16:17]
	s_mul_u64 s[54:55], s[18:19], s[56:57]
	s_wait_alu 0xfffe
	s_add_nc_u64 s[50:51], s[50:51], s[46:47]
	s_lshl_b64 s[54:55], s[54:55], 3
	s_cmp_lt_i32 s62, 1
	s_wait_alu 0xfffe
	s_add_nc_u64 s[54:55], s[50:51], s[54:55]
	s_cbranch_scc1 .LBB171_25
; %bb.17:                               ;   in Loop: Header=BB171_3 Depth=1
	v_mov_b32_e32 v21, 0
	v_mov_b32_e32 v22, 0
	s_cmp_eq_u32 s62, 1
	s_cbranch_scc1 .LBB171_26
; %bb.18:                               ;   in Loop: Header=BB171_3 Depth=1
	v_mov_b32_e32 v23, 0
	v_dual_mov_b32 v25, 0 :: v_dual_mov_b32 v24, 0
	v_dual_mov_b32 v27, 0 :: v_dual_mov_b32 v26, 0
	;; [unrolled: 1-line block ×3, first 2 shown]
	s_wait_alu 0xfffe
	v_dual_mov_b32 v22, 0 :: v_dual_mov_b32 v17, s54
	v_mov_b32_e32 v18, s55
	s_add_co_i32 s54, s62, -2
	s_mov_b32 s55, 0
.LBB171_19:                             ;   Parent Loop BB171_3 Depth=1
                                        ; =>  This Loop Header: Depth=2
                                        ;       Child Loop BB171_21 Depth 3
	v_add_co_u32 v0, vcc_lo, v83, v7
	s_wait_alu 0xfffd
	v_add_co_ci_u32_e64 v1, null, v84, v8, vcc_lo
	s_lshl_b64 s[56:57], s[28:29], 3
	v_add_co_u32 v2, vcc_lo, v0, s38
	flat_load_b64 v[47:48], v[0:1] offset:384
	s_wait_alu 0xfffd
	v_add_co_ci_u32_e64 v3, null, s39, v1, vcc_lo
	s_wait_alu 0xfffe
	s_add_nc_u64 s[52:53], s[52:53], s[56:57]
	s_wait_alu 0xfffe
	s_add_nc_u64 s[56:57], s[52:53], s[56:57]
	flat_load_b64 v[49:50], v[2:3] offset:384
	v_add_co_u32 v2, vcc_lo, v2, s38
	s_wait_alu 0xfffd
	v_add_co_ci_u32_e64 v3, null, s39, v3, vcc_lo
	flat_load_b64 v[51:52], v[2:3] offset:384
	v_add_co_u32 v2, vcc_lo, v2, s38
	s_wait_alu 0xfffd
	v_add_co_ci_u32_e64 v3, null, s39, v3, vcc_lo
	v_add_co_u32 v19, vcc_lo, s52, v11
	s_wait_alu 0xfffd
	v_add_co_ci_u32_e64 v20, null, s53, v12, vcc_lo
	flat_load_b64 v[53:54], v[2:3] offset:384
	v_add_co_u32 v2, vcc_lo, v2, s40
	s_wait_alu 0xfffd
	v_add_co_ci_u32_e64 v3, null, s41, v3, vcc_lo
	s_wait_alu 0xfffe
	v_add_co_u32 v31, vcc_lo, s56, v9
	s_wait_alu 0xfffd
	v_add_co_ci_u32_e64 v32, null, s57, v10, vcc_lo
	v_add_co_u32 v33, vcc_lo, v2, s38
	s_wait_alu 0xfffd
	v_add_co_ci_u32_e64 v34, null, s39, v3, vcc_lo
	flat_load_b64 v[55:56], v[19:20]
	v_add_co_u32 v57, vcc_lo, v33, s38
	s_wait_alu 0xfffd
	v_add_co_ci_u32_e64 v58, null, s39, v34, vcc_lo
	flat_load_b64 v[19:20], v[31:32]
	s_clause 0x3
	flat_load_b64 v[37:38], v[0:1] offset:512
	flat_load_b64 v[35:36], v[2:3] offset:512
	;; [unrolled: 1-line block ×4, first 2 shown]
	ds_load_b128 v[0:3], v63
	ds_load_b128 v[57:60], v63 offset:16
	s_wait_loadcnt_dscnt 0x0
	s_barrier_signal -1
	s_barrier_wait -1
	global_inv scope:SCOPE_SE
	v_fma_f64 v[85:86], v[29:30], v[0:1], 0
	s_delay_alu instid0(VALU_DEP_1) | instskip(SKIP_1) | instid1(VALU_DEP_1)
	v_fma_f64 v[85:86], v[41:42], v[2:3], v[85:86]
	v_fma_f64 v[0:1], v[47:48], v[0:1], 0
	;; [unrolled: 1-line block ×3, first 2 shown]
	s_delay_alu instid0(VALU_DEP_3) | instskip(NEXT) | instid1(VALU_DEP_2)
	v_fma_f64 v[2:3], v[43:44], v[57:58], v[85:86]
	v_fma_f64 v[0:1], v[51:52], v[57:58], v[0:1]
	s_delay_alu instid0(VALU_DEP_2) | instskip(NEXT) | instid1(VALU_DEP_2)
	v_fma_f64 v[2:3], v[45:46], v[59:60], v[2:3]
	v_fma_f64 v[0:1], v[53:54], v[59:60], v[0:1]
	ds_store_2addr_b64 v65, v[2:3], v[0:1] offset1:16
	s_wait_loadcnt_dscnt 0x0
	s_barrier_signal -1
	s_barrier_wait -1
	global_inv scope:SCOPE_SE
	s_and_saveexec_b32 s56, s0
	s_cbranch_execz .LBB171_23
; %bb.20:                               ;   in Loop: Header=BB171_19 Depth=2
	ds_load_2addr_b64 v[57:60], v64 offset1:32
	v_add_co_u32 v17, vcc_lo, v17, s36
	s_wait_alu 0xfffd
	v_add_co_ci_u32_e64 v18, null, s37, v18, vcc_lo
	ds_load_2addr_b64 v[85:88], v64 offset0:64 offset1:96
	s_mov_b32 s57, 0
	s_wait_dscnt 0x1
	v_add_f64_e32 v[0:1], 0, v[57:58]
	v_add_co_u32 v57, vcc_lo, v17, v13
	s_wait_alu 0xfffd
	v_add_co_ci_u32_e64 v58, null, v18, v14, vcc_lo
	flat_load_b64 v[2:3], v[57:58]
	v_add_f64_e32 v[0:1], v[0:1], v[59:60]
	s_wait_dscnt 0x1
	s_delay_alu instid0(VALU_DEP_1) | instskip(NEXT) | instid1(VALU_DEP_1)
	v_add_f64_e32 v[0:1], v[0:1], v[85:86]
	v_add_f64_e32 v[0:1], v[0:1], v[87:88]
	ds_load_2addr_b64 v[85:88], v64 offset0:128 offset1:160
	s_wait_dscnt 0x0
	v_add_f64_e32 v[0:1], v[0:1], v[85:86]
	s_delay_alu instid0(VALU_DEP_1) | instskip(SKIP_3) | instid1(VALU_DEP_1)
	v_add_f64_e32 v[0:1], v[0:1], v[87:88]
	ds_load_2addr_b64 v[85:88], v64 offset0:192 offset1:224
	s_wait_dscnt 0x0
	v_add_f64_e32 v[0:1], v[0:1], v[85:86]
	v_add_f64_e32 v[0:1], v[0:1], v[87:88]
	s_delay_alu instid0(VALU_DEP_1)
	v_mul_f64_e32 v[59:60], v[15:16], v[0:1]
.LBB171_21:                             ;   Parent Loop BB171_3 Depth=1
                                        ;     Parent Loop BB171_19 Depth=2
                                        ; =>    This Inner Loop Header: Depth=3
	s_wait_loadcnt 0x0
	s_delay_alu instid0(VALU_DEP_1)
	v_add_f64_e32 v[0:1], v[2:3], v[59:60]
	flat_atomic_cmpswap_b64 v[0:1], v[57:58], v[0:3] th:TH_ATOMIC_RETURN scope:SCOPE_DEV
	s_wait_loadcnt_dscnt 0x0
	v_cmp_eq_u64_e32 vcc_lo, v[0:1], v[2:3]
	v_dual_mov_b32 v3, v1 :: v_dual_mov_b32 v2, v0
	s_wait_alu 0xfffe
	s_or_b32 s57, vcc_lo, s57
	s_wait_alu 0xfffe
	s_and_not1_b32 exec_lo, exec_lo, s57
	s_cbranch_execnz .LBB171_21
; %bb.22:                               ;   in Loop: Header=BB171_19 Depth=2
	s_or_b32 exec_lo, exec_lo, s57
.LBB171_23:                             ;   in Loop: Header=BB171_19 Depth=2
	s_wait_alu 0xfffe
	s_or_b32 exec_lo, exec_lo, s56
	v_fma_f64 v[0:1], v[39:40], v[29:30], v[23:24]
	v_fma_f64 v[2:3], v[39:40], v[41:42], v[27:28]
	v_fma_f64 v[25:26], v[39:40], v[43:44], v[25:26]
	v_fma_f64 v[21:22], v[39:40], v[45:46], v[21:22]
	v_add_co_u32 v83, vcc_lo, 0x100, v83
	s_wait_alu 0xfffd
	v_add_co_ci_u32_e64 v84, null, 0, v84, vcc_lo
	s_add_co_i32 s56, s55, 1
	s_cmp_eq_u32 s55, s54
	v_fma_f64 v[23:24], v[55:56], v[47:48], v[0:1]
	v_fma_f64 v[27:28], v[55:56], v[49:50], v[2:3]
	;; [unrolled: 1-line block ×4, first 2 shown]
	s_cbranch_scc1 .LBB171_27
; %bb.24:                               ;   in Loop: Header=BB171_19 Depth=2
	v_dual_mov_b32 v40, v20 :: v_dual_mov_b32 v39, v19
	v_dual_mov_b32 v29, v37 :: v_dual_mov_b32 v30, v38
	;; [unrolled: 1-line block ×5, first 2 shown]
	s_wait_alu 0xfffe
	s_mov_b32 s55, s56
	s_branch .LBB171_19
.LBB171_25:                             ;   in Loop: Header=BB171_3 Depth=1
	v_mov_b32_e32 v23, 0
	v_dual_mov_b32 v27, 0 :: v_dual_mov_b32 v24, 0
	v_dual_mov_b32 v25, 0 :: v_dual_mov_b32 v28, 0
	s_wait_loadcnt_dscnt 0x404
	v_mov_b32_e32 v29, 0
	s_wait_alu 0xfffe
	v_dual_mov_b32 v17, s54 :: v_dual_mov_b32 v18, s55
	v_mov_b32_e32 v26, 0
	s_wait_loadcnt_dscnt 0x0
	v_dual_mov_b32 v30, 0 :: v_dual_mov_b32 v19, v39
	v_mov_b32_e32 v20, v40
	s_and_b32 vcc_lo, exec_lo, s61
	s_wait_alu 0xfffe
	s_cbranch_vccnz .LBB171_32
	s_branch .LBB171_40
.LBB171_26:                             ;   in Loop: Header=BB171_3 Depth=1
	v_mov_b32_e32 v25, 0
	v_dual_mov_b32 v23, 0 :: v_dual_mov_b32 v26, 0
	v_dual_mov_b32 v27, 0 :: v_dual_mov_b32 v24, 0
	s_wait_loadcnt_dscnt 0x0
	v_mov_b32_e32 v19, v39
	s_wait_alu 0xfffe
	v_dual_mov_b32 v17, s54 :: v_dual_mov_b32 v18, s55
	v_dual_mov_b32 v31, v45 :: v_dual_mov_b32 v32, v46
	v_dual_mov_b32 v33, v43 :: v_dual_mov_b32 v34, v44
	v_dual_mov_b32 v35, v41 :: v_dual_mov_b32 v36, v42
	v_dual_mov_b32 v38, v30 :: v_dual_mov_b32 v37, v29
	v_mov_b32_e32 v28, 0
	v_mov_b32_e32 v20, v40
.LBB171_27:                             ;   in Loop: Header=BB171_3 Depth=1
	v_add_co_u32 v0, vcc_lo, v83, v7
	s_wait_alu 0xfffd
	v_add_co_ci_u32_e64 v1, null, v84, v8, vcc_lo
	s_sub_nc_u64 s[54:55], 0, s[38:39]
	v_add_co_u32 v2, vcc_lo, v0, s48
	s_wait_alu 0xfffd
	v_add_co_ci_u32_e64 v3, null, s49, v1, vcc_lo
	s_wait_alu 0xfffe
	s_delay_alu instid0(VALU_DEP_2) | instskip(SKIP_1) | instid1(VALU_DEP_2)
	v_add_co_u32 v29, vcc_lo, v2, s54
	s_wait_alu 0xfffd
	v_add_co_ci_u32_e64 v30, null, s55, v3, vcc_lo
	s_delay_alu instid0(VALU_DEP_2) | instskip(SKIP_1) | instid1(VALU_DEP_2)
	v_add_co_u32 v41, vcc_lo, v29, s54
	s_wait_alu 0xfffd
	v_add_co_ci_u32_e64 v42, null, s55, v30, vcc_lo
	s_lshl_b64 s[54:55], s[28:29], 3
	s_clause 0x3
	flat_load_b64 v[39:40], v[29:30] offset:384
	flat_load_b64 v[43:44], v[41:42] offset:384
	;; [unrolled: 1-line block ×4, first 2 shown]
	s_wait_alu 0xfffe
	s_add_nc_u64 s[52:53], s[52:53], s[54:55]
	s_wait_alu 0xfffe
	v_add_co_u32 v0, vcc_lo, s52, v11
	s_wait_alu 0xfffd
	v_add_co_ci_u32_e64 v1, null, s53, v12, vcc_lo
	flat_load_b64 v[29:30], v[0:1]
	ds_load_b128 v[0:3], v63
	ds_load_b128 v[47:50], v63 offset:16
	s_wait_loadcnt_dscnt 0x0
	s_barrier_signal -1
	s_barrier_wait -1
	global_inv scope:SCOPE_SE
	v_fma_f64 v[51:52], v[37:38], v[0:1], 0
	s_delay_alu instid0(VALU_DEP_1) | instskip(SKIP_1) | instid1(VALU_DEP_1)
	v_fma_f64 v[51:52], v[35:36], v[2:3], v[51:52]
	v_fma_f64 v[0:1], v[45:46], v[0:1], 0
	;; [unrolled: 1-line block ×3, first 2 shown]
	s_delay_alu instid0(VALU_DEP_3) | instskip(NEXT) | instid1(VALU_DEP_2)
	v_fma_f64 v[2:3], v[33:34], v[47:48], v[51:52]
	v_fma_f64 v[0:1], v[39:40], v[47:48], v[0:1]
	s_delay_alu instid0(VALU_DEP_2) | instskip(NEXT) | instid1(VALU_DEP_2)
	v_fma_f64 v[2:3], v[31:32], v[49:50], v[2:3]
	v_fma_f64 v[0:1], v[41:42], v[49:50], v[0:1]
	ds_store_2addr_b64 v65, v[2:3], v[0:1] offset1:16
	s_wait_loadcnt_dscnt 0x0
	s_barrier_signal -1
	s_barrier_wait -1
	global_inv scope:SCOPE_SE
	s_and_saveexec_b32 s54, s0
	s_cbranch_execz .LBB171_31
; %bb.28:                               ;   in Loop: Header=BB171_3 Depth=1
	ds_load_2addr_b64 v[47:50], v64 offset1:32
	v_add_co_u32 v17, vcc_lo, v17, s36
	s_wait_alu 0xfffd
	v_add_co_ci_u32_e64 v18, null, s37, v18, vcc_lo
	s_mov_b32 s55, 0
	s_wait_dscnt 0x0
	v_add_f64_e32 v[0:1], 0, v[47:48]
	v_add_co_u32 v47, vcc_lo, v17, v13
	s_wait_alu 0xfffd
	v_add_co_ci_u32_e64 v48, null, v18, v14, vcc_lo
	flat_load_b64 v[2:3], v[47:48]
	v_add_f64_e32 v[0:1], v[0:1], v[49:50]
	ds_load_2addr_b64 v[49:52], v64 offset0:64 offset1:96
	s_wait_dscnt 0x0
	v_add_f64_e32 v[0:1], v[0:1], v[49:50]
	s_delay_alu instid0(VALU_DEP_1) | instskip(SKIP_3) | instid1(VALU_DEP_1)
	v_add_f64_e32 v[0:1], v[0:1], v[51:52]
	ds_load_2addr_b64 v[49:52], v64 offset0:128 offset1:160
	s_wait_dscnt 0x0
	v_add_f64_e32 v[0:1], v[0:1], v[49:50]
	v_add_f64_e32 v[0:1], v[0:1], v[51:52]
	ds_load_2addr_b64 v[49:52], v64 offset0:192 offset1:224
	s_wait_dscnt 0x0
	v_add_f64_e32 v[0:1], v[0:1], v[49:50]
	s_delay_alu instid0(VALU_DEP_1) | instskip(NEXT) | instid1(VALU_DEP_1)
	v_add_f64_e32 v[0:1], v[0:1], v[51:52]
	v_mul_f64_e32 v[49:50], v[15:16], v[0:1]
.LBB171_29:                             ;   Parent Loop BB171_3 Depth=1
                                        ; =>  This Inner Loop Header: Depth=2
	s_wait_loadcnt 0x0
	s_delay_alu instid0(VALU_DEP_1)
	v_add_f64_e32 v[0:1], v[2:3], v[49:50]
	flat_atomic_cmpswap_b64 v[0:1], v[47:48], v[0:3] th:TH_ATOMIC_RETURN scope:SCOPE_DEV
	s_wait_loadcnt_dscnt 0x0
	v_cmp_eq_u64_e32 vcc_lo, v[0:1], v[2:3]
	v_dual_mov_b32 v3, v1 :: v_dual_mov_b32 v2, v0
	s_wait_alu 0xfffe
	s_or_b32 s55, vcc_lo, s55
	s_wait_alu 0xfffe
	s_and_not1_b32 exec_lo, exec_lo, s55
	s_cbranch_execnz .LBB171_29
; %bb.30:                               ;   in Loop: Header=BB171_3 Depth=1
	s_or_b32 exec_lo, exec_lo, s55
.LBB171_31:                             ;   in Loop: Header=BB171_3 Depth=1
	s_wait_alu 0xfffe
	s_or_b32 exec_lo, exec_lo, s54
	v_fma_f64 v[0:1], v[19:20], v[37:38], v[23:24]
	v_fma_f64 v[2:3], v[19:20], v[35:36], v[27:28]
	;; [unrolled: 1-line block ×4, first 2 shown]
	v_add_co_u32 v83, vcc_lo, 0x100, v83
	s_wait_alu 0xfffd
	v_add_co_ci_u32_e64 v84, null, 0, v84, vcc_lo
	v_fma_f64 v[27:28], v[29:30], v[45:46], v[0:1]
	v_fma_f64 v[25:26], v[29:30], v[43:44], v[2:3]
	;; [unrolled: 1-line block ×4, first 2 shown]
	s_and_b32 vcc_lo, exec_lo, s61
	s_wait_alu 0xfffe
	s_cbranch_vccz .LBB171_40
.LBB171_32:                             ;   in Loop: Header=BB171_3 Depth=1
	v_mov_b32_e32 v31, 0
	v_dual_mov_b32 v35, 0 :: v_dual_mov_b32 v32, 0
	v_dual_mov_b32 v33, 0 :: v_dual_mov_b32 v36, 0
	v_mov_b32_e32 v37, 0
	v_dual_mov_b32 v39, 0 :: v_dual_mov_b32 v34, 0
	v_mov_b32_e32 v38, 0
	v_mov_b32_e32 v40, 0
	s_lshl_b64 s[54:55], s[28:29], 3
	s_wait_alu 0xfffe
	s_add_nc_u64 s[52:53], s[52:53], s[54:55]
	s_and_saveexec_b32 s54, s1
	s_cbranch_execz .LBB171_34
; %bb.33:                               ;   in Loop: Header=BB171_3 Depth=1
	v_add_co_u32 v0, vcc_lo, v83, v7
	s_wait_alu 0xfffd
	v_add_co_ci_u32_e64 v1, null, v84, v8, vcc_lo
	s_delay_alu instid0(VALU_DEP_2) | instskip(SKIP_1) | instid1(VALU_DEP_2)
	v_add_co_u32 v2, vcc_lo, v0, s38
	s_wait_alu 0xfffd
	v_add_co_ci_u32_e64 v3, null, s39, v1, vcc_lo
	v_add_co_u32 v19, vcc_lo, v0, s30
	s_wait_alu 0xfffd
	v_add_co_ci_u32_e64 v20, null, s31, v1, vcc_lo
	;; [unrolled: 3-line block ×3, first 2 shown]
	s_wait_alu 0xfffe
	v_add_co_u32 v41, vcc_lo, s52, v9
	s_wait_alu 0xfffd
	v_add_co_ci_u32_e64 v42, null, s53, v10, vcc_lo
	s_clause 0x3
	flat_load_b64 v[33:34], v[0:1] offset:256
	flat_load_b64 v[35:36], v[2:3] offset:256
	;; [unrolled: 1-line block ×4, first 2 shown]
	flat_load_b64 v[19:20], v[41:42]
.LBB171_34:                             ;   in Loop: Header=BB171_3 Depth=1
	s_wait_alu 0xfffe
	s_or_b32 exec_lo, exec_lo, s54
	v_mov_b32_e32 v41, 0
	v_dual_mov_b32 v42, 0 :: v_dual_mov_b32 v43, 0
	v_dual_mov_b32 v45, 0 :: v_dual_mov_b32 v44, 0
	v_mov_b32_e32 v46, 0
	s_and_saveexec_b32 s54, s2
	s_cbranch_execz .LBB171_36
; %bb.35:                               ;   in Loop: Header=BB171_3 Depth=1
	v_add_co_u32 v0, vcc_lo, v83, v7
	s_wait_alu 0xfffd
	v_add_co_ci_u32_e64 v1, null, v84, v8, vcc_lo
	s_delay_alu instid0(VALU_DEP_2) | instskip(SKIP_1) | instid1(VALU_DEP_2)
	v_add_co_u32 v2, vcc_lo, v0, s38
	s_wait_alu 0xfffd
	v_add_co_ci_u32_e64 v3, null, s39, v1, vcc_lo
	v_add_co_u32 v29, vcc_lo, v0, s30
	s_wait_alu 0xfffd
	v_add_co_ci_u32_e64 v30, null, s31, v1, vcc_lo
	v_add_co_u32 v45, vcc_lo, v0, s34
	s_wait_alu 0xfffd
	v_add_co_ci_u32_e64 v46, null, s35, v1, vcc_lo
	v_add_co_u32 v47, vcc_lo, s52, v11
	s_wait_alu 0xfffd
	v_add_co_ci_u32_e64 v48, null, s53, v12, vcc_lo
	s_clause 0x3
	flat_load_b64 v[31:32], v[0:1] offset:384
	flat_load_b64 v[41:42], v[2:3] offset:384
	;; [unrolled: 1-line block ×4, first 2 shown]
	flat_load_b64 v[29:30], v[47:48]
.LBB171_36:                             ;   in Loop: Header=BB171_3 Depth=1
	s_wait_alu 0xfffe
	s_or_b32 exec_lo, exec_lo, s54
	ds_load_b128 v[0:3], v63
	ds_load_b128 v[47:50], v63 offset:16
	s_wait_loadcnt_dscnt 0x0
	s_barrier_signal -1
	s_barrier_wait -1
	global_inv scope:SCOPE_SE
	v_fma_f64 v[51:52], v[31:32], v[0:1], 0
	v_fma_f64 v[0:1], v[33:34], v[0:1], 0
	s_delay_alu instid0(VALU_DEP_2) | instskip(NEXT) | instid1(VALU_DEP_2)
	v_fma_f64 v[51:52], v[41:42], v[2:3], v[51:52]
	v_fma_f64 v[0:1], v[35:36], v[2:3], v[0:1]
	s_delay_alu instid0(VALU_DEP_2) | instskip(NEXT) | instid1(VALU_DEP_2)
	;; [unrolled: 3-line block ×3, first 2 shown]
	v_fma_f64 v[2:3], v[45:46], v[49:50], v[2:3]
	v_fma_f64 v[0:1], v[39:40], v[49:50], v[0:1]
	ds_store_2addr_b64 v65, v[0:1], v[2:3] offset1:16
	s_wait_loadcnt_dscnt 0x0
	s_barrier_signal -1
	s_barrier_wait -1
	global_inv scope:SCOPE_SE
	s_and_saveexec_b32 s52, s20
	s_cbranch_execz .LBB171_39
; %bb.37:                               ;   in Loop: Header=BB171_3 Depth=1
	ds_load_2addr_b64 v[47:50], v64 offset1:32
	v_add_co_u32 v2, vcc_lo, v17, s36
	s_wait_alu 0xfffd
	v_add_co_ci_u32_e64 v3, null, s37, v18, vcc_lo
	s_mov_b32 s53, 0
	v_add_co_u32 v17, vcc_lo, v2, v13
	s_wait_alu 0xfffd
	v_add_co_ci_u32_e64 v18, null, v3, v14, vcc_lo
	flat_load_b64 v[2:3], v[17:18]
	s_wait_dscnt 0x1
	v_add_f64_e32 v[0:1], 0, v[47:48]
	s_delay_alu instid0(VALU_DEP_1) | instskip(SKIP_3) | instid1(VALU_DEP_1)
	v_add_f64_e32 v[0:1], v[0:1], v[49:50]
	ds_load_2addr_b64 v[47:50], v64 offset0:64 offset1:96
	s_wait_dscnt 0x0
	v_add_f64_e32 v[0:1], v[0:1], v[47:48]
	v_add_f64_e32 v[0:1], v[0:1], v[49:50]
	ds_load_2addr_b64 v[47:50], v64 offset0:128 offset1:160
	s_wait_dscnt 0x0
	v_add_f64_e32 v[0:1], v[0:1], v[47:48]
	s_delay_alu instid0(VALU_DEP_1) | instskip(SKIP_3) | instid1(VALU_DEP_1)
	v_add_f64_e32 v[0:1], v[0:1], v[49:50]
	ds_load_2addr_b64 v[47:50], v64 offset0:192 offset1:224
	s_wait_dscnt 0x0
	v_add_f64_e32 v[0:1], v[0:1], v[47:48]
	v_add_f64_e32 v[0:1], v[0:1], v[49:50]
	s_delay_alu instid0(VALU_DEP_1)
	v_mul_f64_e32 v[47:48], v[15:16], v[0:1]
.LBB171_38:                             ;   Parent Loop BB171_3 Depth=1
                                        ; =>  This Inner Loop Header: Depth=2
	s_wait_loadcnt 0x0
	s_delay_alu instid0(VALU_DEP_1)
	v_add_f64_e32 v[0:1], v[2:3], v[47:48]
	flat_atomic_cmpswap_b64 v[0:1], v[17:18], v[0:3] th:TH_ATOMIC_RETURN scope:SCOPE_DEV
	s_wait_loadcnt_dscnt 0x0
	v_cmp_eq_u64_e32 vcc_lo, v[0:1], v[2:3]
	v_dual_mov_b32 v3, v1 :: v_dual_mov_b32 v2, v0
	s_wait_alu 0xfffe
	s_or_b32 s53, vcc_lo, s53
	s_wait_alu 0xfffe
	s_and_not1_b32 exec_lo, exec_lo, s53
	s_cbranch_execnz .LBB171_38
.LBB171_39:                             ;   in Loop: Header=BB171_3 Depth=1
	s_wait_alu 0xfffe
	s_or_b32 exec_lo, exec_lo, s52
	v_fma_f64 v[0:1], v[19:20], v[33:34], v[27:28]
	v_fma_f64 v[2:3], v[19:20], v[35:36], v[25:26]
	v_fma_f64 v[17:18], v[19:20], v[37:38], v[23:24]
	v_fma_f64 v[19:20], v[19:20], v[39:40], v[21:22]
	s_delay_alu instid0(VALU_DEP_4) | instskip(NEXT) | instid1(VALU_DEP_4)
	v_fma_f64 v[27:28], v[29:30], v[31:32], v[0:1]
	v_fma_f64 v[25:26], v[29:30], v[41:42], v[2:3]
	s_delay_alu instid0(VALU_DEP_4) | instskip(NEXT) | instid1(VALU_DEP_4)
	v_fma_f64 v[23:24], v[29:30], v[43:44], v[17:18]
	v_fma_f64 v[21:22], v[29:30], v[45:46], v[19:20]
.LBB171_40:                             ;   in Loop: Header=BB171_3 Depth=1
	ds_store_2addr_b64 v82, v[27:28], v[25:26] offset1:16
	ds_store_2addr_b64 v82, v[23:24], v[21:22] offset0:32 offset1:48
	s_wait_loadcnt_dscnt 0x0
	s_barrier_signal -1
	s_barrier_wait -1
	global_inv scope:SCOPE_SE
	s_and_b32 exec_lo, exec_lo, s0
	s_cbranch_execz .LBB171_2
; %bb.41:                               ;   in Loop: Header=BB171_3 Depth=1
	ds_load_b64 v[0:1], v66
	ds_load_b64 v[2:3], v67
	;; [unrolled: 1-line block ×4, first 2 shown]
	s_wait_dscnt 0x3
	v_add_f64_e32 v[0:1], 0, v[0:1]
	s_wait_dscnt 0x2
	s_delay_alu instid0(VALU_DEP_1) | instskip(SKIP_1) | instid1(VALU_DEP_1)
	v_add_f64_e32 v[0:1], v[0:1], v[2:3]
	s_wait_dscnt 0x1
	v_add_f64_e32 v[0:1], v[0:1], v[17:18]
	s_wait_dscnt 0x0
	s_delay_alu instid0(VALU_DEP_1)
	v_add_f64_e32 v[0:1], v[0:1], v[19:20]
	ds_load_b64 v[2:3], v70
	ds_load_b64 v[17:18], v71
	;; [unrolled: 1-line block ×4, first 2 shown]
	s_wait_dscnt 0x3
	v_add_f64_e32 v[0:1], v[0:1], v[2:3]
	s_wait_dscnt 0x2
	s_delay_alu instid0(VALU_DEP_1)
	v_add_f64_e32 v[0:1], v[0:1], v[17:18]
	v_add_co_u32 v17, vcc_lo, s50, v13
	s_wait_alu 0xfffd
	v_add_co_ci_u32_e64 v18, null, s51, v14, vcc_lo
	s_mov_b32 s50, 0
	s_wait_dscnt 0x1
	v_add_f64_e32 v[0:1], v[0:1], v[19:20]
	s_wait_dscnt 0x0
	s_delay_alu instid0(VALU_DEP_1)
	v_add_f64_e32 v[0:1], v[0:1], v[21:22]
	ds_load_b64 v[2:3], v74
	ds_load_b64 v[19:20], v75
	;; [unrolled: 1-line block ×4, first 2 shown]
	s_wait_dscnt 0x3
	v_add_f64_e32 v[0:1], v[0:1], v[2:3]
	flat_load_b64 v[2:3], v[17:18]
	s_wait_dscnt 0x3
	v_add_f64_e32 v[0:1], v[0:1], v[19:20]
	s_wait_dscnt 0x2
	s_delay_alu instid0(VALU_DEP_1) | instskip(SKIP_1) | instid1(VALU_DEP_1)
	v_add_f64_e32 v[0:1], v[0:1], v[21:22]
	s_wait_dscnt 0x1
	v_add_f64_e32 v[0:1], v[0:1], v[23:24]
	ds_load_b64 v[19:20], v78
	ds_load_b64 v[21:22], v79
	;; [unrolled: 1-line block ×4, first 2 shown]
	s_wait_dscnt 0x3
	v_add_f64_e32 v[0:1], v[0:1], v[19:20]
	s_wait_dscnt 0x2
	s_delay_alu instid0(VALU_DEP_1) | instskip(SKIP_1) | instid1(VALU_DEP_1)
	v_add_f64_e32 v[0:1], v[0:1], v[21:22]
	s_wait_dscnt 0x1
	v_add_f64_e32 v[0:1], v[0:1], v[23:24]
	s_wait_dscnt 0x0
	s_delay_alu instid0(VALU_DEP_1) | instskip(NEXT) | instid1(VALU_DEP_1)
	v_add_f64_e32 v[0:1], v[0:1], v[25:26]
	v_mul_f64_e32 v[15:16], v[15:16], v[0:1]
.LBB171_42:                             ;   Parent Loop BB171_3 Depth=1
                                        ; =>  This Inner Loop Header: Depth=2
	s_wait_loadcnt 0x0
	s_delay_alu instid0(VALU_DEP_1)
	v_add_f64_e32 v[0:1], v[2:3], v[15:16]
	flat_atomic_cmpswap_b64 v[0:1], v[17:18], v[0:3] th:TH_ATOMIC_RETURN scope:SCOPE_DEV
	s_wait_loadcnt_dscnt 0x0
	v_cmp_eq_u64_e32 vcc_lo, v[0:1], v[2:3]
	v_dual_mov_b32 v3, v1 :: v_dual_mov_b32 v2, v0
	s_wait_alu 0xfffe
	s_or_b32 s50, vcc_lo, s50
	s_wait_alu 0xfffe
	s_and_not1_b32 exec_lo, exec_lo, s50
	s_cbranch_execnz .LBB171_42
	s_branch .LBB171_2
.LBB171_43:
	s_endpgm
	.section	.rodata,"a",@progbits
	.p2align	6, 0x0
	.amdhsa_kernel _ZL62rocblas_symv_kernel_lower_double_buffered_non_diagonal_genericILi32ELi4ELi4E24rocblas_internal_val_ptrIdEPKPKdPKPdEvbiT2_lT3_lllSA_lllT4_lllii
		.amdhsa_group_segment_fixed_size 7424
		.amdhsa_private_segment_fixed_size 0
		.amdhsa_kernarg_size 384
		.amdhsa_user_sgpr_count 4
		.amdhsa_user_sgpr_dispatch_ptr 1
		.amdhsa_user_sgpr_queue_ptr 0
		.amdhsa_user_sgpr_kernarg_segment_ptr 1
		.amdhsa_user_sgpr_dispatch_id 0
		.amdhsa_user_sgpr_private_segment_size 0
		.amdhsa_wavefront_size32 1
		.amdhsa_uses_dynamic_stack 0
		.amdhsa_enable_private_segment 0
		.amdhsa_system_sgpr_workgroup_id_x 1
		.amdhsa_system_sgpr_workgroup_id_y 1
		.amdhsa_system_sgpr_workgroup_id_z 1
		.amdhsa_system_sgpr_workgroup_info 0
		.amdhsa_system_vgpr_workitem_id 2
		.amdhsa_next_free_vgpr 89
		.amdhsa_next_free_sgpr 68
		.amdhsa_reserve_vcc 1
		.amdhsa_float_round_mode_32 0
		.amdhsa_float_round_mode_16_64 0
		.amdhsa_float_denorm_mode_32 3
		.amdhsa_float_denorm_mode_16_64 3
		.amdhsa_fp16_overflow 0
		.amdhsa_workgroup_processor_mode 1
		.amdhsa_memory_ordered 1
		.amdhsa_forward_progress 1
		.amdhsa_inst_pref_size 39
		.amdhsa_round_robin_scheduling 0
		.amdhsa_exception_fp_ieee_invalid_op 0
		.amdhsa_exception_fp_denorm_src 0
		.amdhsa_exception_fp_ieee_div_zero 0
		.amdhsa_exception_fp_ieee_overflow 0
		.amdhsa_exception_fp_ieee_underflow 0
		.amdhsa_exception_fp_ieee_inexact 0
		.amdhsa_exception_int_div_zero 0
	.end_amdhsa_kernel
	.section	.text._ZL62rocblas_symv_kernel_lower_double_buffered_non_diagonal_genericILi32ELi4ELi4E24rocblas_internal_val_ptrIdEPKPKdPKPdEvbiT2_lT3_lllSA_lllT4_lllii,"axG",@progbits,_ZL62rocblas_symv_kernel_lower_double_buffered_non_diagonal_genericILi32ELi4ELi4E24rocblas_internal_val_ptrIdEPKPKdPKPdEvbiT2_lT3_lllSA_lllT4_lllii,comdat
.Lfunc_end171:
	.size	_ZL62rocblas_symv_kernel_lower_double_buffered_non_diagonal_genericILi32ELi4ELi4E24rocblas_internal_val_ptrIdEPKPKdPKPdEvbiT2_lT3_lllSA_lllT4_lllii, .Lfunc_end171-_ZL62rocblas_symv_kernel_lower_double_buffered_non_diagonal_genericILi32ELi4ELi4E24rocblas_internal_val_ptrIdEPKPKdPKPdEvbiT2_lT3_lllSA_lllT4_lllii
                                        ; -- End function
	.set _ZL62rocblas_symv_kernel_lower_double_buffered_non_diagonal_genericILi32ELi4ELi4E24rocblas_internal_val_ptrIdEPKPKdPKPdEvbiT2_lT3_lllSA_lllT4_lllii.num_vgpr, 89
	.set _ZL62rocblas_symv_kernel_lower_double_buffered_non_diagonal_genericILi32ELi4ELi4E24rocblas_internal_val_ptrIdEPKPKdPKPdEvbiT2_lT3_lllSA_lllT4_lllii.num_agpr, 0
	.set _ZL62rocblas_symv_kernel_lower_double_buffered_non_diagonal_genericILi32ELi4ELi4E24rocblas_internal_val_ptrIdEPKPKdPKPdEvbiT2_lT3_lllSA_lllT4_lllii.numbered_sgpr, 68
	.set _ZL62rocblas_symv_kernel_lower_double_buffered_non_diagonal_genericILi32ELi4ELi4E24rocblas_internal_val_ptrIdEPKPKdPKPdEvbiT2_lT3_lllSA_lllT4_lllii.num_named_barrier, 0
	.set _ZL62rocblas_symv_kernel_lower_double_buffered_non_diagonal_genericILi32ELi4ELi4E24rocblas_internal_val_ptrIdEPKPKdPKPdEvbiT2_lT3_lllSA_lllT4_lllii.private_seg_size, 0
	.set _ZL62rocblas_symv_kernel_lower_double_buffered_non_diagonal_genericILi32ELi4ELi4E24rocblas_internal_val_ptrIdEPKPKdPKPdEvbiT2_lT3_lllSA_lllT4_lllii.uses_vcc, 1
	.set _ZL62rocblas_symv_kernel_lower_double_buffered_non_diagonal_genericILi32ELi4ELi4E24rocblas_internal_val_ptrIdEPKPKdPKPdEvbiT2_lT3_lllSA_lllT4_lllii.uses_flat_scratch, 1
	.set _ZL62rocblas_symv_kernel_lower_double_buffered_non_diagonal_genericILi32ELi4ELi4E24rocblas_internal_val_ptrIdEPKPKdPKPdEvbiT2_lT3_lllSA_lllT4_lllii.has_dyn_sized_stack, 0
	.set _ZL62rocblas_symv_kernel_lower_double_buffered_non_diagonal_genericILi32ELi4ELi4E24rocblas_internal_val_ptrIdEPKPKdPKPdEvbiT2_lT3_lllSA_lllT4_lllii.has_recursion, 0
	.set _ZL62rocblas_symv_kernel_lower_double_buffered_non_diagonal_genericILi32ELi4ELi4E24rocblas_internal_val_ptrIdEPKPKdPKPdEvbiT2_lT3_lllSA_lllT4_lllii.has_indirect_call, 0
	.section	.AMDGPU.csdata,"",@progbits
; Kernel info:
; codeLenInByte = 4888
; TotalNumSgprs: 70
; NumVgprs: 89
; ScratchSize: 0
; MemoryBound: 0
; FloatMode: 240
; IeeeMode: 1
; LDSByteSize: 7424 bytes/workgroup (compile time only)
; SGPRBlocks: 0
; VGPRBlocks: 11
; NumSGPRsForWavesPerEU: 70
; NumVGPRsForWavesPerEU: 89
; Occupancy: 16
; WaveLimiterHint : 1
; COMPUTE_PGM_RSRC2:SCRATCH_EN: 0
; COMPUTE_PGM_RSRC2:USER_SGPR: 4
; COMPUTE_PGM_RSRC2:TRAP_HANDLER: 0
; COMPUTE_PGM_RSRC2:TGID_X_EN: 1
; COMPUTE_PGM_RSRC2:TGID_Y_EN: 1
; COMPUTE_PGM_RSRC2:TGID_Z_EN: 1
; COMPUTE_PGM_RSRC2:TIDIG_COMP_CNT: 2
	.section	.text._ZL26rocblas_hemvn_kernel_lowerILb0ELi64ELi4ELi33ELi32ELi16ElPKdPKS1_PdEviT6_lT7_lT5_lS6_lS7_lS5_lT8_i,"axG",@progbits,_ZL26rocblas_hemvn_kernel_lowerILb0ELi64ELi4ELi33ELi32ELi16ElPKdPKS1_PdEviT6_lT7_lT5_lS6_lS7_lS5_lT8_i,comdat
	.globl	_ZL26rocblas_hemvn_kernel_lowerILb0ELi64ELi4ELi33ELi32ELi16ElPKdPKS1_PdEviT6_lT7_lT5_lS6_lS7_lS5_lT8_i ; -- Begin function _ZL26rocblas_hemvn_kernel_lowerILb0ELi64ELi4ELi33ELi32ELi16ElPKdPKS1_PdEviT6_lT7_lT5_lS6_lS7_lS5_lT8_i
	.p2align	8
	.type	_ZL26rocblas_hemvn_kernel_lowerILb0ELi64ELi4ELi33ELi32ELi16ElPKdPKS1_PdEviT6_lT7_lT5_lS6_lS7_lS5_lT8_i,@function
_ZL26rocblas_hemvn_kernel_lowerILb0ELi64ELi4ELi33ELi32ELi16ElPKdPKS1_PdEviT6_lT7_lT5_lS6_lS7_lS5_lT8_i: ; @_ZL26rocblas_hemvn_kernel_lowerILb0ELi64ELi4ELi33ELi32ELi16ElPKdPKS1_PdEviT6_lT7_lT5_lS6_lS7_lS5_lT8_i
; %bb.0:
	s_clause 0x1
	s_load_b64 s[2:3], s[0:1], 0x84
	s_load_b32 s33, s[0:1], 0x70
	s_lshr_b32 s34, ttmp7, 16
	s_wait_kmcnt 0x0
	s_lshr_b32 s4, s2, 16
	s_and_b32 s2, s2, 0xffff
	s_and_b32 s3, s3, 0xffff
	s_mul_i32 s2, s4, s2
	s_delay_alu instid0(SALU_CYCLE_1) | instskip(NEXT) | instid1(SALU_CYCLE_1)
	s_mul_i32 s2, s2, s3
	s_cmp_lg_u32 s2, 0x100
	s_cselect_b32 s2, -1, 0
	s_cmp_ge_u32 s34, s33
	s_cselect_b32 s3, -1, 0
	s_delay_alu instid0(SALU_CYCLE_1) | instskip(NEXT) | instid1(SALU_CYCLE_1)
	s_or_b32 s2, s2, s3
	s_and_b32 vcc_lo, exec_lo, s2
	s_cbranch_vccnz .LBB172_81
; %bb.1:
	s_clause 0x1
	s_load_b32 s2, s[0:1], 0x0
	s_load_b64 s[40:41], s[0:1], 0x48
	s_add_nc_u64 s[4:5], s[0:1], 0x78
	v_dual_mov_b32 v33, 0 :: v_dual_and_b32 v82, 0x3ff, v0
	s_load_b32 s42, s[4:5], 0x0
	v_bfe_u32 v14, v0, 10, 10
	s_clause 0x4
	s_load_b128 s[28:31], s[0:1], 0x38
	s_load_b64 s[4:5], s[0:1], 0x68
	s_load_b256 s[20:27], s[0:1], 0x8
	s_load_b64 s[90:91], s[0:1], 0x28
	s_load_b128 s[36:39], s[0:1], 0x58
	v_lshl_add_u32 v15, v14, 6, v82
	s_lshl_b32 s92, ttmp9, 6
	v_and_b32_e32 v32, 31, v0
	v_add_nc_u32_e32 v1, s92, v82
	s_mov_b32 s43, 0
	v_lshrrev_b32_e32 v12, 5, v15
	v_and_b32_e32 v19, 0x7fe0, v15
	v_lshlrev_b32_e32 v16, 3, v32
	v_ashrrev_i32_e32 v2, 31, v1
	s_wait_kmcnt 0x0
	s_ashr_i32 s3, s2, 31
	s_mul_i32 s6, s2, ttmp9
	s_lshr_b32 s0, s3, 26
	v_lshlrev_b32_e32 v13, 2, v12
	s_add_co_i32 s0, s2, s0
	s_add_co_i32 s1, s42, -1
	s_and_not1_b32 s0, s0, 63
	v_mul_lo_u32 v7, s40, v2
	s_sub_co_i32 s0, s2, s0
	s_cmp_eq_u32 ttmp9, s1
	v_or_b32_e32 v20, 1, v13
	s_cselect_b32 s44, s0, 0
	v_or_b32_e32 v22, 2, v13
	s_cmp_eq_u32 s44, 0
	v_cmp_gt_i32_e32 vcc_lo, s44, v82
	s_cselect_b32 s1, -1, 0
	s_ashr_i32 s7, s6, 31
	v_mul_lo_u32 v8, s41, v1
	s_lshl_b64 s[6:7], s[6:7], 3
	v_mad_co_u64_u32 v[3:4], null, s40, v1, 0
	s_add_nc_u64 s[48:49], s[4:5], s[6:7]
	v_cmp_lt_u32_e64 s6, v13, v32
	v_or_b32_e32 v13, 3, v13
	v_mad_co_u64_u32 v[5:6], null, s90, v12, v[32:33]
	s_or_b32 s102, s1, vcc_lo
	s_ashr_i32 s93, s92, 31
	v_cmp_lt_u32_e64 s9, v13, v32
	v_or_b32_e32 v13, 32, v32
	v_add_nc_u32_e32 v10, 8, v12
	v_add_nc_u32_e32 v11, 16, v12
	s_cmp_lg_u32 s44, 0
	v_mul_u32_u24_e32 v23, 33, v32
	v_cmp_gt_i32_e64 s11, s44, v13
	v_lshlrev_b32_e32 v13, 2, v14
	s_cselect_b32 s17, -1, 0
	v_lshlrev_b32_e32 v24, 3, v12
	s_sub_co_i32 s15, s44, 32
	s_mul_u64 s[46:47], s[42:43], s[2:3]
	v_cmp_gt_i32_e64 s3, s44, v10
	v_cmp_gt_i32_e64 s4, s44, v11
	;; [unrolled: 1-line block ×4, first 2 shown]
	v_mad_co_u64_u32 v[10:11], null, s90, v13, 0
	v_lshl_or_b32 v86, v32, 8, v16
	v_add3_u32 v4, v4, v7, v8
	v_mad_co_u64_u32 v[7:8], null, s91, v12, v[6:7]
	v_add_nc_u32_e32 v18, 24, v12
	v_lshl_add_u32 v89, v23, 3, v24
	v_cmp_le_i32_e32 vcc_lo, s44, v82
	v_sub_co_u32 v8, s2, 0, v32
	v_add_nc_u32_e32 v87, v86, v19
	v_add_nc_u32_e32 v88, 0x2380, v19
	v_lshrrev_b32_e32 v19, 4, v15
	v_mul_u32_u24_e32 v17, 0x108, v12
	v_sub_co_ci_u32_e64 v9, null, 0, 0, s2
	v_cmp_gt_i32_e64 s2, s44, v12
	v_cmp_gt_i32_e64 s5, s44, v18
	v_mul_u32_u24_e32 v21, 0x420, v12
	v_cmp_gt_i32_e64 s12, s15, v12
	v_cmp_gt_i32_e64 s15, s15, v18
	v_cmp_eq_u32_e64 s16, 1, v12
	v_mul_i32_i24_e32 v18, 0xffffffe8, v12
	v_mad_u32_u24 v90, v12, 24, v89
	v_mad_co_u64_u32 v[11:12], null, s91, v13, v[11:12]
	s_and_b32 s17, s17, vcc_lo
	v_sub_co_u32 v12, vcc_lo, 0, v5
	v_dual_mov_b32 v6, v7 :: v_dual_lshlrev_b32 v83, 3, v82
	v_cmp_lt_u32_e64 s8, v22, v32
	v_and_b32_e32 v22, 15, v0
	v_sub_co_ci_u32_e64 v13, null, 0, v7, vcc_lo
	v_and_b32_e32 v0, 48, v0
	v_lshlrev_b32_e32 v7, 5, v19
	v_cmp_lt_u32_e64 s7, v20, v32
	v_mul_u32_u24_e32 v20, 0x108, v20
	v_mad_u32_u24 v93, 0x860, v14, v83
	v_lshlrev_b32_e32 v0, 3, v0
	v_or_b32_e32 v23, 0x78, v83
	v_mad_u32_u24 v94, 0x218, v22, v7
	v_mul_i32_i24_e32 v7, 0xffffffe8, v19
	v_cmp_eq_u32_e64 s0, 0, v14
	s_wait_alu 0xfffe
	s_mul_u64 s[18:19], s[40:41], s[92:93]
	s_mul_u64 s[50:51], s[90:91], s[92:93]
	s_lshl_b64 s[58:59], s[90:91], 5
	v_lshlrev_b64_e32 v[34:35], 3, v[3:4]
	v_lshlrev_b64_e32 v[36:37], 3, v[5:6]
	;; [unrolled: 1-line block ×6, first 2 shown]
	v_cndmask_b32_e64 v84, 0, 1, s1
	v_add_nc_u32_e32 v85, 0x2380, v83
	s_lshl_b64 s[52:53], s[90:91], 6
	s_lshl_b64 s[54:55], s[90:91], 7
	v_cmp_gt_i32_e64 s1, s44, v32
	s_ashr_i32 s45, s44, 31
	v_cmp_gt_u32_e64 s10, 32, v15
	s_xor_b32 s35, s17, -1
	s_sub_nc_u64 s[96:97], 0, s[18:19]
	v_add_nc_u32_e32 v91, 0x2180, v83
	v_lshl_add_u32 v92, v14, 5, 0x2180
	v_cmp_gt_u32_e64 s18, 64, v15
	v_mad_u32_u24 v95, 0x218, v22, v0
	v_mad_u32_u24 v96, 0x218, v22, v23
	v_mad_i32_i24 v97, 0xfffff9b8, v14, v93
	v_add_nc_u32_e32 v98, 0x2380, v24
	v_add_nc_u32_e32 v99, v16, v17
	v_add_nc_u32_e32 v100, v16, v21
	v_add_nc_u32_e32 v101, v16, v20
	v_add_nc_u32_e32 v102, v88, v18
	v_add_nc_u32_e32 v103, v94, v7
	v_lshlrev_b32_e32 v104, 3, v32
	s_sub_nc_u64 s[94:95], 0, s[58:59]
	s_cmp_gt_i32 ttmp9, 0
	s_sub_nc_u64 s[98:99], 0, s[50:51]
	s_mul_u64 s[56:57], s[90:91], 0xc0
	s_cselect_b32 s103, -1, 0
	s_and_b32 s104, s0, s35
	s_wait_alu 0xfffe
	s_sub_nc_u64 s[60:61], 0, s[44:45]
	s_lshl_b64 s[62:63], s[90:91], 3
	s_lshl_b64 s[64:65], s[90:91], 4
	;; [unrolled: 1-line block ×3, first 2 shown]
	s_mul_u64 s[68:69], s[90:91], 24
	s_mul_u64 s[70:71], s[90:91], 0x90
	;; [unrolled: 1-line block ×3, first 2 shown]
	s_lshl_b64 s[74:75], s[90:91], 8
	s_mul_u64 s[76:77], s[90:91], 0x110
	s_mul_u64 s[78:79], s[90:91], 0x118
	;; [unrolled: 1-line block ×8, first 2 shown]
	s_lshl_b64 s[30:31], s[30:31], 3
	s_lshl_b64 s[92:93], s[92:93], 3
	;; [unrolled: 1-line block ×6, first 2 shown]
	s_branch .LBB172_4
.LBB172_2:                              ;   in Loop: Header=BB172_4 Depth=1
	s_wait_alu 0xfffe
	s_or_b32 exec_lo, exec_lo, s19
.LBB172_3:                              ;   in Loop: Header=BB172_4 Depth=1
	s_add_co_i32 s34, s34, 0x10000
	s_delay_alu instid0(SALU_CYCLE_1)
	s_cmp_lt_u32 s34, s33
	s_cbranch_scc0 .LBB172_81
.LBB172_4:                              ; =>This Loop Header: Depth=1
                                        ;     Child Loop BB172_69 Depth 2
	s_mov_b32 s35, s43
	s_delay_alu instid0(SALU_CYCLE_1)
	s_mul_u64 s[100:101], s[22:23], s[34:35]
	s_mul_u64 vcc, s[38:39], s[34:35]
	s_wait_alu 0xfffe
	s_lshl_b64 s[100:101], s[100:101], 3
	s_lshl_b64 vcc, vcc, 3
	s_wait_alu 0xfffe
	s_add_nc_u64 s[100:101], s[20:21], s[100:101]
	s_add_nc_u64 vcc, s[36:37], vcc
	s_clause 0x1
	global_load_b64 v[0:1], v33, s[100:101]
	global_load_b64 v[2:3], v33, vcc
	s_wait_loadcnt 0x1
	v_cmp_eq_f64_e64 s19, 0, v[0:1]
	s_wait_loadcnt 0x0
	v_cmp_eq_f64_e32 vcc_lo, 1.0, v[2:3]
	s_and_b32 s42, s19, vcc_lo
	s_wait_alu 0xfffe
	s_and_b32 vcc_lo, exec_lo, s42
	s_wait_alu 0xfffe
	s_cbranch_vccnz .LBB172_3
; %bb.5:                                ;   in Loop: Header=BB172_4 Depth=1
	s_and_b32 vcc_lo, exec_lo, s19
	s_wait_alu 0xfffe
	s_cbranch_vccz .LBB172_7
; %bb.6:                                ;   in Loop: Header=BB172_4 Depth=1
	s_cbranch_execnz .LBB172_3
	s_branch .LBB172_8
.LBB172_7:                              ;   in Loop: Header=BB172_4 Depth=1
.LBB172_8:                              ;   in Loop: Header=BB172_4 Depth=1
	s_lshl_b64 s[100:101], s[34:35], 3
	s_wait_alu 0xfffe
	s_add_nc_u64 vcc, s[28:29], s[100:101]
	s_add_nc_u64 s[100:101], s[24:25], s[100:101]
	s_clause 0x1
	global_load_b64 v[2:3], v33, vcc
	global_load_b64 v[0:1], v33, s[100:101]
	s_wait_loadcnt 0x1
	v_add_co_u32 v2, vcc_lo, v2, s30
	s_wait_alu 0xfffd
	v_add_co_ci_u32_e64 v3, null, s31, v3, vcc_lo
	s_delay_alu instid0(VALU_DEP_2) | instskip(SKIP_1) | instid1(VALU_DEP_2)
	v_add_co_u32 v16, vcc_lo, v2, v34
	s_wait_alu 0xfffd
	v_add_co_ci_u32_e64 v17, null, v3, v35, vcc_lo
	s_and_saveexec_b32 s19, s0
	s_cbranch_execz .LBB172_12
; %bb.9:                                ;   in Loop: Header=BB172_4 Depth=1
	v_mov_b32_e32 v2, 0
	v_mov_b32_e32 v3, 0
	s_and_saveexec_b32 s42, s102
	s_cbranch_execz .LBB172_11
; %bb.10:                               ;   in Loop: Header=BB172_4 Depth=1
	flat_load_b64 v[2:3], v[16:17]
.LBB172_11:                             ;   in Loop: Header=BB172_4 Depth=1
	s_wait_alu 0xfffe
	s_or_b32 exec_lo, exec_lo, s42
	s_wait_loadcnt_dscnt 0x0
	ds_store_b64 v85, v[2:3]
.LBB172_12:                             ;   in Loop: Header=BB172_4 Depth=1
	s_wait_alu 0xfffe
	s_or_b32 exec_lo, exec_lo, s19
	s_wait_loadcnt 0x0
	v_add_co_u32 v0, vcc_lo, v0, s26
	s_wait_alu 0xfffd
	v_add_co_ci_u32_e64 v1, null, s27, v1, vcc_lo
	s_lshl_b64 s[100:101], s[50:51], 3
	v_add_co_u32 v0, vcc_lo, v0, s92
	s_wait_alu 0xfffd
	v_add_co_ci_u32_e64 v1, null, s93, v1, vcc_lo
	s_delay_alu instid0(VALU_DEP_2) | instskip(SKIP_1) | instid1(VALU_DEP_2)
	v_add_co_u32 v0, vcc_lo, v0, v36
	s_wait_alu 0xfffd
	v_add_co_ci_u32_e64 v1, null, v1, v37, vcc_lo
	v_cmp_ne_u32_e32 vcc_lo, 1, v84
	s_wait_alu 0xfffe
	v_add_co_u32 v0, s19, v0, s100
	s_wait_alu 0xf1ff
	v_add_co_ci_u32_e64 v1, null, s101, v1, s19
	s_mov_b32 s19, -1
	s_cbranch_vccnz .LBB172_14
; %bb.13:                               ;   in Loop: Header=BB172_4 Depth=1
	v_add_co_u32 v2, vcc_lo, v0, s52
	s_wait_alu 0xfffd
	v_add_co_ci_u32_e64 v3, null, s53, v1, vcc_lo
	s_mov_b32 s19, 0
	v_add_co_u32 v4, vcc_lo, v2, s52
	s_wait_alu 0xfffd
	v_add_co_ci_u32_e64 v5, null, s53, v3, vcc_lo
	s_delay_alu instid0(VALU_DEP_2) | instskip(SKIP_1) | instid1(VALU_DEP_2)
	v_add_co_u32 v6, vcc_lo, v4, s52
	s_wait_alu 0xfffd
	v_add_co_ci_u32_e64 v7, null, s53, v5, vcc_lo
	s_clause 0x3
	flat_load_b64 v[8:9], v[0:1]
	flat_load_b64 v[2:3], v[2:3]
	;; [unrolled: 1-line block ×4, first 2 shown]
	s_wait_loadcnt_dscnt 0x303
	ds_store_b64 v99, v[8:9]
	s_wait_loadcnt_dscnt 0x203
	ds_store_b64 v99, v[2:3] offset:2112
	s_wait_loadcnt_dscnt 0x103
	ds_store_b64 v99, v[4:5] offset:4224
	s_wait_loadcnt_dscnt 0x3
	ds_store_b64 v99, v[6:7] offset:6336
.LBB172_14:                             ;   in Loop: Header=BB172_4 Depth=1
	s_wait_alu 0xfffe
	s_and_not1_b32 vcc_lo, exec_lo, s19
	s_wait_alu 0xfffe
	s_cbranch_vccnz .LBB172_24
; %bb.15:                               ;   in Loop: Header=BB172_4 Depth=1
	v_add_co_u32 v2, vcc_lo, v0, v38
	s_wait_alu 0xfffd
	v_add_co_ci_u32_e64 v3, null, v1, v39, vcc_lo
	s_lshl_b64 s[100:101], s[44:45], 3
	v_mov_b32_e32 v6, 0
	s_wait_alu 0xfffe
	v_add_co_u32 v2, vcc_lo, v2, s100
	s_wait_alu 0xfffd
	v_add_co_ci_u32_e64 v3, null, s101, v3, vcc_lo
	v_dual_mov_b32 v7, 0 :: v_dual_mov_b32 v4, 0
	s_delay_alu instid0(VALU_DEP_3) | instskip(SKIP_1) | instid1(VALU_DEP_3)
	v_add_co_u32 v2, vcc_lo, v2, -8
	s_wait_alu 0xfffd
	v_add_co_ci_u32_e64 v3, null, -1, v3, vcc_lo
	v_mov_b32_e32 v5, 0
	s_delay_alu instid0(VALU_DEP_3) | instskip(NEXT) | instid1(VALU_DEP_3)
	v_cndmask_b32_e64 v2, v2, v0, s1
	v_cndmask_b32_e64 v3, v3, v1, s1
	s_and_saveexec_b32 s19, s2
	s_cbranch_execz .LBB172_17
; %bb.16:                               ;   in Loop: Header=BB172_4 Depth=1
	flat_load_b64 v[4:5], v[2:3]
.LBB172_17:                             ;   in Loop: Header=BB172_4 Depth=1
	s_wait_alu 0xfffe
	s_or_b32 exec_lo, exec_lo, s19
	s_wait_loadcnt_dscnt 0x0
	ds_store_b64 v99, v[4:5]
	s_and_saveexec_b32 s19, s3
	s_cbranch_execz .LBB172_19
; %bb.18:                               ;   in Loop: Header=BB172_4 Depth=1
	v_add_co_u32 v4, vcc_lo, v2, s52
	s_wait_alu 0xfffd
	v_add_co_ci_u32_e64 v5, null, s53, v3, vcc_lo
	flat_load_b64 v[6:7], v[4:5]
.LBB172_19:                             ;   in Loop: Header=BB172_4 Depth=1
	s_wait_alu 0xfffe
	s_or_b32 exec_lo, exec_lo, s19
	v_mov_b32_e32 v4, 0
	v_dual_mov_b32 v5, 0 :: v_dual_mov_b32 v8, 0
	v_mov_b32_e32 v9, 0
	s_wait_loadcnt_dscnt 0x0
	ds_store_b64 v99, v[6:7] offset:2112
	s_and_saveexec_b32 s19, s4
	s_cbranch_execz .LBB172_21
; %bb.20:                               ;   in Loop: Header=BB172_4 Depth=1
	v_add_co_u32 v6, vcc_lo, v2, s54
	s_wait_alu 0xfffd
	v_add_co_ci_u32_e64 v7, null, s55, v3, vcc_lo
	flat_load_b64 v[8:9], v[6:7]
.LBB172_21:                             ;   in Loop: Header=BB172_4 Depth=1
	s_wait_alu 0xfffe
	s_or_b32 exec_lo, exec_lo, s19
	s_wait_loadcnt_dscnt 0x0
	ds_store_b64 v99, v[8:9] offset:4224
	s_and_saveexec_b32 s19, s5
	s_cbranch_execz .LBB172_23
; %bb.22:                               ;   in Loop: Header=BB172_4 Depth=1
	v_add_co_u32 v4, vcc_lo, v2, s56
	s_wait_alu 0xfffd
	v_add_co_ci_u32_e64 v5, null, s57, v3, vcc_lo
	flat_load_b64 v[4:5], v[4:5]
.LBB172_23:                             ;   in Loop: Header=BB172_4 Depth=1
	s_wait_alu 0xfffe
	s_or_b32 exec_lo, exec_lo, s19
	v_add_co_u32 v2, vcc_lo, v2, v104
	s_wait_alu 0xfffd
	v_add_co_ci_u32_e64 v3, null, 0, v3, vcc_lo
	s_lshl_b64 s[100:101], s[60:61], 3
	s_wait_loadcnt_dscnt 0x0
	ds_store_b64 v99, v[4:5] offset:6336
	s_wait_alu 0xfffe
	v_add_co_u32 v2, vcc_lo, v2, s100
	s_wait_alu 0xfffd
	v_add_co_ci_u32_e64 v3, null, s101, v3, vcc_lo
	s_delay_alu instid0(VALU_DEP_2) | instskip(SKIP_1) | instid1(VALU_DEP_2)
	v_add_co_u32 v2, vcc_lo, v2, 8
	s_wait_alu 0xfffd
	v_add_co_ci_u32_e64 v3, null, 0, v3, vcc_lo
	s_delay_alu instid0(VALU_DEP_2) | instskip(NEXT) | instid1(VALU_DEP_2)
	v_cndmask_b32_e64 v0, v2, v0, s1
	v_cndmask_b32_e64 v1, v3, v1, s1
.LBB172_24:                             ;   in Loop: Header=BB172_4 Depth=1
	s_wait_dscnt 0x0
	s_barrier_signal -1
	s_barrier_wait -1
	global_inv scope:SCOPE_SE
	s_and_saveexec_b32 s19, s6
	s_cbranch_execnz .LBB172_75
; %bb.25:                               ;   in Loop: Header=BB172_4 Depth=1
	s_wait_alu 0xfffe
	s_or_b32 exec_lo, exec_lo, s19
	s_and_saveexec_b32 s19, s7
	s_cbranch_execnz .LBB172_76
.LBB172_26:                             ;   in Loop: Header=BB172_4 Depth=1
	s_wait_alu 0xfffe
	s_or_b32 exec_lo, exec_lo, s19
	s_and_saveexec_b32 s19, s8
	s_cbranch_execnz .LBB172_77
.LBB172_27:                             ;   in Loop: Header=BB172_4 Depth=1
	s_wait_alu 0xfffe
	s_or_b32 exec_lo, exec_lo, s19
	s_and_saveexec_b32 s19, s9
	s_cbranch_execz .LBB172_29
.LBB172_28:                             ;   in Loop: Header=BB172_4 Depth=1
	ds_load_b64 v[2:3], v101 offset:528
	s_wait_dscnt 0x0
	ds_store_b64 v87, v[2:3] offset:24
.LBB172_29:                             ;   in Loop: Header=BB172_4 Depth=1
	s_wait_alu 0xfffe
	s_or_b32 exec_lo, exec_lo, s19
	s_wait_loadcnt_dscnt 0x0
	s_barrier_signal -1
	s_barrier_wait -1
	global_inv scope:SCOPE_SE
	ds_load_b64 v[10:11], v100
	ds_load_b128 v[2:5], v88
	ds_load_b128 v[6:9], v88 offset:16
	ds_load_b64 v[14:15], v101 offset:528
	v_mov_b32_e32 v46, 0
	v_mov_b32_e32 v47, 0
	s_wait_dscnt 0x2
	v_fma_f64 v[2:3], v[10:11], v[2:3], 0
	ds_load_2addr_b64 v[10:13], v101 offset1:33
	s_wait_loadcnt_dscnt 0x0
	s_barrier_signal -1
	s_barrier_wait -1
	global_inv scope:SCOPE_SE
	v_fma_f64 v[2:3], v[10:11], v[4:5], v[2:3]
	s_delay_alu instid0(VALU_DEP_1) | instskip(NEXT) | instid1(VALU_DEP_1)
	v_fma_f64 v[2:3], v[12:13], v[6:7], v[2:3]
	v_fma_f64 v[2:3], v[14:15], v[8:9], v[2:3]
	ds_store_b64 v89, v[2:3]
	s_wait_loadcnt_dscnt 0x0
	s_barrier_signal -1
	s_barrier_wait -1
	global_inv scope:SCOPE_SE
	s_and_saveexec_b32 s19, s10
	s_cbranch_execz .LBB172_31
; %bb.30:                               ;   in Loop: Header=BB172_4 Depth=1
	ds_load_2addr_b64 v[2:5], v86 offset1:1
	ds_load_2addr_b64 v[6:9], v86 offset0:2 offset1:3
	s_wait_dscnt 0x1
	v_add_f64_e32 v[2:3], v[2:3], v[4:5]
	s_wait_dscnt 0x0
	s_delay_alu instid0(VALU_DEP_1) | instskip(NEXT) | instid1(VALU_DEP_1)
	v_add_f64_e32 v[2:3], v[2:3], v[6:7]
	v_add_f64_e32 v[10:11], v[2:3], v[8:9]
	ds_load_2addr_b64 v[2:5], v86 offset0:4 offset1:5
	ds_load_2addr_b64 v[6:9], v86 offset0:6 offset1:7
	s_wait_dscnt 0x1
	v_add_f64_e32 v[2:3], v[10:11], v[2:3]
	s_delay_alu instid0(VALU_DEP_1) | instskip(SKIP_1) | instid1(VALU_DEP_1)
	v_add_f64_e32 v[2:3], v[2:3], v[4:5]
	s_wait_dscnt 0x0
	v_add_f64_e32 v[2:3], v[2:3], v[6:7]
	s_delay_alu instid0(VALU_DEP_1)
	v_add_f64_e32 v[46:47], v[2:3], v[8:9]
.LBB172_31:                             ;   in Loop: Header=BB172_4 Depth=1
	s_wait_alu 0xfffe
	s_or_b32 exec_lo, exec_lo, s19
	s_lshl_b64 s[100:101], s[58:59], 3
	v_cmp_ne_u32_e32 vcc_lo, 1, v84
	s_wait_alu 0xfffe
	v_add_co_u32 v0, s19, v0, s100
	s_wait_alu 0xf1ff
	v_add_co_ci_u32_e64 v1, null, s101, v1, s19
	s_and_b32 vcc_lo, exec_lo, vcc_lo
	s_mov_b32 s19, -1
	s_wait_loadcnt 0x0
	s_barrier_signal -1
	s_barrier_wait -1
	global_inv scope:SCOPE_SE
	s_wait_alu 0xfffe
	s_cbranch_vccnz .LBB172_33
; %bb.32:                               ;   in Loop: Header=BB172_4 Depth=1
	v_add_co_u32 v2, vcc_lo, v0, s52
	s_wait_alu 0xfffd
	v_add_co_ci_u32_e64 v3, null, s53, v1, vcc_lo
	s_mov_b32 s19, 0
	v_add_co_u32 v4, vcc_lo, v2, s52
	s_wait_alu 0xfffd
	v_add_co_ci_u32_e64 v5, null, s53, v3, vcc_lo
	s_delay_alu instid0(VALU_DEP_2) | instskip(SKIP_1) | instid1(VALU_DEP_2)
	v_add_co_u32 v6, vcc_lo, v4, s52
	s_wait_alu 0xfffd
	v_add_co_ci_u32_e64 v7, null, s53, v5, vcc_lo
	s_clause 0x3
	flat_load_b64 v[8:9], v[0:1] offset:256
	flat_load_b64 v[2:3], v[2:3] offset:256
	;; [unrolled: 1-line block ×4, first 2 shown]
	s_wait_loadcnt_dscnt 0x303
	ds_store_b64 v99, v[8:9]
	s_wait_loadcnt_dscnt 0x203
	ds_store_b64 v99, v[2:3] offset:2112
	s_wait_loadcnt_dscnt 0x103
	ds_store_b64 v99, v[4:5] offset:4224
	;; [unrolled: 2-line block ×3, first 2 shown]
.LBB172_33:                             ;   in Loop: Header=BB172_4 Depth=1
	v_add_co_u32 v8, vcc_lo, 0x100, v0
	s_wait_alu 0xfffd
	v_add_co_ci_u32_e64 v9, null, 0, v1, vcc_lo
	s_wait_alu 0xfffe
	s_and_not1_b32 vcc_lo, exec_lo, s19
	s_wait_alu 0xfffe
	s_cbranch_vccnz .LBB172_43
; %bb.34:                               ;   in Loop: Header=BB172_4 Depth=1
	v_add_co_u32 v0, vcc_lo, v0, v38
	s_wait_alu 0xfffd
	v_add_co_ci_u32_e64 v1, null, v1, v39, vcc_lo
	s_lshl_b64 s[100:101], s[44:45], 3
	v_mov_b32_e32 v4, 0
	s_wait_alu 0xfffe
	v_add_co_u32 v0, vcc_lo, v0, s100
	s_wait_alu 0xfffd
	v_add_co_ci_u32_e64 v1, null, s101, v1, vcc_lo
	v_dual_mov_b32 v5, 0 :: v_dual_mov_b32 v2, 0
	s_delay_alu instid0(VALU_DEP_3) | instskip(SKIP_1) | instid1(VALU_DEP_3)
	v_add_co_u32 v0, vcc_lo, v0, -8
	s_wait_alu 0xfffd
	v_add_co_ci_u32_e64 v1, null, -1, v1, vcc_lo
	v_mov_b32_e32 v3, 0
	s_delay_alu instid0(VALU_DEP_3) | instskip(NEXT) | instid1(VALU_DEP_3)
	v_cndmask_b32_e64 v0, v0, v8, s11
	v_cndmask_b32_e64 v1, v1, v9, s11
	s_and_saveexec_b32 s19, s12
	s_cbranch_execz .LBB172_36
; %bb.35:                               ;   in Loop: Header=BB172_4 Depth=1
	flat_load_b64 v[2:3], v[0:1]
.LBB172_36:                             ;   in Loop: Header=BB172_4 Depth=1
	s_wait_alu 0xfffe
	s_or_b32 exec_lo, exec_lo, s19
	s_wait_loadcnt_dscnt 0x0
	ds_store_b64 v99, v[2:3]
	s_and_saveexec_b32 s19, s13
	s_cbranch_execz .LBB172_38
; %bb.37:                               ;   in Loop: Header=BB172_4 Depth=1
	v_add_co_u32 v2, vcc_lo, v0, s52
	s_wait_alu 0xfffd
	v_add_co_ci_u32_e64 v3, null, s53, v1, vcc_lo
	flat_load_b64 v[4:5], v[2:3]
.LBB172_38:                             ;   in Loop: Header=BB172_4 Depth=1
	s_wait_alu 0xfffe
	s_or_b32 exec_lo, exec_lo, s19
	v_mov_b32_e32 v2, 0
	v_dual_mov_b32 v3, 0 :: v_dual_mov_b32 v6, 0
	v_mov_b32_e32 v7, 0
	s_wait_loadcnt_dscnt 0x0
	ds_store_b64 v99, v[4:5] offset:2112
	s_and_saveexec_b32 s19, s14
	s_cbranch_execz .LBB172_40
; %bb.39:                               ;   in Loop: Header=BB172_4 Depth=1
	v_add_co_u32 v4, vcc_lo, v0, s54
	s_wait_alu 0xfffd
	v_add_co_ci_u32_e64 v5, null, s55, v1, vcc_lo
	flat_load_b64 v[6:7], v[4:5]
.LBB172_40:                             ;   in Loop: Header=BB172_4 Depth=1
	s_wait_alu 0xfffe
	s_or_b32 exec_lo, exec_lo, s19
	s_wait_loadcnt_dscnt 0x0
	ds_store_b64 v99, v[6:7] offset:4224
	s_and_saveexec_b32 s19, s15
	s_cbranch_execz .LBB172_42
; %bb.41:                               ;   in Loop: Header=BB172_4 Depth=1
	v_add_co_u32 v2, vcc_lo, v0, s56
	s_wait_alu 0xfffd
	v_add_co_ci_u32_e64 v3, null, s57, v1, vcc_lo
	flat_load_b64 v[2:3], v[2:3]
.LBB172_42:                             ;   in Loop: Header=BB172_4 Depth=1
	s_wait_alu 0xfffe
	s_or_b32 exec_lo, exec_lo, s19
	v_add_co_u32 v0, vcc_lo, v0, v104
	s_wait_alu 0xfffd
	v_add_co_ci_u32_e64 v1, null, 0, v1, vcc_lo
	s_lshl_b64 s[100:101], s[60:61], 3
	s_wait_loadcnt_dscnt 0x0
	ds_store_b64 v99, v[2:3] offset:6336
	s_wait_alu 0xfffe
	v_add_co_u32 v0, vcc_lo, v0, s100
	s_wait_alu 0xfffd
	v_add_co_ci_u32_e64 v1, null, s101, v1, vcc_lo
	s_delay_alu instid0(VALU_DEP_2) | instskip(SKIP_1) | instid1(VALU_DEP_2)
	v_add_co_u32 v0, vcc_lo, 0x108, v0
	s_wait_alu 0xfffd
	v_add_co_ci_u32_e64 v1, null, 0, v1, vcc_lo
	s_delay_alu instid0(VALU_DEP_2) | instskip(NEXT) | instid1(VALU_DEP_2)
	v_cndmask_b32_e64 v8, v0, v8, s11
	v_cndmask_b32_e64 v9, v1, v9, s11
.LBB172_43:                             ;   in Loop: Header=BB172_4 Depth=1
	s_wait_loadcnt_dscnt 0x0
	s_barrier_signal -1
	s_barrier_wait -1
	global_inv scope:SCOPE_SE
	s_and_saveexec_b32 s19, s6
	s_cbranch_execnz .LBB172_78
; %bb.44:                               ;   in Loop: Header=BB172_4 Depth=1
	s_wait_alu 0xfffe
	s_or_b32 exec_lo, exec_lo, s19
	s_and_saveexec_b32 s19, s7
	s_cbranch_execnz .LBB172_79
.LBB172_45:                             ;   in Loop: Header=BB172_4 Depth=1
	s_wait_alu 0xfffe
	s_or_b32 exec_lo, exec_lo, s19
	s_and_saveexec_b32 s19, s8
	s_cbranch_execnz .LBB172_80
.LBB172_46:                             ;   in Loop: Header=BB172_4 Depth=1
	s_wait_alu 0xfffe
	s_or_b32 exec_lo, exec_lo, s19
	s_and_saveexec_b32 s19, s9
	s_cbranch_execz .LBB172_48
.LBB172_47:                             ;   in Loop: Header=BB172_4 Depth=1
	ds_load_b64 v[0:1], v101 offset:528
	s_wait_dscnt 0x0
	ds_store_b64 v87, v[0:1] offset:24
.LBB172_48:                             ;   in Loop: Header=BB172_4 Depth=1
	s_wait_alu 0xfffe
	s_or_b32 exec_lo, exec_lo, s19
	s_wait_loadcnt_dscnt 0x0
	s_barrier_signal -1
	s_barrier_wait -1
	global_inv scope:SCOPE_SE
	ds_load_b64 v[10:11], v100
	ds_load_b128 v[0:3], v88 offset:256
	ds_load_b128 v[4:7], v88 offset:272
	ds_load_b64 v[14:15], v101 offset:528
	s_wait_dscnt 0x2
	v_fma_f64 v[0:1], v[10:11], v[0:1], 0
	ds_load_2addr_b64 v[10:13], v101 offset1:33
	s_wait_loadcnt_dscnt 0x0
	s_barrier_signal -1
	s_barrier_wait -1
	global_inv scope:SCOPE_SE
	v_fma_f64 v[0:1], v[10:11], v[2:3], v[0:1]
	s_delay_alu instid0(VALU_DEP_1) | instskip(NEXT) | instid1(VALU_DEP_1)
	v_fma_f64 v[0:1], v[12:13], v[4:5], v[0:1]
	v_fma_f64 v[0:1], v[14:15], v[6:7], v[0:1]
	ds_store_b64 v89, v[0:1]
	s_wait_loadcnt_dscnt 0x0
	s_barrier_signal -1
	s_barrier_wait -1
	global_inv scope:SCOPE_SE
	s_and_saveexec_b32 s19, s16
	s_cbranch_execz .LBB172_50
; %bb.49:                               ;   in Loop: Header=BB172_4 Depth=1
	ds_load_2addr_b64 v[0:3], v86 offset1:1
	ds_load_2addr_b64 v[4:7], v86 offset0:2 offset1:3
	s_wait_dscnt 0x1
	v_add_f64_e32 v[0:1], v[0:1], v[2:3]
	s_wait_dscnt 0x0
	s_delay_alu instid0(VALU_DEP_1) | instskip(NEXT) | instid1(VALU_DEP_1)
	v_add_f64_e32 v[0:1], v[0:1], v[4:5]
	v_add_f64_e32 v[10:11], v[0:1], v[6:7]
	ds_load_2addr_b64 v[0:3], v86 offset0:4 offset1:5
	ds_load_2addr_b64 v[4:7], v86 offset0:6 offset1:7
	s_wait_dscnt 0x1
	v_add_f64_e32 v[0:1], v[10:11], v[0:1]
	s_delay_alu instid0(VALU_DEP_1) | instskip(SKIP_1) | instid1(VALU_DEP_1)
	v_add_f64_e32 v[0:1], v[0:1], v[2:3]
	s_wait_dscnt 0x0
	v_add_f64_e32 v[0:1], v[0:1], v[4:5]
	s_delay_alu instid0(VALU_DEP_1)
	v_add_f64_e32 v[46:47], v[0:1], v[6:7]
.LBB172_50:                             ;   in Loop: Header=BB172_4 Depth=1
	s_wait_alu 0xfffe
	s_or_b32 exec_lo, exec_lo, s19
	v_cmp_ne_u32_e32 vcc_lo, 1, v84
	v_add_co_u32 v18, s19, v8, s94
	s_wait_alu 0xf1ff
	v_add_co_ci_u32_e64 v19, null, s95, v9, s19
	s_and_b32 vcc_lo, exec_lo, vcc_lo
	s_mov_b32 s19, -1
	s_wait_loadcnt 0x0
	s_barrier_signal -1
	s_barrier_wait -1
	global_inv scope:SCOPE_SE
	s_wait_alu 0xfffe
	s_cbranch_vccnz .LBB172_52
; %bb.51:                               ;   in Loop: Header=BB172_4 Depth=1
	v_add_co_u32 v0, vcc_lo, v18, s52
	s_wait_alu 0xfffd
	v_add_co_ci_u32_e64 v1, null, s53, v19, vcc_lo
	s_mov_b32 s19, 0
	v_add_co_u32 v2, vcc_lo, v0, s52
	s_wait_alu 0xfffd
	v_add_co_ci_u32_e64 v3, null, s53, v1, vcc_lo
	s_delay_alu instid0(VALU_DEP_2) | instskip(SKIP_1) | instid1(VALU_DEP_2)
	v_add_co_u32 v4, vcc_lo, v2, s52
	s_wait_alu 0xfffd
	v_add_co_ci_u32_e64 v5, null, s53, v3, vcc_lo
	s_clause 0x3
	flat_load_b64 v[6:7], v[18:19]
	flat_load_b64 v[0:1], v[0:1]
	;; [unrolled: 1-line block ×4, first 2 shown]
	s_wait_loadcnt_dscnt 0x303
	ds_store_b64 v99, v[6:7]
	s_wait_loadcnt_dscnt 0x203
	ds_store_b64 v99, v[0:1] offset:2112
	s_wait_loadcnt_dscnt 0x103
	ds_store_b64 v99, v[2:3] offset:4224
	;; [unrolled: 2-line block ×3, first 2 shown]
.LBB172_52:                             ;   in Loop: Header=BB172_4 Depth=1
	s_wait_alu 0xfffe
	s_and_not1_b32 vcc_lo, exec_lo, s19
	s_wait_alu 0xfffe
	s_cbranch_vccnz .LBB172_62
; %bb.53:                               ;   in Loop: Header=BB172_4 Depth=1
	v_add_co_u32 v0, vcc_lo, v18, v38
	s_wait_alu 0xfffd
	v_add_co_ci_u32_e64 v1, null, v19, v39, vcc_lo
	s_lshl_b64 s[100:101], s[44:45], 3
	v_mov_b32_e32 v4, 0
	s_wait_alu 0xfffe
	v_add_co_u32 v0, vcc_lo, v0, s100
	s_wait_alu 0xfffd
	v_add_co_ci_u32_e64 v1, null, s101, v1, vcc_lo
	v_dual_mov_b32 v5, 0 :: v_dual_mov_b32 v2, 0
	s_delay_alu instid0(VALU_DEP_3) | instskip(SKIP_1) | instid1(VALU_DEP_3)
	v_add_co_u32 v0, vcc_lo, 0xfffffef8, v0
	s_wait_alu 0xfffd
	v_add_co_ci_u32_e64 v1, null, -1, v1, vcc_lo
	v_mov_b32_e32 v3, 0
	s_delay_alu instid0(VALU_DEP_3) | instskip(NEXT) | instid1(VALU_DEP_3)
	v_cndmask_b32_e64 v0, v0, v18, s11
	v_cndmask_b32_e64 v1, v1, v19, s11
	s_and_saveexec_b32 s19, s2
	s_cbranch_execz .LBB172_55
; %bb.54:                               ;   in Loop: Header=BB172_4 Depth=1
	flat_load_b64 v[2:3], v[0:1]
.LBB172_55:                             ;   in Loop: Header=BB172_4 Depth=1
	s_wait_alu 0xfffe
	s_or_b32 exec_lo, exec_lo, s19
	s_wait_loadcnt_dscnt 0x0
	ds_store_b64 v99, v[2:3]
	s_and_saveexec_b32 s19, s3
	s_cbranch_execz .LBB172_57
; %bb.56:                               ;   in Loop: Header=BB172_4 Depth=1
	v_add_co_u32 v2, vcc_lo, v0, s52
	s_wait_alu 0xfffd
	v_add_co_ci_u32_e64 v3, null, s53, v1, vcc_lo
	flat_load_b64 v[4:5], v[2:3]
.LBB172_57:                             ;   in Loop: Header=BB172_4 Depth=1
	s_wait_alu 0xfffe
	s_or_b32 exec_lo, exec_lo, s19
	v_mov_b32_e32 v2, 0
	v_dual_mov_b32 v3, 0 :: v_dual_mov_b32 v6, 0
	v_mov_b32_e32 v7, 0
	s_wait_loadcnt_dscnt 0x0
	ds_store_b64 v99, v[4:5] offset:2112
	s_and_saveexec_b32 s19, s4
	s_cbranch_execz .LBB172_59
; %bb.58:                               ;   in Loop: Header=BB172_4 Depth=1
	v_add_co_u32 v4, vcc_lo, v0, s54
	s_wait_alu 0xfffd
	v_add_co_ci_u32_e64 v5, null, s55, v1, vcc_lo
	flat_load_b64 v[6:7], v[4:5]
.LBB172_59:                             ;   in Loop: Header=BB172_4 Depth=1
	s_wait_alu 0xfffe
	s_or_b32 exec_lo, exec_lo, s19
	s_wait_loadcnt_dscnt 0x0
	ds_store_b64 v99, v[6:7] offset:4224
	s_and_saveexec_b32 s19, s5
	s_cbranch_execz .LBB172_61
; %bb.60:                               ;   in Loop: Header=BB172_4 Depth=1
	v_add_co_u32 v2, vcc_lo, v0, s56
	s_wait_alu 0xfffd
	v_add_co_ci_u32_e64 v3, null, s57, v1, vcc_lo
	flat_load_b64 v[2:3], v[2:3]
.LBB172_61:                             ;   in Loop: Header=BB172_4 Depth=1
	s_wait_alu 0xfffe
	s_or_b32 exec_lo, exec_lo, s19
	v_add_co_u32 v0, vcc_lo, v0, v104
	s_wait_alu 0xfffd
	v_add_co_ci_u32_e64 v1, null, 0, v1, vcc_lo
	s_lshl_b64 s[100:101], s[60:61], 3
	s_wait_loadcnt_dscnt 0x0
	ds_store_b64 v99, v[2:3] offset:6336
	s_wait_alu 0xfffe
	v_add_co_u32 v0, vcc_lo, v0, s100
	s_wait_alu 0xfffd
	v_add_co_ci_u32_e64 v1, null, s101, v1, vcc_lo
	s_delay_alu instid0(VALU_DEP_2) | instskip(SKIP_1) | instid1(VALU_DEP_2)
	v_add_co_u32 v0, vcc_lo, 0x108, v0
	s_wait_alu 0xfffd
	v_add_co_ci_u32_e64 v1, null, 0, v1, vcc_lo
	s_delay_alu instid0(VALU_DEP_2) | instskip(NEXT) | instid1(VALU_DEP_2)
	v_cndmask_b32_e64 v18, v0, v18, s11
	v_cndmask_b32_e64 v19, v1, v19, s11
.LBB172_62:                             ;   in Loop: Header=BB172_4 Depth=1
	s_wait_loadcnt_dscnt 0x0
	s_barrier_signal -1
	s_barrier_wait -1
	global_inv scope:SCOPE_SE
	ds_load_b64 v[0:1], v99
	ds_load_b64 v[2:3], v102
	ds_load_b64 v[4:5], v99 offset:6336
	ds_load_b64 v[6:7], v99 offset:2112
	;; [unrolled: 1-line block ×4, first 2 shown]
	s_wait_dscnt 0x4
	v_fma_f64 v[12:13], v[0:1], v[2:3], 0
	ds_load_2addr_b64 v[0:3], v98 offset0:8 offset1:16
	s_wait_dscnt 0x0
	v_fma_f64 v[0:1], v[6:7], v[0:1], v[12:13]
	s_delay_alu instid0(VALU_DEP_1) | instskip(NEXT) | instid1(VALU_DEP_1)
	v_fma_f64 v[0:1], v[8:9], v[2:3], v[0:1]
	v_fma_f64 v[20:21], v[4:5], v[10:11], v[0:1]
	ds_load_b128 v[8:11], v88 offset:256
	ds_load_b128 v[0:3], v88 offset:272
	ds_load_2addr_b64 v[12:15], v90 offset1:1
	ds_load_2addr_b64 v[4:7], v90 offset0:2 offset1:3
	s_wait_loadcnt_dscnt 0x0
	s_barrier_signal -1
	s_barrier_wait -1
	global_inv scope:SCOPE_SE
	ds_store_b64 v89, v[20:21]
	s_wait_loadcnt_dscnt 0x0
	s_barrier_signal -1
	s_barrier_wait -1
	global_inv scope:SCOPE_SE
	s_and_saveexec_b32 s19, s16
	s_cbranch_execz .LBB172_64
; %bb.63:                               ;   in Loop: Header=BB172_4 Depth=1
	ds_load_2addr_b64 v[20:23], v86 offset1:1
	ds_load_2addr_b64 v[24:27], v86 offset0:2 offset1:3
	s_wait_dscnt 0x1
	v_add_f64_e32 v[20:21], v[46:47], v[20:21]
	s_delay_alu instid0(VALU_DEP_1) | instskip(SKIP_1) | instid1(VALU_DEP_1)
	v_add_f64_e32 v[20:21], v[20:21], v[22:23]
	s_wait_dscnt 0x0
	v_add_f64_e32 v[20:21], v[20:21], v[24:25]
	s_delay_alu instid0(VALU_DEP_1) | instskip(SKIP_4) | instid1(VALU_DEP_1)
	v_add_f64_e32 v[28:29], v[20:21], v[26:27]
	ds_load_2addr_b64 v[20:23], v86 offset0:4 offset1:5
	ds_load_2addr_b64 v[24:27], v86 offset0:6 offset1:7
	s_wait_dscnt 0x1
	v_add_f64_e32 v[20:21], v[28:29], v[20:21]
	v_add_f64_e32 v[20:21], v[20:21], v[22:23]
	s_wait_dscnt 0x0
	s_delay_alu instid0(VALU_DEP_1) | instskip(NEXT) | instid1(VALU_DEP_1)
	v_add_f64_e32 v[20:21], v[20:21], v[24:25]
	v_add_f64_e32 v[46:47], v[20:21], v[26:27]
.LBB172_64:                             ;   in Loop: Header=BB172_4 Depth=1
	s_wait_alu 0xfffe
	s_or_b32 exec_lo, exec_lo, s19
	v_fma_f64 v[8:9], v[12:13], v[8:9], 0
	s_wait_loadcnt 0x0
	s_barrier_signal -1
	s_barrier_wait -1
	global_inv scope:SCOPE_SE
	v_fma_f64 v[8:9], v[14:15], v[10:11], v[8:9]
	s_delay_alu instid0(VALU_DEP_1) | instskip(NEXT) | instid1(VALU_DEP_1)
	v_fma_f64 v[0:1], v[4:5], v[0:1], v[8:9]
	v_fma_f64 v[0:1], v[6:7], v[2:3], v[0:1]
	ds_store_b64 v89, v[0:1]
	s_wait_loadcnt_dscnt 0x0
	s_barrier_signal -1
	s_barrier_wait -1
	global_inv scope:SCOPE_SE
	s_and_saveexec_b32 s19, s10
	s_cbranch_execz .LBB172_66
; %bb.65:                               ;   in Loop: Header=BB172_4 Depth=1
	ds_load_2addr_b64 v[0:3], v86 offset1:1
	ds_load_2addr_b64 v[4:7], v86 offset0:2 offset1:3
	s_wait_dscnt 0x1
	v_add_f64_e32 v[0:1], v[46:47], v[0:1]
	s_delay_alu instid0(VALU_DEP_1) | instskip(SKIP_1) | instid1(VALU_DEP_1)
	v_add_f64_e32 v[0:1], v[0:1], v[2:3]
	s_wait_dscnt 0x0
	v_add_f64_e32 v[0:1], v[0:1], v[4:5]
	s_delay_alu instid0(VALU_DEP_1) | instskip(SKIP_4) | instid1(VALU_DEP_1)
	v_add_f64_e32 v[8:9], v[0:1], v[6:7]
	ds_load_2addr_b64 v[0:3], v86 offset0:4 offset1:5
	ds_load_2addr_b64 v[4:7], v86 offset0:6 offset1:7
	s_wait_dscnt 0x1
	v_add_f64_e32 v[0:1], v[8:9], v[0:1]
	v_add_f64_e32 v[0:1], v[0:1], v[2:3]
	s_wait_dscnt 0x0
	s_delay_alu instid0(VALU_DEP_1) | instskip(NEXT) | instid1(VALU_DEP_1)
	v_add_f64_e32 v[0:1], v[0:1], v[4:5]
	v_add_f64_e32 v[46:47], v[0:1], v[6:7]
.LBB172_66:                             ;   in Loop: Header=BB172_4 Depth=1
	s_wait_alu 0xfffe
	s_or_b32 exec_lo, exec_lo, s19
	s_mul_u64 s[100:101], s[46:47], s[34:35]
	s_and_not1_b32 vcc_lo, exec_lo, s103
	s_wait_alu 0xfffe
	s_lshl_b64 s[100:101], s[100:101], 3
	s_wait_loadcnt 0x0
	s_wait_alu 0xfffe
	s_add_nc_u64 s[100:101], s[48:49], s[100:101]
	s_barrier_signal -1
	s_barrier_wait -1
	global_inv scope:SCOPE_SE
	s_cbranch_vccnz .LBB172_73
; %bb.67:                               ;   in Loop: Header=BB172_4 Depth=1
	v_add_co_u32 v0, vcc_lo, v18, s98
	s_wait_alu 0xfffd
	v_add_co_ci_u32_e64 v1, null, s99, v19, vcc_lo
	v_lshlrev_b32_e32 v2, 3, v82
	s_delay_alu instid0(VALU_DEP_3) | instskip(SKIP_1) | instid1(VALU_DEP_3)
	v_add_co_u32 v0, vcc_lo, v0, v40
	s_wait_alu 0xfffd
	v_add_co_ci_u32_e64 v1, null, v1, v41, vcc_lo
	s_mov_b32 s19, ttmp9
	v_add_co_u32 v0, vcc_lo, v0, v42
	s_wait_alu 0xfffd
	v_add_co_ci_u32_e64 v1, null, v1, v43, vcc_lo
	s_lshl_b64 vcc, s[44:45], 3
	s_mov_b32 s42, 0
	s_wait_alu 0xfffe
	v_add_co_u32 v3, vcc_lo, v0, vcc_lo
	s_wait_alu 0xfffd
	v_add_co_ci_u32_e64 v4, null, vcc_hi, v1, vcc_lo
	v_add_co_u32 v0, vcc_lo, v0, v2
	s_wait_alu 0xfffd
	v_add_co_ci_u32_e64 v1, null, 0, v1, vcc_lo
	v_add_co_u32 v2, vcc_lo, 0xfffffef8, v3
	s_wait_alu 0xfffd
	v_add_co_ci_u32_e64 v3, null, -1, v4, vcc_lo
	v_add_co_u32 v0, vcc_lo, 0xffffff00, v0
	s_wait_alu 0xfffd
	v_add_co_ci_u32_e64 v1, null, -1, v1, vcc_lo
	v_add_co_u32 v105, vcc_lo, v16, s96
	s_wait_alu 0xfffd
	v_add_co_ci_u32_e64 v106, null, s97, v17, vcc_lo
	s_delay_alu instid0(VALU_DEP_3)
	v_cndmask_b32_e64 v49, v1, v3, s17
	v_cndmask_b32_e64 v48, v0, v2, s17
	s_branch .LBB172_69
.LBB172_68:                             ;   in Loop: Header=BB172_69 Depth=2
	s_or_b32 exec_lo, exec_lo, s35
	v_fma_f64 v[0:1], v[50:51], v[0:1], v[46:47]
	v_add_co_u32 v48, vcc_lo, v48, s66
	s_wait_alu 0xfffd
	v_add_co_ci_u32_e64 v49, null, s67, v49, vcc_lo
	s_add_co_i32 s19, s19, -1
	s_add_co_i32 s42, s42, 64
	s_wait_alu 0xfffe
	s_cmp_eq_u32 s19, 0
	s_wait_loadcnt 0x0
	s_wait_storecnt 0x0
	s_barrier_signal -1
	s_barrier_wait -1
	global_inv scope:SCOPE_SE
	v_fma_f64 v[0:1], v[52:53], v[2:3], v[0:1]
	s_delay_alu instid0(VALU_DEP_1) | instskip(NEXT) | instid1(VALU_DEP_1)
	v_fma_f64 v[0:1], v[54:55], v[4:5], v[0:1]
	v_fma_f64 v[0:1], v[56:57], v[6:7], v[0:1]
	s_delay_alu instid0(VALU_DEP_1) | instskip(NEXT) | instid1(VALU_DEP_1)
	v_fma_f64 v[0:1], v[58:59], v[8:9], v[0:1]
	;; [unrolled: 3-line block ×7, first 2 shown]
	v_fma_f64 v[46:47], v[80:81], v[30:31], v[0:1]
	s_cbranch_scc1 .LBB172_73
.LBB172_69:                             ;   Parent Loop BB172_4 Depth=1
                                        ; =>  This Inner Loop Header: Depth=2
	s_and_saveexec_b32 s35, s0
	s_cbranch_execz .LBB172_71
; %bb.70:                               ;   in Loop: Header=BB172_69 Depth=2
	s_mul_u64 vcc, s[40:41], s[42:43]
	s_wait_alu 0xfffe
	s_lshl_b64 vcc, vcc, 3
	s_wait_alu 0xfffe
	v_add_co_u32 v0, vcc_lo, v105, vcc_lo
	s_wait_alu 0xfffd
	v_add_co_ci_u32_e64 v1, null, vcc_hi, v106, vcc_lo
	flat_load_b64 v[0:1], v[0:1]
	s_wait_loadcnt_dscnt 0x0
	ds_store_b64 v91, v[0:1]
.LBB172_71:                             ;   in Loop: Header=BB172_69 Depth=2
	s_or_b32 exec_lo, exec_lo, s35
	v_add_co_u32 v0, vcc_lo, v48, s62
	s_wait_alu 0xfffd
	v_add_co_ci_u32_e64 v1, null, s63, v49, vcc_lo
	s_wait_loadcnt_dscnt 0x0
	s_barrier_signal -1
	s_barrier_wait -1
	global_inv scope:SCOPE_SE
	s_clause 0x1
	flat_load_b64 v[50:51], v[48:49]
	flat_load_b64 v[52:53], v[0:1]
	v_add_co_u32 v0, vcc_lo, v48, s64
	s_wait_alu 0xfffd
	v_add_co_ci_u32_e64 v1, null, s65, v49, vcc_lo
	v_add_co_u32 v2, vcc_lo, v48, s68
	s_wait_alu 0xfffd
	v_add_co_ci_u32_e64 v3, null, s69, v49, vcc_lo
	s_clause 0x1
	flat_load_b64 v[54:55], v[0:1]
	flat_load_b64 v[56:57], v[2:3]
	ds_load_b64 v[4:5], v85
	ds_load_b128 v[0:3], v92
	s_wait_loadcnt_dscnt 0x301
	v_mul_f64_e32 v[6:7], v[50:51], v[4:5]
	s_wait_loadcnt 0x2
	v_mul_f64_e32 v[8:9], v[52:53], v[4:5]
	ds_store_2addr_b64 v93, v[6:7], v[8:9] offset1:67
	s_wait_loadcnt 0x1
	v_mul_f64_e32 v[6:7], v[54:55], v[4:5]
	s_wait_loadcnt 0x0
	v_mul_f64_e32 v[4:5], v[56:57], v[4:5]
	ds_store_2addr_b64 v93, v[6:7], v[4:5] offset0:134 offset1:201
	ds_load_b128 v[4:7], v92 offset:16
	s_wait_dscnt 0x0
	s_barrier_signal -1
	s_barrier_wait -1
	global_inv scope:SCOPE_SE
	ds_load_2addr_b64 v[8:11], v94 offset1:1
	ds_load_2addr_b64 v[16:19], v94 offset0:2 offset1:3
	s_wait_loadcnt_dscnt 0x0
	s_barrier_signal -1
	s_barrier_wait -1
	global_inv scope:SCOPE_SE
	v_add_f64_e32 v[8:9], 0, v[8:9]
	s_delay_alu instid0(VALU_DEP_1)
	v_add_f64_e32 v[28:29], v[8:9], v[10:11]
	v_add_co_u32 v8, vcc_lo, v48, s54
	s_wait_alu 0xfffd
	v_add_co_ci_u32_e64 v9, null, s55, v49, vcc_lo
	v_add_co_u32 v10, vcc_lo, v48, s90
	s_wait_alu 0xfffd
	v_add_co_ci_u32_e64 v11, null, s91, v49, vcc_lo
	s_clause 0x1
	flat_load_b64 v[58:59], v[8:9]
	flat_load_b64 v[60:61], v[10:11]
	v_add_co_u32 v8, vcc_lo, v48, s70
	s_wait_alu 0xfffd
	v_add_co_ci_u32_e64 v9, null, s71, v49, vcc_lo
	v_add_co_u32 v10, vcc_lo, v48, s72
	s_wait_alu 0xfffd
	v_add_co_ci_u32_e64 v11, null, s73, v49, vcc_lo
	s_clause 0x1
	flat_load_b64 v[62:63], v[8:9]
	flat_load_b64 v[64:65], v[10:11]
	ds_load_b64 v[12:13], v85
	ds_load_b128 v[8:11], v92 offset:128
	v_add_f64_e32 v[16:17], v[28:29], v[16:17]
	s_delay_alu instid0(VALU_DEP_1)
	v_add_f64_e32 v[119:120], v[16:17], v[18:19]
	s_wait_loadcnt_dscnt 0x301
	v_mul_f64_e32 v[14:15], v[58:59], v[12:13]
	s_wait_loadcnt 0x2
	v_mul_f64_e32 v[20:21], v[60:61], v[12:13]
	ds_store_2addr_b64 v93, v[14:15], v[20:21] offset1:67
	s_wait_loadcnt 0x1
	v_mul_f64_e32 v[14:15], v[62:63], v[12:13]
	s_wait_loadcnt 0x0
	v_mul_f64_e32 v[12:13], v[64:65], v[12:13]
	ds_store_2addr_b64 v93, v[14:15], v[12:13] offset0:134 offset1:201
	ds_load_b128 v[12:15], v92 offset:144
	s_wait_dscnt 0x0
	s_barrier_signal -1
	s_barrier_wait -1
	global_inv scope:SCOPE_SE
	ds_load_2addr_b64 v[20:23], v94 offset1:1
	ds_load_2addr_b64 v[24:27], v94 offset0:2 offset1:3
	s_wait_loadcnt_dscnt 0x0
	s_barrier_signal -1
	s_barrier_wait -1
	global_inv scope:SCOPE_SE
	v_add_f64_e32 v[20:21], 0, v[20:21]
	s_delay_alu instid0(VALU_DEP_1) | instskip(NEXT) | instid1(VALU_DEP_1)
	v_add_f64_e32 v[20:21], v[20:21], v[22:23]
	v_add_f64_e32 v[16:17], v[20:21], v[24:25]
	s_delay_alu instid0(VALU_DEP_1)
	v_add_f64_e32 v[121:122], v[16:17], v[26:27]
	v_add_co_u32 v16, vcc_lo, v48, s74
	s_wait_alu 0xfffd
	v_add_co_ci_u32_e64 v17, null, s75, v49, vcc_lo
	v_add_co_u32 v18, vcc_lo, v48, s88
	s_wait_alu 0xfffd
	v_add_co_ci_u32_e64 v19, null, s89, v49, vcc_lo
	s_clause 0x1
	flat_load_b64 v[66:67], v[16:17]
	flat_load_b64 v[68:69], v[18:19]
	v_add_co_u32 v16, vcc_lo, v48, s76
	s_wait_alu 0xfffd
	v_add_co_ci_u32_e64 v17, null, s77, v49, vcc_lo
	v_add_co_u32 v18, vcc_lo, v48, s78
	s_wait_alu 0xfffd
	v_add_co_ci_u32_e64 v19, null, s79, v49, vcc_lo
	s_clause 0x1
	flat_load_b64 v[70:71], v[16:17]
	flat_load_b64 v[72:73], v[18:19]
	ds_load_b64 v[20:21], v85
	ds_load_b128 v[16:19], v92 offset:256
	s_wait_loadcnt_dscnt 0x301
	v_mul_f64_e32 v[22:23], v[66:67], v[20:21]
	s_wait_loadcnt 0x2
	v_mul_f64_e32 v[24:25], v[68:69], v[20:21]
	ds_store_2addr_b64 v93, v[22:23], v[24:25] offset1:67
	s_wait_loadcnt 0x1
	v_mul_f64_e32 v[22:23], v[70:71], v[20:21]
	s_wait_loadcnt 0x0
	v_mul_f64_e32 v[20:21], v[72:73], v[20:21]
	ds_store_2addr_b64 v93, v[22:23], v[20:21] offset0:134 offset1:201
	ds_load_b128 v[20:23], v92 offset:272
	s_wait_dscnt 0x0
	s_barrier_signal -1
	s_barrier_wait -1
	global_inv scope:SCOPE_SE
	ds_load_2addr_b64 v[24:27], v94 offset1:1
	ds_load_2addr_b64 v[107:110], v94 offset0:2 offset1:3
	s_wait_loadcnt_dscnt 0x0
	s_barrier_signal -1
	s_barrier_wait -1
	global_inv scope:SCOPE_SE
	v_add_f64_e32 v[24:25], 0, v[24:25]
	s_delay_alu instid0(VALU_DEP_1)
	v_add_f64_e32 v[123:124], v[24:25], v[26:27]
	v_add_co_u32 v24, vcc_lo, v48, s80
	s_wait_alu 0xfffd
	v_add_co_ci_u32_e64 v25, null, s81, v49, vcc_lo
	v_add_co_u32 v26, vcc_lo, v48, s86
	s_wait_alu 0xfffd
	v_add_co_ci_u32_e64 v27, null, s87, v49, vcc_lo
	s_clause 0x1
	flat_load_b64 v[74:75], v[24:25]
	flat_load_b64 v[76:77], v[26:27]
	v_add_co_u32 v24, vcc_lo, v48, s82
	s_wait_alu 0xfffd
	v_add_co_ci_u32_e64 v25, null, s83, v49, vcc_lo
	v_add_co_u32 v26, vcc_lo, v48, s84
	s_wait_alu 0xfffd
	v_add_co_ci_u32_e64 v27, null, s85, v49, vcc_lo
	s_clause 0x1
	flat_load_b64 v[78:79], v[24:25]
	flat_load_b64 v[80:81], v[26:27]
	ds_load_b64 v[28:29], v85
	ds_load_b128 v[24:27], v92 offset:384
	v_add_f64_e32 v[107:108], v[123:124], v[107:108]
	s_delay_alu instid0(VALU_DEP_1)
	v_add_f64_e32 v[107:108], v[107:108], v[109:110]
	s_wait_loadcnt_dscnt 0x301
	v_mul_f64_e32 v[30:31], v[74:75], v[28:29]
	s_wait_loadcnt 0x2
	v_mul_f64_e32 v[111:112], v[76:77], v[28:29]
	ds_store_2addr_b64 v93, v[30:31], v[111:112] offset1:67
	s_wait_loadcnt 0x1
	v_mul_f64_e32 v[30:31], v[78:79], v[28:29]
	s_wait_loadcnt 0x0
	v_mul_f64_e32 v[28:29], v[80:81], v[28:29]
	ds_store_2addr_b64 v93, v[30:31], v[28:29] offset0:134 offset1:201
	ds_load_b128 v[28:31], v92 offset:400
	s_wait_dscnt 0x0
	s_barrier_signal -1
	s_barrier_wait -1
	global_inv scope:SCOPE_SE
	ds_load_2addr_b64 v[111:114], v94 offset1:1
	ds_load_2addr_b64 v[115:118], v94 offset0:2 offset1:3
	s_wait_loadcnt_dscnt 0x0
	s_barrier_signal -1
	s_barrier_wait -1
	global_inv scope:SCOPE_SE
	v_add_f64_e32 v[111:112], 0, v[111:112]
	s_delay_alu instid0(VALU_DEP_1) | instskip(NEXT) | instid1(VALU_DEP_1)
	v_add_f64_e32 v[111:112], v[111:112], v[113:114]
	v_add_f64_e32 v[109:110], v[111:112], v[115:116]
	s_delay_alu instid0(VALU_DEP_1)
	v_add_f64_e32 v[109:110], v[109:110], v[117:118]
	ds_store_2addr_b64 v103, v[119:120], v[121:122] offset1:16
	ds_store_2addr_b64 v103, v[107:108], v[109:110] offset0:32 offset1:48
	s_wait_loadcnt_dscnt 0x0
	s_barrier_signal -1
	s_barrier_wait -1
	global_inv scope:SCOPE_SE
	s_and_saveexec_b32 s35, s18
	s_cbranch_execz .LBB172_68
; %bb.72:                               ;   in Loop: Header=BB172_69 Depth=2
	ds_load_2addr_b64 v[107:110], v95 offset1:1
	ds_load_2addr_b64 v[111:114], v95 offset0:2 offset1:3
	v_add_nc_u32_e32 v32, s42, v82
	s_wait_dscnt 0x1
	v_add_f64_e32 v[107:108], v[107:108], v[109:110]
	s_wait_dscnt 0x0
	s_delay_alu instid0(VALU_DEP_1) | instskip(NEXT) | instid1(VALU_DEP_1)
	v_add_f64_e32 v[107:108], v[107:108], v[111:112]
	v_add_f64_e32 v[115:116], v[107:108], v[113:114]
	ds_load_2addr_b64 v[107:110], v95 offset0:4 offset1:5
	ds_load_2addr_b64 v[111:114], v95 offset0:6 offset1:7
	s_wait_dscnt 0x1
	v_add_f64_e32 v[107:108], v[115:116], v[107:108]
	s_delay_alu instid0(VALU_DEP_1) | instskip(SKIP_1) | instid1(VALU_DEP_1)
	v_add_f64_e32 v[107:108], v[107:108], v[109:110]
	s_wait_dscnt 0x0
	v_add_f64_e32 v[107:108], v[107:108], v[111:112]
	s_delay_alu instid0(VALU_DEP_1) | instskip(SKIP_4) | instid1(VALU_DEP_1)
	v_add_f64_e32 v[115:116], v[107:108], v[113:114]
	ds_load_2addr_b64 v[107:110], v95 offset0:8 offset1:9
	ds_load_2addr_b64 v[111:114], v95 offset0:10 offset1:11
	s_wait_dscnt 0x1
	v_add_f64_e32 v[107:108], v[115:116], v[107:108]
	v_add_f64_e32 v[107:108], v[107:108], v[109:110]
	s_wait_dscnt 0x0
	s_delay_alu instid0(VALU_DEP_1) | instskip(NEXT) | instid1(VALU_DEP_1)
	v_add_f64_e32 v[107:108], v[107:108], v[111:112]
	v_add_f64_e32 v[111:112], v[107:108], v[113:114]
	ds_load_2addr_b64 v[107:110], v95 offset0:12 offset1:13
	ds_load_b64 v[113:114], v95 offset:112
	s_wait_dscnt 0x1
	v_add_f64_e32 v[107:108], v[111:112], v[107:108]
	s_delay_alu instid0(VALU_DEP_1) | instskip(SKIP_4) | instid1(VALU_DEP_1)
	v_add_f64_e32 v[107:108], v[107:108], v[109:110]
	ds_load_b64 v[109:110], v96
	s_wait_dscnt 0x1
	v_add_f64_e32 v[107:108], v[107:108], v[113:114]
	s_wait_dscnt 0x0
	v_add_f64_e32 v[107:108], v[107:108], v[109:110]
	v_lshlrev_b64_e32 v[109:110], 3, v[32:33]
	s_delay_alu instid0(VALU_DEP_1) | instskip(SKIP_1) | instid1(VALU_DEP_2)
	v_add_co_u32 v109, vcc_lo, s100, v109
	s_wait_alu 0xfffd
	v_add_co_ci_u32_e64 v110, null, s101, v110, vcc_lo
	global_store_b64 v[109:110], v[107:108], off
	s_branch .LBB172_68
.LBB172_73:                             ;   in Loop: Header=BB172_4 Depth=1
	ds_store_b64 v97, v[46:47]
	s_wait_loadcnt_dscnt 0x0
	s_barrier_signal -1
	s_barrier_wait -1
	global_inv scope:SCOPE_SE
	s_and_saveexec_b32 s19, s104
	s_cbranch_execz .LBB172_2
; %bb.74:                               ;   in Loop: Header=BB172_4 Depth=1
	ds_load_2addr_b64 v[0:3], v83 offset1:67
	s_wait_dscnt 0x0
	v_add_f64_e32 v[4:5], v[0:1], v[2:3]
	ds_load_2addr_b64 v[0:3], v83 offset0:134 offset1:201
	s_wait_dscnt 0x0
	v_add_f64_e32 v[0:1], v[4:5], v[0:1]
	s_delay_alu instid0(VALU_DEP_1)
	v_add_f64_e32 v[0:1], v[0:1], v[2:3]
	s_wait_alu 0xfffe
	v_add_co_u32 v2, vcc_lo, s100, v44
	s_wait_alu 0xfffd
	v_add_co_ci_u32_e64 v3, null, s101, v45, vcc_lo
	global_store_b64 v[2:3], v[0:1], off
	s_branch .LBB172_2
.LBB172_75:                             ;   in Loop: Header=BB172_4 Depth=1
	ds_load_b64 v[2:3], v100
	s_wait_dscnt 0x0
	ds_store_b64 v87, v[2:3]
	s_wait_alu 0xfffe
	s_or_b32 exec_lo, exec_lo, s19
	s_and_saveexec_b32 s19, s7
	s_cbranch_execz .LBB172_26
.LBB172_76:                             ;   in Loop: Header=BB172_4 Depth=1
	ds_load_b64 v[2:3], v101
	s_wait_dscnt 0x0
	ds_store_b64 v87, v[2:3] offset:8
	s_wait_alu 0xfffe
	s_or_b32 exec_lo, exec_lo, s19
	s_and_saveexec_b32 s19, s8
	s_cbranch_execz .LBB172_27
.LBB172_77:                             ;   in Loop: Header=BB172_4 Depth=1
	ds_load_b64 v[2:3], v101 offset:264
	s_wait_dscnt 0x0
	ds_store_b64 v87, v[2:3] offset:16
	s_wait_alu 0xfffe
	s_or_b32 exec_lo, exec_lo, s19
	s_and_saveexec_b32 s19, s9
	s_cbranch_execnz .LBB172_28
	s_branch .LBB172_29
.LBB172_78:                             ;   in Loop: Header=BB172_4 Depth=1
	ds_load_b64 v[0:1], v100
	s_wait_dscnt 0x0
	ds_store_b64 v87, v[0:1]
	s_wait_alu 0xfffe
	s_or_b32 exec_lo, exec_lo, s19
	s_and_saveexec_b32 s19, s7
	s_cbranch_execz .LBB172_45
.LBB172_79:                             ;   in Loop: Header=BB172_4 Depth=1
	ds_load_b64 v[0:1], v101
	s_wait_dscnt 0x0
	ds_store_b64 v87, v[0:1] offset:8
	s_wait_alu 0xfffe
	s_or_b32 exec_lo, exec_lo, s19
	s_and_saveexec_b32 s19, s8
	s_cbranch_execz .LBB172_46
.LBB172_80:                             ;   in Loop: Header=BB172_4 Depth=1
	ds_load_b64 v[0:1], v101 offset:264
	s_wait_dscnt 0x0
	ds_store_b64 v87, v[0:1] offset:16
	s_wait_alu 0xfffe
	s_or_b32 exec_lo, exec_lo, s19
	s_and_saveexec_b32 s19, s9
	s_cbranch_execnz .LBB172_47
	s_branch .LBB172_48
.LBB172_81:
	s_nop 0
	s_sendmsg sendmsg(MSG_DEALLOC_VGPRS)
	s_endpgm
	.section	.rodata,"a",@progbits
	.p2align	6, 0x0
	.amdhsa_kernel _ZL26rocblas_hemvn_kernel_lowerILb0ELi64ELi4ELi33ELi32ELi16ElPKdPKS1_PdEviT6_lT7_lT5_lS6_lS7_lS5_lT8_i
		.amdhsa_group_segment_fixed_size 9600
		.amdhsa_private_segment_fixed_size 0
		.amdhsa_kernarg_size 376
		.amdhsa_user_sgpr_count 2
		.amdhsa_user_sgpr_dispatch_ptr 0
		.amdhsa_user_sgpr_queue_ptr 0
		.amdhsa_user_sgpr_kernarg_segment_ptr 1
		.amdhsa_user_sgpr_dispatch_id 0
		.amdhsa_user_sgpr_private_segment_size 0
		.amdhsa_wavefront_size32 1
		.amdhsa_uses_dynamic_stack 0
		.amdhsa_enable_private_segment 0
		.amdhsa_system_sgpr_workgroup_id_x 1
		.amdhsa_system_sgpr_workgroup_id_y 0
		.amdhsa_system_sgpr_workgroup_id_z 1
		.amdhsa_system_sgpr_workgroup_info 0
		.amdhsa_system_vgpr_workitem_id 1
		.amdhsa_next_free_vgpr 125
		.amdhsa_next_free_sgpr 105
		.amdhsa_reserve_vcc 1
		.amdhsa_float_round_mode_32 0
		.amdhsa_float_round_mode_16_64 0
		.amdhsa_float_denorm_mode_32 3
		.amdhsa_float_denorm_mode_16_64 3
		.amdhsa_fp16_overflow 0
		.amdhsa_workgroup_processor_mode 1
		.amdhsa_memory_ordered 1
		.amdhsa_forward_progress 1
		.amdhsa_inst_pref_size 57
		.amdhsa_round_robin_scheduling 0
		.amdhsa_exception_fp_ieee_invalid_op 0
		.amdhsa_exception_fp_denorm_src 0
		.amdhsa_exception_fp_ieee_div_zero 0
		.amdhsa_exception_fp_ieee_overflow 0
		.amdhsa_exception_fp_ieee_underflow 0
		.amdhsa_exception_fp_ieee_inexact 0
		.amdhsa_exception_int_div_zero 0
	.end_amdhsa_kernel
	.section	.text._ZL26rocblas_hemvn_kernel_lowerILb0ELi64ELi4ELi33ELi32ELi16ElPKdPKS1_PdEviT6_lT7_lT5_lS6_lS7_lS5_lT8_i,"axG",@progbits,_ZL26rocblas_hemvn_kernel_lowerILb0ELi64ELi4ELi33ELi32ELi16ElPKdPKS1_PdEviT6_lT7_lT5_lS6_lS7_lS5_lT8_i,comdat
.Lfunc_end172:
	.size	_ZL26rocblas_hemvn_kernel_lowerILb0ELi64ELi4ELi33ELi32ELi16ElPKdPKS1_PdEviT6_lT7_lT5_lS6_lS7_lS5_lT8_i, .Lfunc_end172-_ZL26rocblas_hemvn_kernel_lowerILb0ELi64ELi4ELi33ELi32ELi16ElPKdPKS1_PdEviT6_lT7_lT5_lS6_lS7_lS5_lT8_i
                                        ; -- End function
	.set _ZL26rocblas_hemvn_kernel_lowerILb0ELi64ELi4ELi33ELi32ELi16ElPKdPKS1_PdEviT6_lT7_lT5_lS6_lS7_lS5_lT8_i.num_vgpr, 125
	.set _ZL26rocblas_hemvn_kernel_lowerILb0ELi64ELi4ELi33ELi32ELi16ElPKdPKS1_PdEviT6_lT7_lT5_lS6_lS7_lS5_lT8_i.num_agpr, 0
	.set _ZL26rocblas_hemvn_kernel_lowerILb0ELi64ELi4ELi33ELi32ELi16ElPKdPKS1_PdEviT6_lT7_lT5_lS6_lS7_lS5_lT8_i.numbered_sgpr, 105
	.set _ZL26rocblas_hemvn_kernel_lowerILb0ELi64ELi4ELi33ELi32ELi16ElPKdPKS1_PdEviT6_lT7_lT5_lS6_lS7_lS5_lT8_i.num_named_barrier, 0
	.set _ZL26rocblas_hemvn_kernel_lowerILb0ELi64ELi4ELi33ELi32ELi16ElPKdPKS1_PdEviT6_lT7_lT5_lS6_lS7_lS5_lT8_i.private_seg_size, 0
	.set _ZL26rocblas_hemvn_kernel_lowerILb0ELi64ELi4ELi33ELi32ELi16ElPKdPKS1_PdEviT6_lT7_lT5_lS6_lS7_lS5_lT8_i.uses_vcc, 1
	.set _ZL26rocblas_hemvn_kernel_lowerILb0ELi64ELi4ELi33ELi32ELi16ElPKdPKS1_PdEviT6_lT7_lT5_lS6_lS7_lS5_lT8_i.uses_flat_scratch, 1
	.set _ZL26rocblas_hemvn_kernel_lowerILb0ELi64ELi4ELi33ELi32ELi16ElPKdPKS1_PdEviT6_lT7_lT5_lS6_lS7_lS5_lT8_i.has_dyn_sized_stack, 0
	.set _ZL26rocblas_hemvn_kernel_lowerILb0ELi64ELi4ELi33ELi32ELi16ElPKdPKS1_PdEviT6_lT7_lT5_lS6_lS7_lS5_lT8_i.has_recursion, 0
	.set _ZL26rocblas_hemvn_kernel_lowerILb0ELi64ELi4ELi33ELi32ELi16ElPKdPKS1_PdEviT6_lT7_lT5_lS6_lS7_lS5_lT8_i.has_indirect_call, 0
	.section	.AMDGPU.csdata,"",@progbits
; Kernel info:
; codeLenInByte = 7204
; TotalNumSgprs: 107
; NumVgprs: 125
; ScratchSize: 0
; MemoryBound: 0
; FloatMode: 240
; IeeeMode: 1
; LDSByteSize: 9600 bytes/workgroup (compile time only)
; SGPRBlocks: 0
; VGPRBlocks: 15
; NumSGPRsForWavesPerEU: 107
; NumVGPRsForWavesPerEU: 125
; Occupancy: 10
; WaveLimiterHint : 1
; COMPUTE_PGM_RSRC2:SCRATCH_EN: 0
; COMPUTE_PGM_RSRC2:USER_SGPR: 2
; COMPUTE_PGM_RSRC2:TRAP_HANDLER: 0
; COMPUTE_PGM_RSRC2:TGID_X_EN: 1
; COMPUTE_PGM_RSRC2:TGID_Y_EN: 0
; COMPUTE_PGM_RSRC2:TGID_Z_EN: 1
; COMPUTE_PGM_RSRC2:TIDIG_COMP_CNT: 1
	.section	.text._ZL36rocblas_hemvn_kernel_lower_block_sumILi64ElPKdPKPddEviT1_lS5_lT2_lT0_lPT3_i,"axG",@progbits,_ZL36rocblas_hemvn_kernel_lower_block_sumILi64ElPKdPKPddEviT1_lS5_lT2_lT0_lPT3_i,comdat
	.globl	_ZL36rocblas_hemvn_kernel_lower_block_sumILi64ElPKdPKPddEviT1_lS5_lT2_lT0_lPT3_i ; -- Begin function _ZL36rocblas_hemvn_kernel_lower_block_sumILi64ElPKdPKPddEviT1_lS5_lT2_lT0_lPT3_i
	.p2align	8
	.type	_ZL36rocblas_hemvn_kernel_lower_block_sumILi64ElPKdPKPddEviT1_lS5_lT2_lT0_lPT3_i,@function
_ZL36rocblas_hemvn_kernel_lower_block_sumILi64ElPKdPKPddEviT1_lS5_lT2_lT0_lPT3_i: ; @_ZL36rocblas_hemvn_kernel_lower_block_sumILi64ElPKdPKPddEviT1_lS5_lT2_lT0_lPT3_i
; %bb.0:
	s_load_b32 s24, s[0:1], 0x50
	s_lshr_b32 s2, ttmp7, 16
	s_wait_kmcnt 0x0
	s_cmp_ge_u32 s2, s24
	s_cbranch_scc1 .LBB173_24
; %bb.1:
	s_clause 0x1
	s_load_b32 s18, s[0:1], 0x0
	s_load_b128 s[12:15], s[0:1], 0x30
	s_lshl_b32 s3, ttmp9, 6
	s_load_b64 s[20:21], s[0:1], 0x48
	v_or_b32_e32 v0, s3, v0
	s_clause 0x1
	s_load_b64 s[16:17], s[0:1], 0x28
	s_load_b256 s[4:11], s[0:1], 0x8
	s_ashr_i32 s3, s3, 31
	v_mov_b32_e32 v12, 0
	s_wait_kmcnt 0x0
	v_mad_co_u64_u32 v[1:2], null, s18, ttmp9, v[0:1]
	v_mul_lo_u32 v5, s15, v0
	v_mad_co_u64_u32 v[3:4], null, s14, v0, 0
	s_wait_alu 0xfffe
	s_mul_i32 s3, s14, s3
	s_add_nc_u64 s[14:15], s[0:1], 0x58
	v_cmp_gt_i32_e64 s0, s18, v0
	s_delay_alu instid0(VALU_DEP_4)
	v_ashrrev_i32_e32 v2, 31, v1
	s_ashr_i32 s19, s18, 31
	s_lshl_b64 s[12:13], s[12:13], 3
	s_wait_alu 0xfffe
	v_add3_u32 v4, v4, s3, v5
	s_lshl_b64 s[18:19], s[18:19], 3
	v_lshlrev_b64_e32 v[5:6], 3, v[1:2]
	s_mov_b32 s3, 0
	s_delay_alu instid0(VALU_DEP_2) | instskip(NEXT) | instid1(VALU_DEP_2)
	v_lshlrev_b64_e32 v[0:1], 3, v[3:4]
	v_add_co_u32 v2, vcc_lo, s20, v5
	s_delay_alu instid0(VALU_DEP_1)
	v_add_co_ci_u32_e64 v3, null, s21, v6, vcc_lo
	s_branch .LBB173_4
.LBB173_2:                              ;   in Loop: Header=BB173_4 Depth=1
	s_or_b32 exec_lo, exec_lo, s22
.LBB173_3:                              ;   in Loop: Header=BB173_4 Depth=1
	s_add_co_i32 s2, s2, 0x10000
	s_wait_alu 0xfffe
	s_cmp_lt_u32 s2, s24
	s_cbranch_scc0 .LBB173_24
.LBB173_4:                              ; =>This Loop Header: Depth=1
                                        ;     Child Loop BB173_15 Depth 2
	s_wait_alu 0xfffe
	s_mul_u64 s[20:21], s[6:7], s[2:3]
	s_mul_u64 s[22:23], s[10:11], s[2:3]
	s_wait_alu 0xfffe
	s_lshl_b64 s[20:21], s[20:21], 3
	s_lshl_b64 s[22:23], s[22:23], 3
	s_wait_alu 0xfffe
	s_add_nc_u64 s[20:21], s[4:5], s[20:21]
	s_add_nc_u64 s[22:23], s[8:9], s[22:23]
	s_clause 0x1
	global_load_b64 v[4:5], v12, s[20:21]
	global_load_b64 v[6:7], v12, s[22:23]
	s_wait_loadcnt 0x1
	v_cmp_eq_f64_e32 vcc_lo, 0, v[4:5]
	s_wait_loadcnt 0x0
	v_cmp_eq_f64_e64 s1, 1.0, v[6:7]
	s_and_b32 s1, vcc_lo, s1
	s_wait_alu 0xfffe
	s_and_b32 vcc_lo, exec_lo, s1
	s_wait_alu 0xfffe
	s_cbranch_vccnz .LBB173_3
; %bb.5:                                ;   in Loop: Header=BB173_4 Depth=1
	v_cmp_neq_f64_e32 vcc_lo, 0, v[4:5]
	s_lshl_b64 s[20:21], s[2:3], 3
	s_wait_alu 0xfffe
	s_add_nc_u64 s[20:21], s[16:17], s[20:21]
	s_load_b64 s[20:21], s[20:21], 0x0
	s_wait_kmcnt 0x0
	s_add_nc_u64 s[20:21], s[20:21], s[12:13]
	s_cbranch_vccnz .LBB173_10
; %bb.6:                                ;   in Loop: Header=BB173_4 Depth=1
	s_mov_b32 s22, 0
	s_mov_b32 s1, 0
                                        ; implicit-def: $vgpr8_vgpr9
	s_and_saveexec_b32 s23, s0
	s_cbranch_execz .LBB173_11
; %bb.7:                                ;   in Loop: Header=BB173_4 Depth=1
	v_cmp_eq_f64_e32 vcc_lo, 0, v[6:7]
	v_mov_b32_e32 v8, 0
	v_mov_b32_e32 v9, 0
	s_cbranch_vccnz .LBB173_9
; %bb.8:                                ;   in Loop: Header=BB173_4 Depth=1
	s_wait_alu 0xfffe
	v_add_co_u32 v8, vcc_lo, s20, v0
	s_wait_alu 0xfffd
	v_add_co_ci_u32_e64 v9, null, s21, v1, vcc_lo
	flat_load_b64 v[8:9], v[8:9]
	s_wait_loadcnt_dscnt 0x0
	v_mul_f64_e32 v[8:9], v[6:7], v[8:9]
.LBB173_9:                              ;   in Loop: Header=BB173_4 Depth=1
	s_mov_b32 s1, exec_lo
	s_or_b32 exec_lo, exec_lo, s23
	s_delay_alu instid0(SALU_CYCLE_1)
	s_and_b32 vcc_lo, exec_lo, s22
	s_wait_alu 0xfffe
	s_cbranch_vccnz .LBB173_12
	s_branch .LBB173_21
.LBB173_10:                             ;   in Loop: Header=BB173_4 Depth=1
	s_mov_b32 s1, 0
                                        ; implicit-def: $vgpr8_vgpr9
	s_cbranch_execnz .LBB173_12
	s_branch .LBB173_21
.LBB173_11:                             ;   in Loop: Header=BB173_4 Depth=1
	s_or_b32 exec_lo, exec_lo, s23
	s_delay_alu instid0(SALU_CYCLE_1)
	s_and_b32 vcc_lo, exec_lo, s22
	s_wait_alu 0xfffe
	s_cbranch_vccz .LBB173_21
.LBB173_12:                             ;   in Loop: Header=BB173_4 Depth=1
                                        ; implicit-def: $vgpr8_vgpr9
	s_and_saveexec_b32 s25, s0
	s_cbranch_execz .LBB173_20
; %bb.13:                               ;   in Loop: Header=BB173_4 Depth=1
	s_load_b32 s22, s[14:15], 0x0
	v_mov_b32_e32 v10, 0
	v_mov_b32_e32 v11, 0
	s_wait_kmcnt 0x0
	s_cmp_ge_i32 ttmp9, s22
	s_cbranch_scc1 .LBB173_16
; %bb.14:                               ;   in Loop: Header=BB173_4 Depth=1
	s_mov_b32 s23, s3
	s_mov_b32 s26, ttmp9
	s_mul_u64 s[28:29], s[18:19], s[22:23]
	s_wait_alu 0xfffe
	v_mad_co_u64_u32 v[8:9], null, s28, s2, v[2:3]
	s_delay_alu instid0(VALU_DEP_1)
	v_mad_co_u64_u32 v[9:10], null, s29, s2, v[9:10]
	v_mov_b32_e32 v10, 0
	v_mov_b32_e32 v11, 0
.LBB173_15:                             ;   Parent Loop BB173_4 Depth=1
                                        ; =>  This Inner Loop Header: Depth=2
	global_load_b64 v[13:14], v[8:9], off
	v_add_co_u32 v8, vcc_lo, v8, s18
	s_wait_alu 0xfffd
	v_add_co_ci_u32_e64 v9, null, s19, v9, vcc_lo
	s_add_co_i32 s26, s26, 1
	s_delay_alu instid0(SALU_CYCLE_1)
	s_cmp_ge_i32 s26, s22
	s_wait_loadcnt 0x0
	v_add_f64_e32 v[10:11], v[10:11], v[13:14]
	s_cbranch_scc0 .LBB173_15
.LBB173_16:                             ;   in Loop: Header=BB173_4 Depth=1
	v_cmp_eq_f64_e32 vcc_lo, 0, v[6:7]
	s_cbranch_vccz .LBB173_23
; %bb.17:                               ;   in Loop: Header=BB173_4 Depth=1
	s_delay_alu instid0(VALU_DEP_2)
	v_mul_f64_e32 v[8:9], v[4:5], v[10:11]
	s_cbranch_execnz .LBB173_19
.LBB173_18:                             ;   in Loop: Header=BB173_4 Depth=1
	v_add_co_u32 v8, vcc_lo, s20, v0
	s_wait_alu 0xfffd
	v_add_co_ci_u32_e64 v9, null, s21, v1, vcc_lo
	flat_load_b64 v[8:9], v[8:9]
	s_wait_loadcnt_dscnt 0x0
	v_mul_f64_e32 v[6:7], v[6:7], v[8:9]
	s_delay_alu instid0(VALU_DEP_1)
	v_fma_f64 v[8:9], v[4:5], v[10:11], v[6:7]
.LBB173_19:                             ;   in Loop: Header=BB173_4 Depth=1
	s_or_b32 s1, s1, exec_lo
.LBB173_20:                             ;   in Loop: Header=BB173_4 Depth=1
	s_or_b32 exec_lo, exec_lo, s25
.LBB173_21:                             ;   in Loop: Header=BB173_4 Depth=1
	s_wait_alu 0xfffe
	s_and_saveexec_b32 s22, s1
	s_cbranch_execz .LBB173_2
; %bb.22:                               ;   in Loop: Header=BB173_4 Depth=1
	v_add_co_u32 v4, vcc_lo, s20, v0
	s_wait_alu 0xfffd
	v_add_co_ci_u32_e64 v5, null, s21, v1, vcc_lo
	flat_store_b64 v[4:5], v[8:9]
	s_branch .LBB173_2
.LBB173_23:                             ;   in Loop: Header=BB173_4 Depth=1
                                        ; implicit-def: $vgpr8_vgpr9
	s_branch .LBB173_18
.LBB173_24:
	s_endpgm
	.section	.rodata,"a",@progbits
	.p2align	6, 0x0
	.amdhsa_kernel _ZL36rocblas_hemvn_kernel_lower_block_sumILi64ElPKdPKPddEviT1_lS5_lT2_lT0_lPT3_i
		.amdhsa_group_segment_fixed_size 0
		.amdhsa_private_segment_fixed_size 0
		.amdhsa_kernarg_size 344
		.amdhsa_user_sgpr_count 2
		.amdhsa_user_sgpr_dispatch_ptr 0
		.amdhsa_user_sgpr_queue_ptr 0
		.amdhsa_user_sgpr_kernarg_segment_ptr 1
		.amdhsa_user_sgpr_dispatch_id 0
		.amdhsa_user_sgpr_private_segment_size 0
		.amdhsa_wavefront_size32 1
		.amdhsa_uses_dynamic_stack 0
		.amdhsa_enable_private_segment 0
		.amdhsa_system_sgpr_workgroup_id_x 1
		.amdhsa_system_sgpr_workgroup_id_y 0
		.amdhsa_system_sgpr_workgroup_id_z 1
		.amdhsa_system_sgpr_workgroup_info 0
		.amdhsa_system_vgpr_workitem_id 0
		.amdhsa_next_free_vgpr 15
		.amdhsa_next_free_sgpr 30
		.amdhsa_reserve_vcc 1
		.amdhsa_float_round_mode_32 0
		.amdhsa_float_round_mode_16_64 0
		.amdhsa_float_denorm_mode_32 3
		.amdhsa_float_denorm_mode_16_64 3
		.amdhsa_fp16_overflow 0
		.amdhsa_workgroup_processor_mode 1
		.amdhsa_memory_ordered 1
		.amdhsa_forward_progress 1
		.amdhsa_inst_pref_size 7
		.amdhsa_round_robin_scheduling 0
		.amdhsa_exception_fp_ieee_invalid_op 0
		.amdhsa_exception_fp_denorm_src 0
		.amdhsa_exception_fp_ieee_div_zero 0
		.amdhsa_exception_fp_ieee_overflow 0
		.amdhsa_exception_fp_ieee_underflow 0
		.amdhsa_exception_fp_ieee_inexact 0
		.amdhsa_exception_int_div_zero 0
	.end_amdhsa_kernel
	.section	.text._ZL36rocblas_hemvn_kernel_lower_block_sumILi64ElPKdPKPddEviT1_lS5_lT2_lT0_lPT3_i,"axG",@progbits,_ZL36rocblas_hemvn_kernel_lower_block_sumILi64ElPKdPKPddEviT1_lS5_lT2_lT0_lPT3_i,comdat
.Lfunc_end173:
	.size	_ZL36rocblas_hemvn_kernel_lower_block_sumILi64ElPKdPKPddEviT1_lS5_lT2_lT0_lPT3_i, .Lfunc_end173-_ZL36rocblas_hemvn_kernel_lower_block_sumILi64ElPKdPKPddEviT1_lS5_lT2_lT0_lPT3_i
                                        ; -- End function
	.set _ZL36rocblas_hemvn_kernel_lower_block_sumILi64ElPKdPKPddEviT1_lS5_lT2_lT0_lPT3_i.num_vgpr, 15
	.set _ZL36rocblas_hemvn_kernel_lower_block_sumILi64ElPKdPKPddEviT1_lS5_lT2_lT0_lPT3_i.num_agpr, 0
	.set _ZL36rocblas_hemvn_kernel_lower_block_sumILi64ElPKdPKPddEviT1_lS5_lT2_lT0_lPT3_i.numbered_sgpr, 30
	.set _ZL36rocblas_hemvn_kernel_lower_block_sumILi64ElPKdPKPddEviT1_lS5_lT2_lT0_lPT3_i.num_named_barrier, 0
	.set _ZL36rocblas_hemvn_kernel_lower_block_sumILi64ElPKdPKPddEviT1_lS5_lT2_lT0_lPT3_i.private_seg_size, 0
	.set _ZL36rocblas_hemvn_kernel_lower_block_sumILi64ElPKdPKPddEviT1_lS5_lT2_lT0_lPT3_i.uses_vcc, 1
	.set _ZL36rocblas_hemvn_kernel_lower_block_sumILi64ElPKdPKPddEviT1_lS5_lT2_lT0_lPT3_i.uses_flat_scratch, 0
	.set _ZL36rocblas_hemvn_kernel_lower_block_sumILi64ElPKdPKPddEviT1_lS5_lT2_lT0_lPT3_i.has_dyn_sized_stack, 0
	.set _ZL36rocblas_hemvn_kernel_lower_block_sumILi64ElPKdPKPddEviT1_lS5_lT2_lT0_lPT3_i.has_recursion, 0
	.set _ZL36rocblas_hemvn_kernel_lower_block_sumILi64ElPKdPKPddEviT1_lS5_lT2_lT0_lPT3_i.has_indirect_call, 0
	.section	.AMDGPU.csdata,"",@progbits
; Kernel info:
; codeLenInByte = 784
; TotalNumSgprs: 32
; NumVgprs: 15
; ScratchSize: 0
; MemoryBound: 0
; FloatMode: 240
; IeeeMode: 1
; LDSByteSize: 0 bytes/workgroup (compile time only)
; SGPRBlocks: 0
; VGPRBlocks: 1
; NumSGPRsForWavesPerEU: 32
; NumVGPRsForWavesPerEU: 15
; Occupancy: 16
; WaveLimiterHint : 1
; COMPUTE_PGM_RSRC2:SCRATCH_EN: 0
; COMPUTE_PGM_RSRC2:USER_SGPR: 2
; COMPUTE_PGM_RSRC2:TRAP_HANDLER: 0
; COMPUTE_PGM_RSRC2:TGID_X_EN: 1
; COMPUTE_PGM_RSRC2:TGID_Y_EN: 0
; COMPUTE_PGM_RSRC2:TGID_Z_EN: 1
; COMPUTE_PGM_RSRC2:TIDIG_COMP_CNT: 0
	.section	.text._ZL26rocblas_hemvn_kernel_lowerILb0ELi64ELi4ELi33ELi32ELi16EiPKdPKS1_PdEviT6_lT7_lT5_lS6_lS7_lS5_lT8_i,"axG",@progbits,_ZL26rocblas_hemvn_kernel_lowerILb0ELi64ELi4ELi33ELi32ELi16EiPKdPKS1_PdEviT6_lT7_lT5_lS6_lS7_lS5_lT8_i,comdat
	.globl	_ZL26rocblas_hemvn_kernel_lowerILb0ELi64ELi4ELi33ELi32ELi16EiPKdPKS1_PdEviT6_lT7_lT5_lS6_lS7_lS5_lT8_i ; -- Begin function _ZL26rocblas_hemvn_kernel_lowerILb0ELi64ELi4ELi33ELi32ELi16EiPKdPKS1_PdEviT6_lT7_lT5_lS6_lS7_lS5_lT8_i
	.p2align	8
	.type	_ZL26rocblas_hemvn_kernel_lowerILb0ELi64ELi4ELi33ELi32ELi16EiPKdPKS1_PdEviT6_lT7_lT5_lS6_lS7_lS5_lT8_i,@function
_ZL26rocblas_hemvn_kernel_lowerILb0ELi64ELi4ELi33ELi32ELi16EiPKdPKS1_PdEviT6_lT7_lT5_lS6_lS7_lS5_lT8_i: ; @_ZL26rocblas_hemvn_kernel_lowerILb0ELi64ELi4ELi33ELi32ELi16EiPKdPKS1_PdEviT6_lT7_lT5_lS6_lS7_lS5_lT8_i
; %bb.0:
	s_clause 0x1
	s_load_b64 s[2:3], s[0:1], 0x84
	s_load_b32 s21, s[0:1], 0x70
	s_lshr_b32 s22, ttmp7, 16
	s_wait_kmcnt 0x0
	s_lshr_b32 s4, s2, 16
	s_and_b32 s2, s2, 0xffff
	s_and_b32 s3, s3, 0xffff
	s_mul_i32 s2, s4, s2
	s_delay_alu instid0(SALU_CYCLE_1) | instskip(NEXT) | instid1(SALU_CYCLE_1)
	s_mul_i32 s2, s2, s3
	s_cmp_lg_u32 s2, 0x100
	s_cselect_b32 s2, -1, 0
	s_cmp_ge_u32 s22, s21
	s_cselect_b32 s3, -1, 0
	s_delay_alu instid0(SALU_CYCLE_1) | instskip(NEXT) | instid1(SALU_CYCLE_1)
	s_or_b32 s2, s2, s3
	s_and_b32 vcc_lo, exec_lo, s2
	s_cbranch_vccnz .LBB174_81
; %bb.1:
	s_clause 0x1
	s_load_b32 s4, s[0:1], 0x0
	s_load_b32 s24, s[0:1], 0x28
	s_add_nc_u64 s[2:3], s[0:1], 0x78
	s_clause 0x1
	s_load_b32 s14, s[0:1], 0x48
	s_load_b128 s[36:39], s[0:1], 0x38
	s_load_b32 s8, s[2:3], 0x0
	s_clause 0x1
	s_load_b64 s[6:7], s[0:1], 0x68
	s_load_b128 s[40:43], s[0:1], 0x58
	v_dual_mov_b32 v33, 0 :: v_dual_and_b32 v84, 0x3ff, v0
	v_bfe_u32 v3, v0, 10, 10
	s_lshl_b32 s26, ttmp9, 6
	v_and_b32_e32 v1, 31, v0
                                        ; implicit-def: $vgpr127 : SGPR spill to VGPR lane
	s_mov_b32 s23, 0
	v_add_nc_u32_e32 v2, s26, v84
	v_lshl_add_u32 v16, v3, 6, v84
	s_mov_b32 s9, s23
	v_mul_u32_u24_e32 v22, 33, v1
	v_lshlrev_b32_e32 v85, 3, v84
	v_lshlrev_b32_e32 v17, 3, v1
	v_lshrrev_b32_e32 v10, 5, v16
	v_and_b32_e32 v15, 0x7fe0, v16
	v_and_b32_e32 v24, 15, v0
	s_wait_kmcnt 0x0
	s_mul_i32 s54, s14, s26
	s_ashr_i32 s5, s4, 31
	s_add_co_i32 s10, s8, -1
	s_lshr_b32 s3, s5, 26
	s_ashr_i32 s25, s24, 31
	s_add_co_i32 s3, s4, s3
	s_mul_i32 s28, s24, s26
	s_and_not1_b32 s3, s3, 63
	v_lshlrev_b32_e32 v13, 2, v10
	s_sub_co_i32 s3, s4, s3
	s_cmp_eq_u32 ttmp9, s10
	s_mul_i32 s10, s4, ttmp9
	s_cselect_b32 s34, s3, 0
	v_lshlrev_b32_e32 v23, 3, v10
	v_cmp_gt_i32_e32 vcc_lo, s34, v84
	s_cmp_eq_u32 s34, 0
	v_add_nc_u32_e32 v11, 8, v10
	s_cselect_b32 s3, -1, 0
	s_ashr_i32 s11, s10, 31
	v_cndmask_b32_e64 v87, 0, 1, s3
	s_or_b32 s3, s3, vcc_lo
	s_lshl_b64 s[10:11], s[10:11], 3
	s_ashr_i32 s27, s26, 31
	s_ashr_i32 s29, s28, 31
	s_cmp_lg_u32 s34, 0
	s_wait_alu 0xfffe
	v_writelane_b32 v127, s3, 0
	s_cselect_b32 s15, -1, 0
	s_sub_co_i32 s16, s34, 32
	v_cmp_le_i32_e32 vcc_lo, s34, v84
	v_cmp_gt_i32_e64 s17, s16, v10
	v_or_b32_e32 v21, 2, v13
	v_lshl_add_u32 v91, v22, 3, v23
	v_add_nc_u32_e32 v12, 16, v10
	s_lshl_b32 s48, s24, 3
	s_wait_alu 0xf1ff
	v_writelane_b32 v127, s17, 1
	v_cmp_gt_i32_e64 s17, s16, v11
	s_lshl_b32 s50, s24, 4
	s_mul_i32 s52, s24, 24
	s_lshl_b32 s30, s24, 5
	s_and_b32 s19, s15, vcc_lo
	s_mul_u64 s[44:45], s[8:9], s[4:5]
	v_sub_co_u32 v8, s4, 0, v1
	s_ashr_i32 s49, s48, 31
	s_ashr_i32 s51, s50, 31
	;; [unrolled: 1-line block ×5, first 2 shown]
	s_xor_b32 s15, s19, -1
	s_ashr_i32 s55, s54, 31
	v_mad_co_u64_u32 v[6:7], null, s24, v10, v[1:2]
	s_add_nc_u64 s[46:47], s[6:7], s[10:11]
	v_mul_u32_u24_e32 v18, 0x108, v10
	v_sub_co_ci_u32_e64 v9, null, 0, 0, s4
	v_cmp_gt_i32_e64 s4, s34, v10
	v_add_nc_u32_e32 v14, 24, v10
	v_mul_u32_u24_e32 v20, 0x420, v10
	v_cmp_lt_u32_e64 s10, v21, v1
	v_cmp_eq_u32_e64 s18, 1, v10
	v_mul_i32_i24_e32 v21, 0xffffffe8, v10
	v_mad_u32_u24 v92, v10, 24, v91
	v_mul_lo_u32 v10, v3, s24
	s_cmp_gt_i32 ttmp9, 0
	v_writelane_b32 v127, s17, 2
	v_cmp_gt_i32_e64 s17, s16, v12
	s_sub_nc_u64 s[96:97], 0, s[30:31]
	s_sub_nc_u64 s[98:99], 0, s[54:55]
	s_cselect_b32 s104, -1, 0
	s_sub_nc_u64 s[100:101], 0, s[28:29]
	s_lshl_b64 s[54:55], s[24:25], 6
	s_lshl_b64 s[58:59], s[24:25], 3
	;; [unrolled: 1-line block ×4, first 2 shown]
	s_mul_u64 s[64:65], s[24:25], 24
	s_lshl_b64 s[66:67], s[24:25], 7
	s_mul_u64 s[68:69], s[24:25], 0x90
	s_mul_u64 s[70:71], s[24:25], 0x98
	s_lshl_b64 s[72:73], s[24:25], 8
	s_mul_u64 s[74:75], s[24:25], 0x110
	s_mul_u64 s[76:77], s[24:25], 0x118
	;; [unrolled: 1-line block ×8, first 2 shown]
	s_lshl_b64 s[90:91], s[26:27], 3
	s_lshl_b64 s[92:93], s[28:29], 3
	;; [unrolled: 1-line block ×3, first 2 shown]
	s_load_b256 s[24:31], s[0:1], 0x8
	v_or_b32_e32 v19, 1, v13
	v_cmp_lt_u32_e64 s8, v13, v1
	v_or_b32_e32 v13, 3, v13
	v_lshrrev_b32_e32 v22, 4, v16
	v_mul_lo_u32 v4, s14, v2
	v_writelane_b32 v127, s17, 3
	v_cmp_gt_i32_e64 s16, s16, v14
	v_ashrrev_i32_e32 v7, 31, v6
	v_lshl_or_b32 v88, v1, 8, v17
	v_cmp_lt_u32_e64 s11, v13, v1
	v_or_b32_e32 v13, 32, v1
	v_lshl_add_u32 v10, v10, 2, v84
	v_mad_u32_u24 v95, 0x860, v3, v85
	v_and_b32_e32 v0, 48, v0
	v_lshlrev_b32_e32 v25, 5, v22
	v_cmp_gt_i32_e64 s6, s34, v12
	v_cmp_gt_i32_e64 s7, s34, v14
	s_wait_alu 0xf1ff
	v_writelane_b32 v127, s16, 4
	v_sub_co_u32 v12, vcc_lo, 0, v6
	v_sub_co_u32 v14, s16, 0, v84
	v_cmp_eq_u32_e64 s2, 0, v3
	v_ashrrev_i32_e32 v5, 31, v4
	v_cmp_gt_i32_e64 s5, s34, v11
	v_add_nc_u32_e32 v89, v88, v15
	v_add_nc_u32_e32 v90, 0x2380, v15
	v_cmp_gt_i32_e64 s13, s34, v13
	v_sub_co_ci_u32_e64 v13, null, 0, v7, vcc_lo
	v_ashrrev_i32_e32 v11, 31, v10
	s_wait_alu 0xf1ff
	v_sub_co_ci_u32_e64 v15, null, 0, 0, s16
	v_lshl_add_u32 v94, v3, 5, 0x2180
	v_mad_i32_i24 v99, 0xfffff9b8, v3, v95
	v_ashrrev_i32_e32 v3, 31, v2
	v_cmp_lt_u32_e64 s9, v19, v1
	v_mul_u32_u24_e32 v19, 0x108, v19
	v_lshlrev_b32_e32 v0, 3, v0
	v_or_b32_e32 v26, 0x78, v85
	v_mad_u32_u24 v96, 0x218, v24, v25
	v_mul_i32_i24_e32 v22, 0xffffffe8, v22
	v_lshlrev_b64_e32 v[34:35], 3, v[4:5]
	v_lshlrev_b64_e32 v[36:37], 3, v[6:7]
	;; [unrolled: 1-line block ×7, first 2 shown]
	v_add_nc_u32_e32 v86, 0x2380, v85
	v_cmp_gt_i32_e64 s3, s34, v1
	v_cmp_gt_u32_e64 s12, 32, v16
	v_add_nc_u32_e32 v93, 0x2180, v85
	v_cmp_gt_u32_e64 s20, 64, v16
	v_mad_u32_u24 v97, 0x218, v24, v0
	v_mad_u32_u24 v98, 0x218, v24, v26
	v_add_nc_u32_e32 v100, 0x2380, v23
	v_add_nc_u32_e32 v101, v17, v18
	;; [unrolled: 1-line block ×6, first 2 shown]
	v_lshlrev_b32_e32 v106, 3, v1
	s_lshl_b32 vcc_hi, s14, 6
	s_and_b32 s33, s2, s15
	s_sub_nc_u64 s[56:57], 0, s[34:35]
	s_lshl_b64 s[38:39], s[38:39], 3
	s_lshl_b64 s[96:97], s[96:97], 3
	s_lshl_b64 s[98:99], s[98:99], 3
	s_lshl_b64 s[100:101], s[100:101], 3
	s_wait_kmcnt 0x0
	s_lshl_b64 s[30:31], s[30:31], 3
	s_branch .LBB174_4
.LBB174_2:                              ;   in Loop: Header=BB174_4 Depth=1
	s_wait_alu 0xfffe
	s_or_b32 exec_lo, exec_lo, s14
.LBB174_3:                              ;   in Loop: Header=BB174_4 Depth=1
	s_add_co_i32 s22, s22, 0x10000
	s_delay_alu instid0(SALU_CYCLE_1)
	s_cmp_lt_u32 s22, s21
	s_cbranch_scc0 .LBB174_81
.LBB174_4:                              ; =>This Loop Header: Depth=1
                                        ;     Child Loop BB174_69 Depth 2
	s_mul_u64 s[0:1], s[26:27], s[22:23]
	s_mul_u64 s[14:15], s[42:43], s[22:23]
	s_wait_alu 0xfffe
	s_lshl_b64 s[0:1], s[0:1], 3
	s_lshl_b64 s[14:15], s[14:15], 3
	s_wait_alu 0xfffe
	s_add_nc_u64 s[0:1], s[24:25], s[0:1]
	s_add_nc_u64 s[14:15], s[40:41], s[14:15]
	s_clause 0x1
	global_load_b64 v[0:1], v33, s[0:1]
	global_load_b64 v[2:3], v33, s[14:15]
	s_wait_loadcnt 0x1
	v_cmp_eq_f64_e64 s0, 0, v[0:1]
	s_wait_loadcnt 0x0
	v_cmp_eq_f64_e32 vcc_lo, 1.0, v[2:3]
	s_wait_alu 0xfffe
	s_and_b32 s1, s0, vcc_lo
	s_wait_alu 0xfffe
	s_and_b32 vcc_lo, exec_lo, s1
	s_wait_alu 0xfffe
	s_cbranch_vccnz .LBB174_3
; %bb.5:                                ;   in Loop: Header=BB174_4 Depth=1
	s_and_b32 vcc_lo, exec_lo, s0
	s_wait_alu 0xfffe
	s_cbranch_vccz .LBB174_7
; %bb.6:                                ;   in Loop: Header=BB174_4 Depth=1
	s_cbranch_execnz .LBB174_3
	s_branch .LBB174_8
.LBB174_7:                              ;   in Loop: Header=BB174_4 Depth=1
.LBB174_8:                              ;   in Loop: Header=BB174_4 Depth=1
	s_lshl_b64 s[0:1], s[22:23], 3
	s_wait_alu 0xfffe
	s_add_nc_u64 s[14:15], s[36:37], s[0:1]
	s_add_nc_u64 s[0:1], s[28:29], s[0:1]
	s_clause 0x1
	global_load_b64 v[2:3], v33, s[14:15]
	global_load_b64 v[0:1], v33, s[0:1]
	s_wait_loadcnt 0x1
	v_add_co_u32 v2, vcc_lo, v2, s38
	s_wait_alu 0xfffd
	v_add_co_ci_u32_e64 v3, null, s39, v3, vcc_lo
	s_delay_alu instid0(VALU_DEP_2) | instskip(SKIP_1) | instid1(VALU_DEP_2)
	v_add_co_u32 v16, vcc_lo, v2, v34
	s_wait_alu 0xfffd
	v_add_co_ci_u32_e64 v17, null, v3, v35, vcc_lo
	s_and_saveexec_b32 s0, s2
	s_cbranch_execz .LBB174_12
; %bb.9:                                ;   in Loop: Header=BB174_4 Depth=1
	v_mov_b32_e32 v2, 0
	v_mov_b32_e32 v3, 0
	s_mov_b32 s1, exec_lo
	v_readlane_b32 s14, v127, 0
	s_wait_alu 0xfffe
	s_and_b32 s14, s1, s14
	s_wait_alu 0xfffe
	s_mov_b32 exec_lo, s14
	s_cbranch_execz .LBB174_11
; %bb.10:                               ;   in Loop: Header=BB174_4 Depth=1
	flat_load_b64 v[2:3], v[16:17]
.LBB174_11:                             ;   in Loop: Header=BB174_4 Depth=1
	s_or_b32 exec_lo, exec_lo, s1
	s_wait_loadcnt_dscnt 0x0
	ds_store_b64 v86, v[2:3]
.LBB174_12:                             ;   in Loop: Header=BB174_4 Depth=1
	s_wait_alu 0xfffe
	s_or_b32 exec_lo, exec_lo, s0
	s_wait_loadcnt 0x0
	v_add_co_u32 v0, vcc_lo, v0, s30
	s_wait_alu 0xfffd
	v_add_co_ci_u32_e64 v1, null, s31, v1, vcc_lo
	s_delay_alu instid0(VALU_DEP_2) | instskip(SKIP_1) | instid1(VALU_DEP_2)
	v_add_co_u32 v0, vcc_lo, v0, s90
	s_wait_alu 0xfffd
	v_add_co_ci_u32_e64 v1, null, s91, v1, vcc_lo
	s_delay_alu instid0(VALU_DEP_2) | instskip(SKIP_1) | instid1(VALU_DEP_2)
	v_add_co_u32 v0, vcc_lo, v0, v36
	s_wait_alu 0xfffd
	v_add_co_ci_u32_e64 v1, null, v1, v37, vcc_lo
	v_cmp_ne_u32_e32 vcc_lo, 1, v87
	s_delay_alu instid0(VALU_DEP_3) | instskip(SKIP_1) | instid1(VALU_DEP_3)
	v_add_co_u32 v0, s0, v0, s92
	s_wait_alu 0xf1ff
	v_add_co_ci_u32_e64 v1, null, s93, v1, s0
	s_mov_b32 s0, -1
	s_cbranch_vccnz .LBB174_14
; %bb.13:                               ;   in Loop: Header=BB174_4 Depth=1
	s_lshl_b64 s[0:1], s[48:49], 3
	s_wait_alu 0xfffe
	v_add_co_u32 v2, vcc_lo, v0, s0
	s_wait_alu 0xfffd
	v_add_co_ci_u32_e64 v3, null, s1, v1, vcc_lo
	s_mov_b32 s0, 0
	v_add_co_u32 v4, vcc_lo, v2, s54
	s_wait_alu 0xfffd
	v_add_co_ci_u32_e64 v5, null, s55, v3, vcc_lo
	s_delay_alu instid0(VALU_DEP_2) | instskip(SKIP_1) | instid1(VALU_DEP_2)
	v_add_co_u32 v6, vcc_lo, v4, s54
	s_wait_alu 0xfffd
	v_add_co_ci_u32_e64 v7, null, s55, v5, vcc_lo
	s_clause 0x3
	flat_load_b64 v[8:9], v[0:1]
	flat_load_b64 v[2:3], v[2:3]
	;; [unrolled: 1-line block ×4, first 2 shown]
	s_wait_loadcnt_dscnt 0x303
	ds_store_b64 v101, v[8:9]
	s_wait_loadcnt_dscnt 0x203
	ds_store_b64 v101, v[2:3] offset:2112
	s_wait_loadcnt_dscnt 0x103
	ds_store_b64 v101, v[4:5] offset:4224
	s_wait_loadcnt_dscnt 0x3
	ds_store_b64 v101, v[6:7] offset:6336
.LBB174_14:                             ;   in Loop: Header=BB174_4 Depth=1
	s_wait_alu 0xfffe
	s_and_not1_b32 vcc_lo, exec_lo, s0
	s_wait_alu 0xfffe
	s_cbranch_vccnz .LBB174_24
; %bb.15:                               ;   in Loop: Header=BB174_4 Depth=1
	v_add_co_u32 v2, vcc_lo, v0, v38
	s_wait_alu 0xfffd
	v_add_co_ci_u32_e64 v3, null, v1, v39, vcc_lo
	s_lshl_b64 s[0:1], s[34:35], 3
	v_mov_b32_e32 v6, 0
	s_wait_alu 0xfffe
	v_add_co_u32 v2, vcc_lo, v2, s0
	s_wait_alu 0xfffd
	v_add_co_ci_u32_e64 v3, null, s1, v3, vcc_lo
	v_dual_mov_b32 v7, 0 :: v_dual_mov_b32 v4, 0
	s_delay_alu instid0(VALU_DEP_3) | instskip(SKIP_1) | instid1(VALU_DEP_3)
	v_add_co_u32 v2, vcc_lo, v2, -8
	s_wait_alu 0xfffd
	v_add_co_ci_u32_e64 v3, null, -1, v3, vcc_lo
	v_mov_b32_e32 v5, 0
	s_delay_alu instid0(VALU_DEP_3) | instskip(NEXT) | instid1(VALU_DEP_3)
	v_cndmask_b32_e64 v2, v2, v0, s3
	v_cndmask_b32_e64 v3, v3, v1, s3
	s_and_saveexec_b32 s0, s4
	s_cbranch_execz .LBB174_17
; %bb.16:                               ;   in Loop: Header=BB174_4 Depth=1
	flat_load_b64 v[4:5], v[2:3]
.LBB174_17:                             ;   in Loop: Header=BB174_4 Depth=1
	s_wait_alu 0xfffe
	s_or_b32 exec_lo, exec_lo, s0
	s_wait_loadcnt_dscnt 0x0
	ds_store_b64 v101, v[4:5]
	s_and_saveexec_b32 s0, s5
	s_cbranch_execz .LBB174_19
; %bb.18:                               ;   in Loop: Header=BB174_4 Depth=1
	s_lshl_b64 s[14:15], s[48:49], 3
	s_wait_alu 0xfffe
	v_add_co_u32 v4, vcc_lo, v2, s14
	s_wait_alu 0xfffd
	v_add_co_ci_u32_e64 v5, null, s15, v3, vcc_lo
	flat_load_b64 v[6:7], v[4:5]
.LBB174_19:                             ;   in Loop: Header=BB174_4 Depth=1
	s_wait_alu 0xfffe
	s_or_b32 exec_lo, exec_lo, s0
	v_mov_b32_e32 v4, 0
	v_dual_mov_b32 v5, 0 :: v_dual_mov_b32 v8, 0
	v_mov_b32_e32 v9, 0
	s_wait_loadcnt_dscnt 0x0
	ds_store_b64 v101, v[6:7] offset:2112
	s_and_saveexec_b32 s0, s6
	s_cbranch_execz .LBB174_21
; %bb.20:                               ;   in Loop: Header=BB174_4 Depth=1
	s_lshl_b64 s[14:15], s[50:51], 3
	s_wait_alu 0xfffe
	v_add_co_u32 v6, vcc_lo, v2, s14
	s_wait_alu 0xfffd
	v_add_co_ci_u32_e64 v7, null, s15, v3, vcc_lo
	flat_load_b64 v[8:9], v[6:7]
.LBB174_21:                             ;   in Loop: Header=BB174_4 Depth=1
	s_wait_alu 0xfffe
	s_or_b32 exec_lo, exec_lo, s0
	s_wait_loadcnt_dscnt 0x0
	ds_store_b64 v101, v[8:9] offset:4224
	s_and_saveexec_b32 s0, s7
	s_cbranch_execz .LBB174_23
; %bb.22:                               ;   in Loop: Header=BB174_4 Depth=1
	s_lshl_b64 s[14:15], s[52:53], 3
	s_wait_alu 0xfffe
	v_add_co_u32 v4, vcc_lo, v2, s14
	s_wait_alu 0xfffd
	v_add_co_ci_u32_e64 v5, null, s15, v3, vcc_lo
	flat_load_b64 v[4:5], v[4:5]
.LBB174_23:                             ;   in Loop: Header=BB174_4 Depth=1
	s_wait_alu 0xfffe
	s_or_b32 exec_lo, exec_lo, s0
	v_add_co_u32 v2, vcc_lo, v2, v106
	s_wait_alu 0xfffd
	v_add_co_ci_u32_e64 v3, null, 0, v3, vcc_lo
	s_lshl_b64 s[0:1], s[56:57], 3
	s_wait_loadcnt_dscnt 0x0
	ds_store_b64 v101, v[4:5] offset:6336
	s_wait_alu 0xfffe
	v_add_co_u32 v2, vcc_lo, v2, s0
	s_wait_alu 0xfffd
	v_add_co_ci_u32_e64 v3, null, s1, v3, vcc_lo
	s_delay_alu instid0(VALU_DEP_2) | instskip(SKIP_1) | instid1(VALU_DEP_2)
	v_add_co_u32 v2, vcc_lo, v2, 8
	s_wait_alu 0xfffd
	v_add_co_ci_u32_e64 v3, null, 0, v3, vcc_lo
	s_delay_alu instid0(VALU_DEP_2) | instskip(NEXT) | instid1(VALU_DEP_2)
	v_cndmask_b32_e64 v0, v2, v0, s3
	v_cndmask_b32_e64 v1, v3, v1, s3
.LBB174_24:                             ;   in Loop: Header=BB174_4 Depth=1
	s_wait_dscnt 0x0
	s_barrier_signal -1
	s_barrier_wait -1
	global_inv scope:SCOPE_SE
	s_and_saveexec_b32 s0, s8
	s_cbranch_execnz .LBB174_75
; %bb.25:                               ;   in Loop: Header=BB174_4 Depth=1
	s_wait_alu 0xfffe
	s_or_b32 exec_lo, exec_lo, s0
	s_and_saveexec_b32 s0, s9
	s_cbranch_execnz .LBB174_76
.LBB174_26:                             ;   in Loop: Header=BB174_4 Depth=1
	s_wait_alu 0xfffe
	s_or_b32 exec_lo, exec_lo, s0
	s_and_saveexec_b32 s0, s10
	s_cbranch_execnz .LBB174_77
.LBB174_27:                             ;   in Loop: Header=BB174_4 Depth=1
	s_wait_alu 0xfffe
	s_or_b32 exec_lo, exec_lo, s0
	s_and_saveexec_b32 s0, s11
	s_cbranch_execz .LBB174_29
.LBB174_28:                             ;   in Loop: Header=BB174_4 Depth=1
	ds_load_b64 v[2:3], v103 offset:528
	s_wait_dscnt 0x0
	ds_store_b64 v89, v[2:3] offset:24
.LBB174_29:                             ;   in Loop: Header=BB174_4 Depth=1
	s_wait_alu 0xfffe
	s_or_b32 exec_lo, exec_lo, s0
	s_wait_loadcnt_dscnt 0x0
	s_barrier_signal -1
	s_barrier_wait -1
	global_inv scope:SCOPE_SE
	ds_load_b64 v[10:11], v102
	ds_load_b128 v[2:5], v90
	ds_load_b128 v[6:9], v90 offset:16
	ds_load_b64 v[14:15], v103 offset:528
	v_mov_b32_e32 v48, 0
	v_mov_b32_e32 v49, 0
	s_wait_dscnt 0x2
	v_fma_f64 v[2:3], v[10:11], v[2:3], 0
	ds_load_2addr_b64 v[10:13], v103 offset1:33
	s_wait_loadcnt_dscnt 0x0
	s_barrier_signal -1
	s_barrier_wait -1
	global_inv scope:SCOPE_SE
	v_fma_f64 v[2:3], v[10:11], v[4:5], v[2:3]
	s_delay_alu instid0(VALU_DEP_1) | instskip(NEXT) | instid1(VALU_DEP_1)
	v_fma_f64 v[2:3], v[12:13], v[6:7], v[2:3]
	v_fma_f64 v[2:3], v[14:15], v[8:9], v[2:3]
	ds_store_b64 v91, v[2:3]
	s_wait_loadcnt_dscnt 0x0
	s_barrier_signal -1
	s_barrier_wait -1
	global_inv scope:SCOPE_SE
	s_and_saveexec_b32 s0, s12
	s_cbranch_execz .LBB174_31
; %bb.30:                               ;   in Loop: Header=BB174_4 Depth=1
	ds_load_2addr_b64 v[2:5], v88 offset1:1
	ds_load_2addr_b64 v[6:9], v88 offset0:2 offset1:3
	s_wait_dscnt 0x1
	v_add_f64_e32 v[2:3], v[2:3], v[4:5]
	s_wait_dscnt 0x0
	s_delay_alu instid0(VALU_DEP_1) | instskip(NEXT) | instid1(VALU_DEP_1)
	v_add_f64_e32 v[2:3], v[2:3], v[6:7]
	v_add_f64_e32 v[10:11], v[2:3], v[8:9]
	ds_load_2addr_b64 v[2:5], v88 offset0:4 offset1:5
	ds_load_2addr_b64 v[6:9], v88 offset0:6 offset1:7
	s_wait_dscnt 0x1
	v_add_f64_e32 v[2:3], v[10:11], v[2:3]
	s_delay_alu instid0(VALU_DEP_1) | instskip(SKIP_1) | instid1(VALU_DEP_1)
	v_add_f64_e32 v[2:3], v[2:3], v[4:5]
	s_wait_dscnt 0x0
	v_add_f64_e32 v[2:3], v[2:3], v[6:7]
	s_delay_alu instid0(VALU_DEP_1)
	v_add_f64_e32 v[48:49], v[2:3], v[8:9]
.LBB174_31:                             ;   in Loop: Header=BB174_4 Depth=1
	s_wait_alu 0xfffe
	s_or_b32 exec_lo, exec_lo, s0
	v_cmp_ne_u32_e32 vcc_lo, 1, v87
	v_add_co_u32 v0, s0, v0, s94
	s_wait_alu 0xf1ff
	v_add_co_ci_u32_e64 v1, null, s95, v1, s0
	s_and_b32 vcc_lo, exec_lo, vcc_lo
	s_mov_b32 s0, -1
	s_wait_loadcnt 0x0
	s_barrier_signal -1
	s_barrier_wait -1
	global_inv scope:SCOPE_SE
	s_wait_alu 0xfffe
	s_cbranch_vccnz .LBB174_33
; %bb.32:                               ;   in Loop: Header=BB174_4 Depth=1
	s_lshl_b64 s[0:1], s[48:49], 3
	s_wait_alu 0xfffe
	v_add_co_u32 v2, vcc_lo, v0, s0
	s_wait_alu 0xfffd
	v_add_co_ci_u32_e64 v3, null, s1, v1, vcc_lo
	s_mov_b32 s0, 0
	v_add_co_u32 v4, vcc_lo, v2, s54
	s_wait_alu 0xfffd
	v_add_co_ci_u32_e64 v5, null, s55, v3, vcc_lo
	s_delay_alu instid0(VALU_DEP_2) | instskip(SKIP_1) | instid1(VALU_DEP_2)
	v_add_co_u32 v6, vcc_lo, v4, s54
	s_wait_alu 0xfffd
	v_add_co_ci_u32_e64 v7, null, s55, v5, vcc_lo
	s_clause 0x3
	flat_load_b64 v[8:9], v[0:1] offset:256
	flat_load_b64 v[2:3], v[2:3] offset:256
	;; [unrolled: 1-line block ×4, first 2 shown]
	s_wait_loadcnt_dscnt 0x303
	ds_store_b64 v101, v[8:9]
	s_wait_loadcnt_dscnt 0x203
	ds_store_b64 v101, v[2:3] offset:2112
	s_wait_loadcnt_dscnt 0x103
	ds_store_b64 v101, v[4:5] offset:4224
	;; [unrolled: 2-line block ×3, first 2 shown]
.LBB174_33:                             ;   in Loop: Header=BB174_4 Depth=1
	v_add_co_u32 v8, vcc_lo, 0x100, v0
	s_wait_alu 0xfffd
	v_add_co_ci_u32_e64 v9, null, 0, v1, vcc_lo
	s_wait_alu 0xfffe
	s_and_not1_b32 vcc_lo, exec_lo, s0
	s_wait_alu 0xfffe
	s_cbranch_vccnz .LBB174_43
; %bb.34:                               ;   in Loop: Header=BB174_4 Depth=1
	v_add_co_u32 v0, vcc_lo, v0, v38
	s_wait_alu 0xfffd
	v_add_co_ci_u32_e64 v1, null, v1, v39, vcc_lo
	s_lshl_b64 s[0:1], s[34:35], 3
	v_mov_b32_e32 v4, 0
	s_wait_alu 0xfffe
	v_add_co_u32 v0, vcc_lo, v0, s0
	s_wait_alu 0xfffd
	v_add_co_ci_u32_e64 v1, null, s1, v1, vcc_lo
	v_dual_mov_b32 v5, 0 :: v_dual_mov_b32 v2, 0
	s_delay_alu instid0(VALU_DEP_3) | instskip(SKIP_1) | instid1(VALU_DEP_3)
	v_add_co_u32 v0, vcc_lo, v0, -8
	s_wait_alu 0xfffd
	v_add_co_ci_u32_e64 v1, null, -1, v1, vcc_lo
	v_mov_b32_e32 v3, 0
	s_delay_alu instid0(VALU_DEP_3) | instskip(NEXT) | instid1(VALU_DEP_3)
	v_cndmask_b32_e64 v0, v0, v8, s13
	v_cndmask_b32_e64 v1, v1, v9, s13
	s_mov_b32 s0, exec_lo
	v_readlane_b32 s1, v127, 1
	s_wait_alu 0xfffe
	s_and_b32 s1, s0, s1
	s_wait_alu 0xfffe
	s_mov_b32 exec_lo, s1
	s_cbranch_execz .LBB174_36
; %bb.35:                               ;   in Loop: Header=BB174_4 Depth=1
	flat_load_b64 v[2:3], v[0:1]
.LBB174_36:                             ;   in Loop: Header=BB174_4 Depth=1
	s_or_b32 exec_lo, exec_lo, s0
	s_wait_loadcnt_dscnt 0x0
	ds_store_b64 v101, v[2:3]
	s_mov_b32 s0, exec_lo
	v_readlane_b32 s1, v127, 2
	s_wait_alu 0xfffe
	s_and_b32 s1, s0, s1
	s_wait_alu 0xfffe
	s_mov_b32 exec_lo, s1
	s_cbranch_execz .LBB174_38
; %bb.37:                               ;   in Loop: Header=BB174_4 Depth=1
	s_lshl_b64 s[14:15], s[48:49], 3
	s_wait_alu 0xfffe
	v_add_co_u32 v2, vcc_lo, v0, s14
	s_wait_alu 0xfffd
	v_add_co_ci_u32_e64 v3, null, s15, v1, vcc_lo
	flat_load_b64 v[4:5], v[2:3]
.LBB174_38:                             ;   in Loop: Header=BB174_4 Depth=1
	s_or_b32 exec_lo, exec_lo, s0
	v_mov_b32_e32 v2, 0
	v_dual_mov_b32 v3, 0 :: v_dual_mov_b32 v6, 0
	v_mov_b32_e32 v7, 0
	s_wait_loadcnt_dscnt 0x0
	ds_store_b64 v101, v[4:5] offset:2112
	s_mov_b32 s0, exec_lo
	v_readlane_b32 s1, v127, 3
	s_wait_alu 0xfffe
	s_and_b32 s1, s0, s1
	s_wait_alu 0xfffe
	s_mov_b32 exec_lo, s1
	s_cbranch_execz .LBB174_40
; %bb.39:                               ;   in Loop: Header=BB174_4 Depth=1
	s_lshl_b64 s[14:15], s[50:51], 3
	s_wait_alu 0xfffe
	v_add_co_u32 v4, vcc_lo, v0, s14
	s_wait_alu 0xfffd
	v_add_co_ci_u32_e64 v5, null, s15, v1, vcc_lo
	flat_load_b64 v[6:7], v[4:5]
.LBB174_40:                             ;   in Loop: Header=BB174_4 Depth=1
	s_or_b32 exec_lo, exec_lo, s0
	s_wait_loadcnt_dscnt 0x0
	ds_store_b64 v101, v[6:7] offset:4224
	s_mov_b32 s0, exec_lo
	v_readlane_b32 s1, v127, 4
	s_wait_alu 0xfffe
	s_and_b32 s1, s0, s1
	s_wait_alu 0xfffe
	s_mov_b32 exec_lo, s1
	s_cbranch_execz .LBB174_42
; %bb.41:                               ;   in Loop: Header=BB174_4 Depth=1
	s_lshl_b64 s[14:15], s[52:53], 3
	s_wait_alu 0xfffe
	v_add_co_u32 v2, vcc_lo, v0, s14
	s_wait_alu 0xfffd
	v_add_co_ci_u32_e64 v3, null, s15, v1, vcc_lo
	flat_load_b64 v[2:3], v[2:3]
.LBB174_42:                             ;   in Loop: Header=BB174_4 Depth=1
	s_or_b32 exec_lo, exec_lo, s0
	v_add_co_u32 v0, vcc_lo, v0, v106
	s_wait_alu 0xfffd
	v_add_co_ci_u32_e64 v1, null, 0, v1, vcc_lo
	s_lshl_b64 s[0:1], s[56:57], 3
	s_wait_loadcnt_dscnt 0x0
	ds_store_b64 v101, v[2:3] offset:6336
	s_wait_alu 0xfffe
	v_add_co_u32 v0, vcc_lo, v0, s0
	s_wait_alu 0xfffd
	v_add_co_ci_u32_e64 v1, null, s1, v1, vcc_lo
	s_delay_alu instid0(VALU_DEP_2) | instskip(SKIP_1) | instid1(VALU_DEP_2)
	v_add_co_u32 v0, vcc_lo, 0x108, v0
	s_wait_alu 0xfffd
	v_add_co_ci_u32_e64 v1, null, 0, v1, vcc_lo
	s_delay_alu instid0(VALU_DEP_2) | instskip(NEXT) | instid1(VALU_DEP_2)
	v_cndmask_b32_e64 v8, v0, v8, s13
	v_cndmask_b32_e64 v9, v1, v9, s13
.LBB174_43:                             ;   in Loop: Header=BB174_4 Depth=1
	s_wait_loadcnt_dscnt 0x0
	s_barrier_signal -1
	s_barrier_wait -1
	global_inv scope:SCOPE_SE
	s_and_saveexec_b32 s0, s8
	s_cbranch_execnz .LBB174_78
; %bb.44:                               ;   in Loop: Header=BB174_4 Depth=1
	s_wait_alu 0xfffe
	s_or_b32 exec_lo, exec_lo, s0
	s_and_saveexec_b32 s0, s9
	s_cbranch_execnz .LBB174_79
.LBB174_45:                             ;   in Loop: Header=BB174_4 Depth=1
	s_wait_alu 0xfffe
	s_or_b32 exec_lo, exec_lo, s0
	s_and_saveexec_b32 s0, s10
	s_cbranch_execnz .LBB174_80
.LBB174_46:                             ;   in Loop: Header=BB174_4 Depth=1
	s_wait_alu 0xfffe
	s_or_b32 exec_lo, exec_lo, s0
	s_and_saveexec_b32 s0, s11
	s_cbranch_execz .LBB174_48
.LBB174_47:                             ;   in Loop: Header=BB174_4 Depth=1
	ds_load_b64 v[0:1], v103 offset:528
	s_wait_dscnt 0x0
	ds_store_b64 v89, v[0:1] offset:24
.LBB174_48:                             ;   in Loop: Header=BB174_4 Depth=1
	s_wait_alu 0xfffe
	s_or_b32 exec_lo, exec_lo, s0
	s_wait_loadcnt_dscnt 0x0
	s_barrier_signal -1
	s_barrier_wait -1
	global_inv scope:SCOPE_SE
	ds_load_b64 v[10:11], v102
	ds_load_b128 v[0:3], v90 offset:256
	ds_load_b128 v[4:7], v90 offset:272
	ds_load_b64 v[14:15], v103 offset:528
	s_wait_dscnt 0x2
	v_fma_f64 v[0:1], v[10:11], v[0:1], 0
	ds_load_2addr_b64 v[10:13], v103 offset1:33
	s_wait_loadcnt_dscnt 0x0
	s_barrier_signal -1
	s_barrier_wait -1
	global_inv scope:SCOPE_SE
	v_fma_f64 v[0:1], v[10:11], v[2:3], v[0:1]
	s_delay_alu instid0(VALU_DEP_1) | instskip(NEXT) | instid1(VALU_DEP_1)
	v_fma_f64 v[0:1], v[12:13], v[4:5], v[0:1]
	v_fma_f64 v[0:1], v[14:15], v[6:7], v[0:1]
	ds_store_b64 v91, v[0:1]
	s_wait_loadcnt_dscnt 0x0
	s_barrier_signal -1
	s_barrier_wait -1
	global_inv scope:SCOPE_SE
	s_and_saveexec_b32 s0, s18
	s_cbranch_execz .LBB174_50
; %bb.49:                               ;   in Loop: Header=BB174_4 Depth=1
	ds_load_2addr_b64 v[0:3], v88 offset1:1
	ds_load_2addr_b64 v[4:7], v88 offset0:2 offset1:3
	s_wait_dscnt 0x1
	v_add_f64_e32 v[0:1], v[0:1], v[2:3]
	s_wait_dscnt 0x0
	s_delay_alu instid0(VALU_DEP_1) | instskip(NEXT) | instid1(VALU_DEP_1)
	v_add_f64_e32 v[0:1], v[0:1], v[4:5]
	v_add_f64_e32 v[10:11], v[0:1], v[6:7]
	ds_load_2addr_b64 v[0:3], v88 offset0:4 offset1:5
	ds_load_2addr_b64 v[4:7], v88 offset0:6 offset1:7
	s_wait_dscnt 0x1
	v_add_f64_e32 v[0:1], v[10:11], v[0:1]
	s_delay_alu instid0(VALU_DEP_1) | instskip(SKIP_1) | instid1(VALU_DEP_1)
	v_add_f64_e32 v[0:1], v[0:1], v[2:3]
	s_wait_dscnt 0x0
	v_add_f64_e32 v[0:1], v[0:1], v[4:5]
	s_delay_alu instid0(VALU_DEP_1)
	v_add_f64_e32 v[48:49], v[0:1], v[6:7]
.LBB174_50:                             ;   in Loop: Header=BB174_4 Depth=1
	s_wait_alu 0xfffe
	s_or_b32 exec_lo, exec_lo, s0
	v_cmp_ne_u32_e32 vcc_lo, 1, v87
	v_add_co_u32 v18, s0, v8, s96
	s_wait_alu 0xf1ff
	v_add_co_ci_u32_e64 v19, null, s97, v9, s0
	s_and_b32 vcc_lo, exec_lo, vcc_lo
	s_mov_b32 s0, -1
	s_wait_loadcnt 0x0
	s_barrier_signal -1
	s_barrier_wait -1
	global_inv scope:SCOPE_SE
	s_wait_alu 0xfffe
	s_cbranch_vccnz .LBB174_52
; %bb.51:                               ;   in Loop: Header=BB174_4 Depth=1
	s_lshl_b64 s[0:1], s[48:49], 3
	s_wait_alu 0xfffe
	v_add_co_u32 v0, vcc_lo, v18, s0
	s_wait_alu 0xfffd
	v_add_co_ci_u32_e64 v1, null, s1, v19, vcc_lo
	s_mov_b32 s0, 0
	v_add_co_u32 v2, vcc_lo, v0, s54
	s_wait_alu 0xfffd
	v_add_co_ci_u32_e64 v3, null, s55, v1, vcc_lo
	s_delay_alu instid0(VALU_DEP_2) | instskip(SKIP_1) | instid1(VALU_DEP_2)
	v_add_co_u32 v4, vcc_lo, v2, s54
	s_wait_alu 0xfffd
	v_add_co_ci_u32_e64 v5, null, s55, v3, vcc_lo
	s_clause 0x3
	flat_load_b64 v[6:7], v[18:19]
	flat_load_b64 v[0:1], v[0:1]
	;; [unrolled: 1-line block ×4, first 2 shown]
	s_wait_loadcnt_dscnt 0x303
	ds_store_b64 v101, v[6:7]
	s_wait_loadcnt_dscnt 0x203
	ds_store_b64 v101, v[0:1] offset:2112
	s_wait_loadcnt_dscnt 0x103
	ds_store_b64 v101, v[2:3] offset:4224
	;; [unrolled: 2-line block ×3, first 2 shown]
.LBB174_52:                             ;   in Loop: Header=BB174_4 Depth=1
	s_wait_alu 0xfffe
	s_and_not1_b32 vcc_lo, exec_lo, s0
	s_wait_alu 0xfffe
	s_cbranch_vccnz .LBB174_62
; %bb.53:                               ;   in Loop: Header=BB174_4 Depth=1
	v_add_co_u32 v0, vcc_lo, v18, v38
	s_wait_alu 0xfffd
	v_add_co_ci_u32_e64 v1, null, v19, v39, vcc_lo
	s_lshl_b64 s[0:1], s[34:35], 3
	v_mov_b32_e32 v4, 0
	s_wait_alu 0xfffe
	v_add_co_u32 v0, vcc_lo, v0, s0
	s_wait_alu 0xfffd
	v_add_co_ci_u32_e64 v1, null, s1, v1, vcc_lo
	v_dual_mov_b32 v5, 0 :: v_dual_mov_b32 v2, 0
	s_delay_alu instid0(VALU_DEP_3) | instskip(SKIP_1) | instid1(VALU_DEP_3)
	v_add_co_u32 v0, vcc_lo, 0xfffffef8, v0
	s_wait_alu 0xfffd
	v_add_co_ci_u32_e64 v1, null, -1, v1, vcc_lo
	v_mov_b32_e32 v3, 0
	s_delay_alu instid0(VALU_DEP_3) | instskip(NEXT) | instid1(VALU_DEP_3)
	v_cndmask_b32_e64 v0, v0, v18, s13
	v_cndmask_b32_e64 v1, v1, v19, s13
	s_and_saveexec_b32 s0, s4
	s_cbranch_execz .LBB174_55
; %bb.54:                               ;   in Loop: Header=BB174_4 Depth=1
	flat_load_b64 v[2:3], v[0:1]
.LBB174_55:                             ;   in Loop: Header=BB174_4 Depth=1
	s_wait_alu 0xfffe
	s_or_b32 exec_lo, exec_lo, s0
	s_wait_loadcnt_dscnt 0x0
	ds_store_b64 v101, v[2:3]
	s_and_saveexec_b32 s0, s5
	s_cbranch_execz .LBB174_57
; %bb.56:                               ;   in Loop: Header=BB174_4 Depth=1
	s_lshl_b64 s[14:15], s[48:49], 3
	s_wait_alu 0xfffe
	v_add_co_u32 v2, vcc_lo, v0, s14
	s_wait_alu 0xfffd
	v_add_co_ci_u32_e64 v3, null, s15, v1, vcc_lo
	flat_load_b64 v[4:5], v[2:3]
.LBB174_57:                             ;   in Loop: Header=BB174_4 Depth=1
	s_wait_alu 0xfffe
	s_or_b32 exec_lo, exec_lo, s0
	v_mov_b32_e32 v2, 0
	v_dual_mov_b32 v3, 0 :: v_dual_mov_b32 v6, 0
	v_mov_b32_e32 v7, 0
	s_wait_loadcnt_dscnt 0x0
	ds_store_b64 v101, v[4:5] offset:2112
	s_and_saveexec_b32 s0, s6
	s_cbranch_execz .LBB174_59
; %bb.58:                               ;   in Loop: Header=BB174_4 Depth=1
	s_lshl_b64 s[14:15], s[50:51], 3
	s_wait_alu 0xfffe
	v_add_co_u32 v4, vcc_lo, v0, s14
	s_wait_alu 0xfffd
	v_add_co_ci_u32_e64 v5, null, s15, v1, vcc_lo
	flat_load_b64 v[6:7], v[4:5]
.LBB174_59:                             ;   in Loop: Header=BB174_4 Depth=1
	s_wait_alu 0xfffe
	s_or_b32 exec_lo, exec_lo, s0
	s_wait_loadcnt_dscnt 0x0
	ds_store_b64 v101, v[6:7] offset:4224
	s_and_saveexec_b32 s0, s7
	s_cbranch_execz .LBB174_61
; %bb.60:                               ;   in Loop: Header=BB174_4 Depth=1
	s_lshl_b64 s[14:15], s[52:53], 3
	s_wait_alu 0xfffe
	v_add_co_u32 v2, vcc_lo, v0, s14
	s_wait_alu 0xfffd
	v_add_co_ci_u32_e64 v3, null, s15, v1, vcc_lo
	flat_load_b64 v[2:3], v[2:3]
.LBB174_61:                             ;   in Loop: Header=BB174_4 Depth=1
	s_wait_alu 0xfffe
	s_or_b32 exec_lo, exec_lo, s0
	v_add_co_u32 v0, vcc_lo, v0, v106
	s_wait_alu 0xfffd
	v_add_co_ci_u32_e64 v1, null, 0, v1, vcc_lo
	s_lshl_b64 s[0:1], s[56:57], 3
	s_wait_loadcnt_dscnt 0x0
	ds_store_b64 v101, v[2:3] offset:6336
	s_wait_alu 0xfffe
	v_add_co_u32 v0, vcc_lo, v0, s0
	s_wait_alu 0xfffd
	v_add_co_ci_u32_e64 v1, null, s1, v1, vcc_lo
	s_delay_alu instid0(VALU_DEP_2) | instskip(SKIP_1) | instid1(VALU_DEP_2)
	v_add_co_u32 v0, vcc_lo, 0x108, v0
	s_wait_alu 0xfffd
	v_add_co_ci_u32_e64 v1, null, 0, v1, vcc_lo
	s_delay_alu instid0(VALU_DEP_2) | instskip(NEXT) | instid1(VALU_DEP_2)
	v_cndmask_b32_e64 v18, v0, v18, s13
	v_cndmask_b32_e64 v19, v1, v19, s13
.LBB174_62:                             ;   in Loop: Header=BB174_4 Depth=1
	s_wait_loadcnt_dscnt 0x0
	s_barrier_signal -1
	s_barrier_wait -1
	global_inv scope:SCOPE_SE
	ds_load_b64 v[0:1], v101
	ds_load_b64 v[2:3], v104
	ds_load_b64 v[4:5], v101 offset:6336
	ds_load_b64 v[6:7], v101 offset:2112
	;; [unrolled: 1-line block ×4, first 2 shown]
	s_wait_dscnt 0x4
	v_fma_f64 v[12:13], v[0:1], v[2:3], 0
	ds_load_2addr_b64 v[0:3], v100 offset0:8 offset1:16
	s_wait_dscnt 0x0
	v_fma_f64 v[0:1], v[6:7], v[0:1], v[12:13]
	s_delay_alu instid0(VALU_DEP_1) | instskip(NEXT) | instid1(VALU_DEP_1)
	v_fma_f64 v[0:1], v[8:9], v[2:3], v[0:1]
	v_fma_f64 v[20:21], v[4:5], v[10:11], v[0:1]
	ds_load_b128 v[8:11], v90 offset:256
	ds_load_b128 v[0:3], v90 offset:272
	ds_load_2addr_b64 v[12:15], v92 offset1:1
	ds_load_2addr_b64 v[4:7], v92 offset0:2 offset1:3
	s_wait_loadcnt_dscnt 0x0
	s_barrier_signal -1
	s_barrier_wait -1
	global_inv scope:SCOPE_SE
	ds_store_b64 v91, v[20:21]
	s_wait_loadcnt_dscnt 0x0
	s_barrier_signal -1
	s_barrier_wait -1
	global_inv scope:SCOPE_SE
	s_and_saveexec_b32 s0, s18
	s_cbranch_execz .LBB174_64
; %bb.63:                               ;   in Loop: Header=BB174_4 Depth=1
	ds_load_2addr_b64 v[20:23], v88 offset1:1
	ds_load_2addr_b64 v[24:27], v88 offset0:2 offset1:3
	s_wait_dscnt 0x1
	v_add_f64_e32 v[20:21], v[48:49], v[20:21]
	s_delay_alu instid0(VALU_DEP_1) | instskip(SKIP_1) | instid1(VALU_DEP_1)
	v_add_f64_e32 v[20:21], v[20:21], v[22:23]
	s_wait_dscnt 0x0
	v_add_f64_e32 v[20:21], v[20:21], v[24:25]
	s_delay_alu instid0(VALU_DEP_1) | instskip(SKIP_4) | instid1(VALU_DEP_1)
	v_add_f64_e32 v[28:29], v[20:21], v[26:27]
	ds_load_2addr_b64 v[20:23], v88 offset0:4 offset1:5
	ds_load_2addr_b64 v[24:27], v88 offset0:6 offset1:7
	s_wait_dscnt 0x1
	v_add_f64_e32 v[20:21], v[28:29], v[20:21]
	v_add_f64_e32 v[20:21], v[20:21], v[22:23]
	s_wait_dscnt 0x0
	s_delay_alu instid0(VALU_DEP_1) | instskip(NEXT) | instid1(VALU_DEP_1)
	v_add_f64_e32 v[20:21], v[20:21], v[24:25]
	v_add_f64_e32 v[48:49], v[20:21], v[26:27]
.LBB174_64:                             ;   in Loop: Header=BB174_4 Depth=1
	s_wait_alu 0xfffe
	s_or_b32 exec_lo, exec_lo, s0
	v_fma_f64 v[8:9], v[12:13], v[8:9], 0
	s_wait_loadcnt 0x0
	s_barrier_signal -1
	s_barrier_wait -1
	global_inv scope:SCOPE_SE
	v_fma_f64 v[8:9], v[14:15], v[10:11], v[8:9]
	s_delay_alu instid0(VALU_DEP_1) | instskip(NEXT) | instid1(VALU_DEP_1)
	v_fma_f64 v[0:1], v[4:5], v[0:1], v[8:9]
	v_fma_f64 v[0:1], v[6:7], v[2:3], v[0:1]
	ds_store_b64 v91, v[0:1]
	s_wait_loadcnt_dscnt 0x0
	s_barrier_signal -1
	s_barrier_wait -1
	global_inv scope:SCOPE_SE
	s_and_saveexec_b32 s0, s12
	s_cbranch_execz .LBB174_66
; %bb.65:                               ;   in Loop: Header=BB174_4 Depth=1
	ds_load_2addr_b64 v[0:3], v88 offset1:1
	ds_load_2addr_b64 v[4:7], v88 offset0:2 offset1:3
	s_wait_dscnt 0x1
	v_add_f64_e32 v[0:1], v[48:49], v[0:1]
	s_delay_alu instid0(VALU_DEP_1) | instskip(SKIP_1) | instid1(VALU_DEP_1)
	v_add_f64_e32 v[0:1], v[0:1], v[2:3]
	s_wait_dscnt 0x0
	v_add_f64_e32 v[0:1], v[0:1], v[4:5]
	s_delay_alu instid0(VALU_DEP_1) | instskip(SKIP_4) | instid1(VALU_DEP_1)
	v_add_f64_e32 v[8:9], v[0:1], v[6:7]
	ds_load_2addr_b64 v[0:3], v88 offset0:4 offset1:5
	ds_load_2addr_b64 v[4:7], v88 offset0:6 offset1:7
	s_wait_dscnt 0x1
	v_add_f64_e32 v[0:1], v[8:9], v[0:1]
	v_add_f64_e32 v[0:1], v[0:1], v[2:3]
	s_wait_dscnt 0x0
	s_delay_alu instid0(VALU_DEP_1) | instskip(NEXT) | instid1(VALU_DEP_1)
	v_add_f64_e32 v[0:1], v[0:1], v[4:5]
	v_add_f64_e32 v[48:49], v[0:1], v[6:7]
.LBB174_66:                             ;   in Loop: Header=BB174_4 Depth=1
	s_wait_alu 0xfffe
	s_or_b32 exec_lo, exec_lo, s0
	s_mul_u64 s[0:1], s[44:45], s[22:23]
	s_and_not1_b32 vcc_lo, exec_lo, s104
	s_wait_alu 0xfffe
	s_lshl_b64 s[0:1], s[0:1], 3
	s_wait_loadcnt 0x0
	s_wait_alu 0xfffe
	s_add_nc_u64 s[0:1], s[46:47], s[0:1]
	s_barrier_signal -1
	s_barrier_wait -1
	global_inv scope:SCOPE_SE
	s_cbranch_vccnz .LBB174_73
; %bb.67:                               ;   in Loop: Header=BB174_4 Depth=1
	v_add_co_u32 v0, vcc_lo, v18, s100
	s_wait_alu 0xfffd
	v_add_co_ci_u32_e64 v1, null, s101, v19, vcc_lo
	s_lshl_b64 s[102:103], s[34:35], 3
	v_add_co_u32 v0, vcc_lo, v0, v40
	s_wait_alu 0xfffd
	v_add_co_ci_u32_e64 v1, null, v1, v41, vcc_lo
	v_mov_b32_e32 v32, v84
	s_delay_alu instid0(VALU_DEP_3) | instskip(SKIP_1) | instid1(VALU_DEP_3)
	v_add_co_u32 v0, vcc_lo, v0, v42
	s_wait_alu 0xfffd
	v_add_co_ci_u32_e64 v1, null, v1, v43, vcc_lo
	s_wait_alu 0xfffe
	s_mov_b32 s14, ttmp9
	v_add_co_u32 v2, vcc_lo, v0, v44
	s_wait_alu 0xfffd
	v_add_co_ci_u32_e64 v3, null, v1, v45, vcc_lo
	s_delay_alu instid0(VALU_DEP_2) | instskip(SKIP_1) | instid1(VALU_DEP_2)
	v_add_co_u32 v2, vcc_lo, v2, s102
	s_wait_alu 0xfffd
	v_add_co_ci_u32_e64 v3, null, s103, v3, vcc_lo
	v_add_co_u32 v0, vcc_lo, 0xffffff00, v0
	s_wait_alu 0xfffd
	v_add_co_ci_u32_e64 v1, null, -1, v1, vcc_lo
	v_add_co_u32 v2, vcc_lo, 0xfffffef8, v2
	s_wait_alu 0xfffd
	v_add_co_ci_u32_e64 v3, null, -1, v3, vcc_lo
	v_add_co_u32 v107, vcc_lo, v16, s98
	s_wait_alu 0xfffd
	v_add_co_ci_u32_e64 v108, null, s99, v17, vcc_lo
	s_delay_alu instid0(VALU_DEP_3)
	v_cndmask_b32_e64 v51, v1, v3, s19
	v_cndmask_b32_e64 v50, v0, v2, s19
	s_mov_b32 s102, 0
	s_branch .LBB174_69
.LBB174_68:                             ;   in Loop: Header=BB174_69 Depth=2
	s_wait_alu 0xfffe
	s_or_b32 exec_lo, exec_lo, s103
	v_fma_f64 v[0:1], v[52:53], v[0:1], v[48:49]
	v_add_co_u32 v50, vcc_lo, v50, s62
	s_wait_alu 0xfffd
	v_add_co_ci_u32_e64 v51, null, s63, v51, vcc_lo
	v_add_nc_u32_e32 v32, 64, v32
	s_add_co_i32 s14, s14, -1
	s_add_co_i32 s102, s102, vcc_hi
	s_wait_alu 0xfffe
	s_cmp_eq_u32 s14, 0
	s_wait_loadcnt 0x0
	s_wait_storecnt 0x0
	s_barrier_signal -1
	s_barrier_wait -1
	global_inv scope:SCOPE_SE
	v_fma_f64 v[0:1], v[54:55], v[2:3], v[0:1]
	s_delay_alu instid0(VALU_DEP_1) | instskip(NEXT) | instid1(VALU_DEP_1)
	v_fma_f64 v[0:1], v[56:57], v[4:5], v[0:1]
	v_fma_f64 v[0:1], v[58:59], v[6:7], v[0:1]
	s_delay_alu instid0(VALU_DEP_1) | instskip(NEXT) | instid1(VALU_DEP_1)
	v_fma_f64 v[0:1], v[60:61], v[8:9], v[0:1]
	;; [unrolled: 3-line block ×7, first 2 shown]
	v_fma_f64 v[48:49], v[82:83], v[30:31], v[0:1]
	s_cbranch_scc1 .LBB174_73
.LBB174_69:                             ;   Parent Loop BB174_4 Depth=1
                                        ; =>  This Inner Loop Header: Depth=2
	s_and_saveexec_b32 s15, s2
	s_cbranch_execz .LBB174_71
; %bb.70:                               ;   in Loop: Header=BB174_69 Depth=2
	s_wait_alu 0xfffe
	s_ashr_i32 s103, s102, 31
	s_wait_alu 0xfffe
	s_lshl_b64 s[16:17], s[102:103], 3
	s_wait_alu 0xfffe
	v_add_co_u32 v0, vcc_lo, v107, s16
	s_wait_alu 0xfffd
	v_add_co_ci_u32_e64 v1, null, s17, v108, vcc_lo
	flat_load_b64 v[0:1], v[0:1]
	s_wait_loadcnt_dscnt 0x0
	ds_store_b64 v93, v[0:1]
.LBB174_71:                             ;   in Loop: Header=BB174_69 Depth=2
	s_wait_alu 0xfffe
	s_or_b32 exec_lo, exec_lo, s15
	v_add_co_u32 v0, vcc_lo, v50, s58
	s_wait_alu 0xfffd
	v_add_co_ci_u32_e64 v1, null, s59, v51, vcc_lo
	s_wait_loadcnt_dscnt 0x0
	s_barrier_signal -1
	s_barrier_wait -1
	global_inv scope:SCOPE_SE
	s_clause 0x1
	flat_load_b64 v[52:53], v[50:51]
	flat_load_b64 v[54:55], v[0:1]
	v_add_co_u32 v0, vcc_lo, v50, s60
	s_wait_alu 0xfffd
	v_add_co_ci_u32_e64 v1, null, s61, v51, vcc_lo
	v_add_co_u32 v2, vcc_lo, v50, s64
	s_wait_alu 0xfffd
	v_add_co_ci_u32_e64 v3, null, s65, v51, vcc_lo
	s_clause 0x1
	flat_load_b64 v[56:57], v[0:1]
	flat_load_b64 v[58:59], v[2:3]
	ds_load_b64 v[4:5], v86
	ds_load_b128 v[0:3], v94
	s_wait_loadcnt_dscnt 0x301
	v_mul_f64_e32 v[6:7], v[52:53], v[4:5]
	s_wait_loadcnt 0x2
	v_mul_f64_e32 v[8:9], v[54:55], v[4:5]
	ds_store_2addr_b64 v95, v[6:7], v[8:9] offset1:67
	s_wait_loadcnt 0x1
	v_mul_f64_e32 v[6:7], v[56:57], v[4:5]
	s_wait_loadcnt 0x0
	v_mul_f64_e32 v[4:5], v[58:59], v[4:5]
	ds_store_2addr_b64 v95, v[6:7], v[4:5] offset0:134 offset1:201
	ds_load_b128 v[4:7], v94 offset:16
	s_wait_dscnt 0x0
	s_barrier_signal -1
	s_barrier_wait -1
	global_inv scope:SCOPE_SE
	ds_load_2addr_b64 v[8:11], v96 offset1:1
	ds_load_2addr_b64 v[16:19], v96 offset0:2 offset1:3
	s_wait_loadcnt_dscnt 0x0
	s_barrier_signal -1
	s_barrier_wait -1
	global_inv scope:SCOPE_SE
	v_add_f64_e32 v[8:9], 0, v[8:9]
	s_delay_alu instid0(VALU_DEP_1)
	v_add_f64_e32 v[28:29], v[8:9], v[10:11]
	v_add_co_u32 v8, vcc_lo, v50, s66
	s_wait_alu 0xfffd
	v_add_co_ci_u32_e64 v9, null, s67, v51, vcc_lo
	v_add_co_u32 v10, vcc_lo, v50, s88
	s_wait_alu 0xfffd
	v_add_co_ci_u32_e64 v11, null, s89, v51, vcc_lo
	s_clause 0x1
	flat_load_b64 v[60:61], v[8:9]
	flat_load_b64 v[62:63], v[10:11]
	v_add_co_u32 v8, vcc_lo, v50, s68
	s_wait_alu 0xfffd
	v_add_co_ci_u32_e64 v9, null, s69, v51, vcc_lo
	v_add_co_u32 v10, vcc_lo, v50, s70
	s_wait_alu 0xfffd
	v_add_co_ci_u32_e64 v11, null, s71, v51, vcc_lo
	s_clause 0x1
	flat_load_b64 v[64:65], v[8:9]
	flat_load_b64 v[66:67], v[10:11]
	ds_load_b64 v[12:13], v86
	ds_load_b128 v[8:11], v94 offset:128
	v_add_f64_e32 v[16:17], v[28:29], v[16:17]
	s_delay_alu instid0(VALU_DEP_1)
	v_add_f64_e32 v[121:122], v[16:17], v[18:19]
	s_wait_loadcnt_dscnt 0x301
	v_mul_f64_e32 v[14:15], v[60:61], v[12:13]
	s_wait_loadcnt 0x2
	v_mul_f64_e32 v[20:21], v[62:63], v[12:13]
	ds_store_2addr_b64 v95, v[14:15], v[20:21] offset1:67
	s_wait_loadcnt 0x1
	v_mul_f64_e32 v[14:15], v[64:65], v[12:13]
	s_wait_loadcnt 0x0
	v_mul_f64_e32 v[12:13], v[66:67], v[12:13]
	ds_store_2addr_b64 v95, v[14:15], v[12:13] offset0:134 offset1:201
	ds_load_b128 v[12:15], v94 offset:144
	s_wait_dscnt 0x0
	s_barrier_signal -1
	s_barrier_wait -1
	global_inv scope:SCOPE_SE
	ds_load_2addr_b64 v[20:23], v96 offset1:1
	ds_load_2addr_b64 v[24:27], v96 offset0:2 offset1:3
	s_wait_loadcnt_dscnt 0x0
	s_barrier_signal -1
	s_barrier_wait -1
	global_inv scope:SCOPE_SE
	v_add_f64_e32 v[20:21], 0, v[20:21]
	s_delay_alu instid0(VALU_DEP_1) | instskip(NEXT) | instid1(VALU_DEP_1)
	v_add_f64_e32 v[20:21], v[20:21], v[22:23]
	v_add_f64_e32 v[16:17], v[20:21], v[24:25]
	s_delay_alu instid0(VALU_DEP_1)
	v_add_f64_e32 v[123:124], v[16:17], v[26:27]
	v_add_co_u32 v16, vcc_lo, v50, s72
	s_wait_alu 0xfffd
	v_add_co_ci_u32_e64 v17, null, s73, v51, vcc_lo
	v_add_co_u32 v18, vcc_lo, v50, s86
	s_wait_alu 0xfffd
	v_add_co_ci_u32_e64 v19, null, s87, v51, vcc_lo
	s_clause 0x1
	flat_load_b64 v[68:69], v[16:17]
	flat_load_b64 v[70:71], v[18:19]
	v_add_co_u32 v16, vcc_lo, v50, s74
	s_wait_alu 0xfffd
	v_add_co_ci_u32_e64 v17, null, s75, v51, vcc_lo
	v_add_co_u32 v18, vcc_lo, v50, s76
	s_wait_alu 0xfffd
	v_add_co_ci_u32_e64 v19, null, s77, v51, vcc_lo
	s_clause 0x1
	flat_load_b64 v[72:73], v[16:17]
	flat_load_b64 v[74:75], v[18:19]
	ds_load_b64 v[20:21], v86
	ds_load_b128 v[16:19], v94 offset:256
	s_wait_loadcnt_dscnt 0x301
	v_mul_f64_e32 v[22:23], v[68:69], v[20:21]
	s_wait_loadcnt 0x2
	v_mul_f64_e32 v[24:25], v[70:71], v[20:21]
	ds_store_2addr_b64 v95, v[22:23], v[24:25] offset1:67
	s_wait_loadcnt 0x1
	v_mul_f64_e32 v[22:23], v[72:73], v[20:21]
	s_wait_loadcnt 0x0
	v_mul_f64_e32 v[20:21], v[74:75], v[20:21]
	ds_store_2addr_b64 v95, v[22:23], v[20:21] offset0:134 offset1:201
	ds_load_b128 v[20:23], v94 offset:272
	s_wait_dscnt 0x0
	s_barrier_signal -1
	s_barrier_wait -1
	global_inv scope:SCOPE_SE
	ds_load_2addr_b64 v[24:27], v96 offset1:1
	ds_load_2addr_b64 v[109:112], v96 offset0:2 offset1:3
	s_wait_loadcnt_dscnt 0x0
	s_barrier_signal -1
	s_barrier_wait -1
	global_inv scope:SCOPE_SE
	v_add_f64_e32 v[24:25], 0, v[24:25]
	s_delay_alu instid0(VALU_DEP_1)
	v_add_f64_e32 v[125:126], v[24:25], v[26:27]
	v_add_co_u32 v24, vcc_lo, v50, s78
	s_wait_alu 0xfffd
	v_add_co_ci_u32_e64 v25, null, s79, v51, vcc_lo
	v_add_co_u32 v26, vcc_lo, v50, s84
	s_wait_alu 0xfffd
	v_add_co_ci_u32_e64 v27, null, s85, v51, vcc_lo
	s_clause 0x1
	flat_load_b64 v[76:77], v[24:25]
	flat_load_b64 v[78:79], v[26:27]
	v_add_co_u32 v24, vcc_lo, v50, s80
	s_wait_alu 0xfffd
	v_add_co_ci_u32_e64 v25, null, s81, v51, vcc_lo
	v_add_co_u32 v26, vcc_lo, v50, s82
	s_wait_alu 0xfffd
	v_add_co_ci_u32_e64 v27, null, s83, v51, vcc_lo
	s_clause 0x1
	flat_load_b64 v[80:81], v[24:25]
	flat_load_b64 v[82:83], v[26:27]
	ds_load_b64 v[28:29], v86
	ds_load_b128 v[24:27], v94 offset:384
	v_add_f64_e32 v[109:110], v[125:126], v[109:110]
	s_delay_alu instid0(VALU_DEP_1)
	v_add_f64_e32 v[109:110], v[109:110], v[111:112]
	s_wait_loadcnt_dscnt 0x301
	v_mul_f64_e32 v[30:31], v[76:77], v[28:29]
	s_wait_loadcnt 0x2
	v_mul_f64_e32 v[113:114], v[78:79], v[28:29]
	ds_store_2addr_b64 v95, v[30:31], v[113:114] offset1:67
	s_wait_loadcnt 0x1
	v_mul_f64_e32 v[30:31], v[80:81], v[28:29]
	s_wait_loadcnt 0x0
	v_mul_f64_e32 v[28:29], v[82:83], v[28:29]
	ds_store_2addr_b64 v95, v[30:31], v[28:29] offset0:134 offset1:201
	ds_load_b128 v[28:31], v94 offset:400
	s_wait_dscnt 0x0
	s_barrier_signal -1
	s_barrier_wait -1
	global_inv scope:SCOPE_SE
	ds_load_2addr_b64 v[113:116], v96 offset1:1
	ds_load_2addr_b64 v[117:120], v96 offset0:2 offset1:3
	s_wait_loadcnt_dscnt 0x0
	s_barrier_signal -1
	s_barrier_wait -1
	global_inv scope:SCOPE_SE
	v_add_f64_e32 v[113:114], 0, v[113:114]
	s_delay_alu instid0(VALU_DEP_1) | instskip(NEXT) | instid1(VALU_DEP_1)
	v_add_f64_e32 v[113:114], v[113:114], v[115:116]
	v_add_f64_e32 v[111:112], v[113:114], v[117:118]
	s_delay_alu instid0(VALU_DEP_1)
	v_add_f64_e32 v[111:112], v[111:112], v[119:120]
	ds_store_2addr_b64 v105, v[121:122], v[123:124] offset1:16
	ds_store_2addr_b64 v105, v[109:110], v[111:112] offset0:32 offset1:48
	s_wait_loadcnt_dscnt 0x0
	s_barrier_signal -1
	s_barrier_wait -1
	global_inv scope:SCOPE_SE
	s_and_saveexec_b32 s103, s20
	s_cbranch_execz .LBB174_68
; %bb.72:                               ;   in Loop: Header=BB174_69 Depth=2
	ds_load_2addr_b64 v[109:112], v97 offset1:1
	ds_load_2addr_b64 v[113:116], v97 offset0:2 offset1:3
	s_wait_dscnt 0x1
	v_add_f64_e32 v[109:110], v[109:110], v[111:112]
	s_wait_dscnt 0x0
	s_delay_alu instid0(VALU_DEP_1) | instskip(NEXT) | instid1(VALU_DEP_1)
	v_add_f64_e32 v[109:110], v[109:110], v[113:114]
	v_add_f64_e32 v[117:118], v[109:110], v[115:116]
	ds_load_2addr_b64 v[109:112], v97 offset0:4 offset1:5
	ds_load_2addr_b64 v[113:116], v97 offset0:6 offset1:7
	s_wait_dscnt 0x1
	v_add_f64_e32 v[109:110], v[117:118], v[109:110]
	s_delay_alu instid0(VALU_DEP_1) | instskip(SKIP_1) | instid1(VALU_DEP_1)
	v_add_f64_e32 v[109:110], v[109:110], v[111:112]
	s_wait_dscnt 0x0
	v_add_f64_e32 v[109:110], v[109:110], v[113:114]
	s_delay_alu instid0(VALU_DEP_1) | instskip(SKIP_4) | instid1(VALU_DEP_1)
	v_add_f64_e32 v[117:118], v[109:110], v[115:116]
	ds_load_2addr_b64 v[109:112], v97 offset0:8 offset1:9
	ds_load_2addr_b64 v[113:116], v97 offset0:10 offset1:11
	s_wait_dscnt 0x1
	v_add_f64_e32 v[109:110], v[117:118], v[109:110]
	v_add_f64_e32 v[109:110], v[109:110], v[111:112]
	s_wait_dscnt 0x0
	s_delay_alu instid0(VALU_DEP_1) | instskip(NEXT) | instid1(VALU_DEP_1)
	v_add_f64_e32 v[109:110], v[109:110], v[113:114]
	v_add_f64_e32 v[113:114], v[109:110], v[115:116]
	ds_load_2addr_b64 v[109:112], v97 offset0:12 offset1:13
	ds_load_b64 v[115:116], v97 offset:112
	s_wait_dscnt 0x1
	v_add_f64_e32 v[109:110], v[113:114], v[109:110]
	s_delay_alu instid0(VALU_DEP_1) | instskip(SKIP_4) | instid1(VALU_DEP_1)
	v_add_f64_e32 v[109:110], v[109:110], v[111:112]
	ds_load_b64 v[111:112], v98
	s_wait_dscnt 0x1
	v_add_f64_e32 v[109:110], v[109:110], v[115:116]
	s_wait_dscnt 0x0
	v_add_f64_e32 v[109:110], v[109:110], v[111:112]
	v_lshlrev_b64_e32 v[111:112], 3, v[32:33]
	s_delay_alu instid0(VALU_DEP_1) | instskip(SKIP_1) | instid1(VALU_DEP_2)
	v_add_co_u32 v111, vcc_lo, s0, v111
	s_wait_alu 0xfffd
	v_add_co_ci_u32_e64 v112, null, s1, v112, vcc_lo
	global_store_b64 v[111:112], v[109:110], off
	s_branch .LBB174_68
.LBB174_73:                             ;   in Loop: Header=BB174_4 Depth=1
	ds_store_b64 v99, v[48:49]
	s_wait_loadcnt_dscnt 0x0
	s_barrier_signal -1
	s_barrier_wait -1
	global_inv scope:SCOPE_SE
	s_and_saveexec_b32 s14, s33
	s_cbranch_execz .LBB174_2
; %bb.74:                               ;   in Loop: Header=BB174_4 Depth=1
	ds_load_2addr_b64 v[0:3], v85 offset1:67
	s_wait_dscnt 0x0
	v_add_f64_e32 v[4:5], v[0:1], v[2:3]
	ds_load_2addr_b64 v[0:3], v85 offset0:134 offset1:201
	s_wait_dscnt 0x0
	v_add_f64_e32 v[0:1], v[4:5], v[0:1]
	s_delay_alu instid0(VALU_DEP_1)
	v_add_f64_e32 v[0:1], v[0:1], v[2:3]
	s_wait_alu 0xfffe
	v_add_co_u32 v2, vcc_lo, s0, v46
	s_wait_alu 0xfffd
	v_add_co_ci_u32_e64 v3, null, s1, v47, vcc_lo
	global_store_b64 v[2:3], v[0:1], off
	s_branch .LBB174_2
.LBB174_75:                             ;   in Loop: Header=BB174_4 Depth=1
	ds_load_b64 v[2:3], v102
	s_wait_dscnt 0x0
	ds_store_b64 v89, v[2:3]
	s_wait_alu 0xfffe
	s_or_b32 exec_lo, exec_lo, s0
	s_and_saveexec_b32 s0, s9
	s_cbranch_execz .LBB174_26
.LBB174_76:                             ;   in Loop: Header=BB174_4 Depth=1
	ds_load_b64 v[2:3], v103
	s_wait_dscnt 0x0
	ds_store_b64 v89, v[2:3] offset:8
	s_wait_alu 0xfffe
	s_or_b32 exec_lo, exec_lo, s0
	s_and_saveexec_b32 s0, s10
	s_cbranch_execz .LBB174_27
.LBB174_77:                             ;   in Loop: Header=BB174_4 Depth=1
	ds_load_b64 v[2:3], v103 offset:264
	s_wait_dscnt 0x0
	ds_store_b64 v89, v[2:3] offset:16
	s_wait_alu 0xfffe
	s_or_b32 exec_lo, exec_lo, s0
	s_and_saveexec_b32 s0, s11
	s_cbranch_execnz .LBB174_28
	s_branch .LBB174_29
.LBB174_78:                             ;   in Loop: Header=BB174_4 Depth=1
	ds_load_b64 v[0:1], v102
	s_wait_dscnt 0x0
	ds_store_b64 v89, v[0:1]
	s_wait_alu 0xfffe
	s_or_b32 exec_lo, exec_lo, s0
	s_and_saveexec_b32 s0, s9
	s_cbranch_execz .LBB174_45
.LBB174_79:                             ;   in Loop: Header=BB174_4 Depth=1
	ds_load_b64 v[0:1], v103
	s_wait_dscnt 0x0
	ds_store_b64 v89, v[0:1] offset:8
	s_wait_alu 0xfffe
	s_or_b32 exec_lo, exec_lo, s0
	s_and_saveexec_b32 s0, s10
	s_cbranch_execz .LBB174_46
.LBB174_80:                             ;   in Loop: Header=BB174_4 Depth=1
	ds_load_b64 v[0:1], v103 offset:264
	s_wait_dscnt 0x0
	ds_store_b64 v89, v[0:1] offset:16
	s_wait_alu 0xfffe
	s_or_b32 exec_lo, exec_lo, s0
	s_and_saveexec_b32 s0, s11
	s_cbranch_execnz .LBB174_47
	s_branch .LBB174_48
.LBB174_81:
	s_nop 0
	s_sendmsg sendmsg(MSG_DEALLOC_VGPRS)
	s_endpgm
	.section	.rodata,"a",@progbits
	.p2align	6, 0x0
	.amdhsa_kernel _ZL26rocblas_hemvn_kernel_lowerILb0ELi64ELi4ELi33ELi32ELi16EiPKdPKS1_PdEviT6_lT7_lT5_lS6_lS7_lS5_lT8_i
		.amdhsa_group_segment_fixed_size 9600
		.amdhsa_private_segment_fixed_size 0
		.amdhsa_kernarg_size 376
		.amdhsa_user_sgpr_count 2
		.amdhsa_user_sgpr_dispatch_ptr 0
		.amdhsa_user_sgpr_queue_ptr 0
		.amdhsa_user_sgpr_kernarg_segment_ptr 1
		.amdhsa_user_sgpr_dispatch_id 0
		.amdhsa_user_sgpr_private_segment_size 0
		.amdhsa_wavefront_size32 1
		.amdhsa_uses_dynamic_stack 0
		.amdhsa_enable_private_segment 0
		.amdhsa_system_sgpr_workgroup_id_x 1
		.amdhsa_system_sgpr_workgroup_id_y 0
		.amdhsa_system_sgpr_workgroup_id_z 1
		.amdhsa_system_sgpr_workgroup_info 0
		.amdhsa_system_vgpr_workitem_id 1
		.amdhsa_next_free_vgpr 128
		.amdhsa_next_free_sgpr 105
		.amdhsa_reserve_vcc 1
		.amdhsa_float_round_mode_32 0
		.amdhsa_float_round_mode_16_64 0
		.amdhsa_float_denorm_mode_32 3
		.amdhsa_float_denorm_mode_16_64 3
		.amdhsa_fp16_overflow 0
		.amdhsa_workgroup_processor_mode 1
		.amdhsa_memory_ordered 1
		.amdhsa_forward_progress 1
		.amdhsa_inst_pref_size 59
		.amdhsa_round_robin_scheduling 0
		.amdhsa_exception_fp_ieee_invalid_op 0
		.amdhsa_exception_fp_denorm_src 0
		.amdhsa_exception_fp_ieee_div_zero 0
		.amdhsa_exception_fp_ieee_overflow 0
		.amdhsa_exception_fp_ieee_underflow 0
		.amdhsa_exception_fp_ieee_inexact 0
		.amdhsa_exception_int_div_zero 0
	.end_amdhsa_kernel
	.section	.text._ZL26rocblas_hemvn_kernel_lowerILb0ELi64ELi4ELi33ELi32ELi16EiPKdPKS1_PdEviT6_lT7_lT5_lS6_lS7_lS5_lT8_i,"axG",@progbits,_ZL26rocblas_hemvn_kernel_lowerILb0ELi64ELi4ELi33ELi32ELi16EiPKdPKS1_PdEviT6_lT7_lT5_lS6_lS7_lS5_lT8_i,comdat
.Lfunc_end174:
	.size	_ZL26rocblas_hemvn_kernel_lowerILb0ELi64ELi4ELi33ELi32ELi16EiPKdPKS1_PdEviT6_lT7_lT5_lS6_lS7_lS5_lT8_i, .Lfunc_end174-_ZL26rocblas_hemvn_kernel_lowerILb0ELi64ELi4ELi33ELi32ELi16EiPKdPKS1_PdEviT6_lT7_lT5_lS6_lS7_lS5_lT8_i
                                        ; -- End function
	.set _ZL26rocblas_hemvn_kernel_lowerILb0ELi64ELi4ELi33ELi32ELi16EiPKdPKS1_PdEviT6_lT7_lT5_lS6_lS7_lS5_lT8_i.num_vgpr, 128
	.set _ZL26rocblas_hemvn_kernel_lowerILb0ELi64ELi4ELi33ELi32ELi16EiPKdPKS1_PdEviT6_lT7_lT5_lS6_lS7_lS5_lT8_i.num_agpr, 0
	.set _ZL26rocblas_hemvn_kernel_lowerILb0ELi64ELi4ELi33ELi32ELi16EiPKdPKS1_PdEviT6_lT7_lT5_lS6_lS7_lS5_lT8_i.numbered_sgpr, 105
	.set _ZL26rocblas_hemvn_kernel_lowerILb0ELi64ELi4ELi33ELi32ELi16EiPKdPKS1_PdEviT6_lT7_lT5_lS6_lS7_lS5_lT8_i.num_named_barrier, 0
	.set _ZL26rocblas_hemvn_kernel_lowerILb0ELi64ELi4ELi33ELi32ELi16EiPKdPKS1_PdEviT6_lT7_lT5_lS6_lS7_lS5_lT8_i.private_seg_size, 0
	.set _ZL26rocblas_hemvn_kernel_lowerILb0ELi64ELi4ELi33ELi32ELi16EiPKdPKS1_PdEviT6_lT7_lT5_lS6_lS7_lS5_lT8_i.uses_vcc, 1
	.set _ZL26rocblas_hemvn_kernel_lowerILb0ELi64ELi4ELi33ELi32ELi16EiPKdPKS1_PdEviT6_lT7_lT5_lS6_lS7_lS5_lT8_i.uses_flat_scratch, 1
	.set _ZL26rocblas_hemvn_kernel_lowerILb0ELi64ELi4ELi33ELi32ELi16EiPKdPKS1_PdEviT6_lT7_lT5_lS6_lS7_lS5_lT8_i.has_dyn_sized_stack, 0
	.set _ZL26rocblas_hemvn_kernel_lowerILb0ELi64ELi4ELi33ELi32ELi16EiPKdPKS1_PdEviT6_lT7_lT5_lS6_lS7_lS5_lT8_i.has_recursion, 0
	.set _ZL26rocblas_hemvn_kernel_lowerILb0ELi64ELi4ELi33ELi32ELi16EiPKdPKS1_PdEviT6_lT7_lT5_lS6_lS7_lS5_lT8_i.has_indirect_call, 0
	.section	.AMDGPU.csdata,"",@progbits
; Kernel info:
; codeLenInByte = 7500
; TotalNumSgprs: 107
; NumVgprs: 128
; ScratchSize: 0
; MemoryBound: 0
; FloatMode: 240
; IeeeMode: 1
; LDSByteSize: 9600 bytes/workgroup (compile time only)
; SGPRBlocks: 0
; VGPRBlocks: 15
; NumSGPRsForWavesPerEU: 107
; NumVGPRsForWavesPerEU: 128
; Occupancy: 10
; WaveLimiterHint : 1
; COMPUTE_PGM_RSRC2:SCRATCH_EN: 0
; COMPUTE_PGM_RSRC2:USER_SGPR: 2
; COMPUTE_PGM_RSRC2:TRAP_HANDLER: 0
; COMPUTE_PGM_RSRC2:TGID_X_EN: 1
; COMPUTE_PGM_RSRC2:TGID_Y_EN: 0
; COMPUTE_PGM_RSRC2:TGID_Z_EN: 1
; COMPUTE_PGM_RSRC2:TIDIG_COMP_CNT: 1
	.section	.text._ZL36rocblas_hemvn_kernel_lower_block_sumILi64EiPKdPKPddEviT1_lS5_lT2_lT0_lPT3_i,"axG",@progbits,_ZL36rocblas_hemvn_kernel_lower_block_sumILi64EiPKdPKPddEviT1_lS5_lT2_lT0_lPT3_i,comdat
	.globl	_ZL36rocblas_hemvn_kernel_lower_block_sumILi64EiPKdPKPddEviT1_lS5_lT2_lT0_lPT3_i ; -- Begin function _ZL36rocblas_hemvn_kernel_lower_block_sumILi64EiPKdPKPddEviT1_lS5_lT2_lT0_lPT3_i
	.p2align	8
	.type	_ZL36rocblas_hemvn_kernel_lower_block_sumILi64EiPKdPKPddEviT1_lS5_lT2_lT0_lPT3_i,@function
_ZL36rocblas_hemvn_kernel_lower_block_sumILi64EiPKdPKPddEviT1_lS5_lT2_lT0_lPT3_i: ; @_ZL36rocblas_hemvn_kernel_lower_block_sumILi64EiPKdPKPddEviT1_lS5_lT2_lT0_lPT3_i
; %bb.0:
	s_load_b32 s24, s[0:1], 0x50
	s_lshr_b32 s2, ttmp7, 16
	s_wait_kmcnt 0x0
	s_cmp_ge_u32 s2, s24
	s_cbranch_scc1 .LBB175_24
; %bb.1:
	s_clause 0x1
	s_load_b32 s18, s[0:1], 0x0
	s_load_b32 s3, s[0:1], 0x38
	v_lshl_or_b32 v0, ttmp9, 6, v0
	s_clause 0x2
	s_load_b64 s[20:21], s[0:1], 0x48
	s_load_b128 s[12:15], s[0:1], 0x28
	s_load_b256 s[4:11], s[0:1], 0x8
	s_add_nc_u64 s[16:17], s[0:1], 0x58
	v_mov_b32_e32 v12, 0
	s_wait_kmcnt 0x0
	v_mad_co_u64_u32 v[1:2], null, s18, ttmp9, v[0:1]
	v_mul_lo_u32 v3, s3, v0
	v_cmp_gt_i32_e64 s0, s18, v0
	s_ashr_i32 s19, s18, 31
	s_mov_b32 s3, 0
	s_wait_alu 0xfffe
	s_lshl_b64 s[18:19], s[18:19], 3
	s_lshl_b64 s[14:15], s[14:15], 3
	v_ashrrev_i32_e32 v2, 31, v1
	v_ashrrev_i32_e32 v4, 31, v3
	s_delay_alu instid0(VALU_DEP_2) | instskip(NEXT) | instid1(VALU_DEP_2)
	v_lshlrev_b64_e32 v[5:6], 3, v[1:2]
	v_lshlrev_b64_e32 v[0:1], 3, v[3:4]
	s_delay_alu instid0(VALU_DEP_2) | instskip(NEXT) | instid1(VALU_DEP_1)
	v_add_co_u32 v2, vcc_lo, s20, v5
	v_add_co_ci_u32_e64 v3, null, s21, v6, vcc_lo
	s_branch .LBB175_4
.LBB175_2:                              ;   in Loop: Header=BB175_4 Depth=1
	s_or_b32 exec_lo, exec_lo, s22
.LBB175_3:                              ;   in Loop: Header=BB175_4 Depth=1
	s_add_co_i32 s2, s2, 0x10000
	s_wait_alu 0xfffe
	s_cmp_lt_u32 s2, s24
	s_cbranch_scc0 .LBB175_24
.LBB175_4:                              ; =>This Loop Header: Depth=1
                                        ;     Child Loop BB175_15 Depth 2
	s_mul_u64 s[20:21], s[6:7], s[2:3]
	s_mul_u64 s[22:23], s[10:11], s[2:3]
	s_wait_alu 0xfffe
	s_lshl_b64 s[20:21], s[20:21], 3
	s_lshl_b64 s[22:23], s[22:23], 3
	s_wait_alu 0xfffe
	s_add_nc_u64 s[20:21], s[4:5], s[20:21]
	s_add_nc_u64 s[22:23], s[8:9], s[22:23]
	s_clause 0x1
	global_load_b64 v[4:5], v12, s[20:21]
	global_load_b64 v[6:7], v12, s[22:23]
	s_wait_loadcnt 0x1
	v_cmp_eq_f64_e32 vcc_lo, 0, v[4:5]
	s_wait_loadcnt 0x0
	v_cmp_eq_f64_e64 s1, 1.0, v[6:7]
	s_and_b32 s1, vcc_lo, s1
	s_wait_alu 0xfffe
	s_and_b32 vcc_lo, exec_lo, s1
	s_wait_alu 0xfffe
	s_cbranch_vccnz .LBB175_3
; %bb.5:                                ;   in Loop: Header=BB175_4 Depth=1
	v_cmp_neq_f64_e32 vcc_lo, 0, v[4:5]
	s_lshl_b64 s[20:21], s[2:3], 3
	s_wait_alu 0xfffe
	s_add_nc_u64 s[20:21], s[12:13], s[20:21]
	s_load_b64 s[20:21], s[20:21], 0x0
	s_wait_kmcnt 0x0
	s_add_nc_u64 s[20:21], s[20:21], s[14:15]
	s_cbranch_vccnz .LBB175_10
; %bb.6:                                ;   in Loop: Header=BB175_4 Depth=1
	s_mov_b32 s22, 0
	s_mov_b32 s1, 0
                                        ; implicit-def: $vgpr8_vgpr9
	s_and_saveexec_b32 s23, s0
	s_cbranch_execz .LBB175_11
; %bb.7:                                ;   in Loop: Header=BB175_4 Depth=1
	v_cmp_eq_f64_e32 vcc_lo, 0, v[6:7]
	v_mov_b32_e32 v8, 0
	v_mov_b32_e32 v9, 0
	s_cbranch_vccnz .LBB175_9
; %bb.8:                                ;   in Loop: Header=BB175_4 Depth=1
	s_wait_alu 0xfffe
	v_add_co_u32 v8, vcc_lo, s20, v0
	s_wait_alu 0xfffd
	v_add_co_ci_u32_e64 v9, null, s21, v1, vcc_lo
	flat_load_b64 v[8:9], v[8:9]
	s_wait_loadcnt_dscnt 0x0
	v_mul_f64_e32 v[8:9], v[6:7], v[8:9]
.LBB175_9:                              ;   in Loop: Header=BB175_4 Depth=1
	s_mov_b32 s1, exec_lo
	s_or_b32 exec_lo, exec_lo, s23
	s_delay_alu instid0(SALU_CYCLE_1)
	s_and_b32 vcc_lo, exec_lo, s22
	s_wait_alu 0xfffe
	s_cbranch_vccnz .LBB175_12
	s_branch .LBB175_21
.LBB175_10:                             ;   in Loop: Header=BB175_4 Depth=1
	s_mov_b32 s1, 0
                                        ; implicit-def: $vgpr8_vgpr9
	s_cbranch_execnz .LBB175_12
	s_branch .LBB175_21
.LBB175_11:                             ;   in Loop: Header=BB175_4 Depth=1
	s_or_b32 exec_lo, exec_lo, s23
	s_delay_alu instid0(SALU_CYCLE_1)
	s_and_b32 vcc_lo, exec_lo, s22
	s_wait_alu 0xfffe
	s_cbranch_vccz .LBB175_21
.LBB175_12:                             ;   in Loop: Header=BB175_4 Depth=1
                                        ; implicit-def: $vgpr8_vgpr9
	s_and_saveexec_b32 s25, s0
	s_cbranch_execz .LBB175_20
; %bb.13:                               ;   in Loop: Header=BB175_4 Depth=1
	s_load_b32 s22, s[16:17], 0x0
	v_mov_b32_e32 v10, 0
	v_mov_b32_e32 v11, 0
	s_wait_kmcnt 0x0
	s_cmp_ge_i32 ttmp9, s22
	s_cbranch_scc1 .LBB175_16
; %bb.14:                               ;   in Loop: Header=BB175_4 Depth=1
	s_mov_b32 s23, s3
	s_mov_b32 s26, ttmp9
	s_mul_u64 s[28:29], s[18:19], s[22:23]
	s_wait_alu 0xfffe
	v_mad_co_u64_u32 v[8:9], null, s28, s2, v[2:3]
	s_delay_alu instid0(VALU_DEP_1)
	v_mad_co_u64_u32 v[9:10], null, s29, s2, v[9:10]
	v_mov_b32_e32 v10, 0
	v_mov_b32_e32 v11, 0
.LBB175_15:                             ;   Parent Loop BB175_4 Depth=1
                                        ; =>  This Inner Loop Header: Depth=2
	global_load_b64 v[13:14], v[8:9], off
	v_add_co_u32 v8, vcc_lo, v8, s18
	s_wait_alu 0xfffd
	v_add_co_ci_u32_e64 v9, null, s19, v9, vcc_lo
	s_add_co_i32 s26, s26, 1
	s_delay_alu instid0(SALU_CYCLE_1)
	s_cmp_ge_i32 s26, s22
	s_wait_loadcnt 0x0
	v_add_f64_e32 v[10:11], v[10:11], v[13:14]
	s_cbranch_scc0 .LBB175_15
.LBB175_16:                             ;   in Loop: Header=BB175_4 Depth=1
	v_cmp_eq_f64_e32 vcc_lo, 0, v[6:7]
	s_cbranch_vccz .LBB175_23
; %bb.17:                               ;   in Loop: Header=BB175_4 Depth=1
	s_delay_alu instid0(VALU_DEP_2)
	v_mul_f64_e32 v[8:9], v[4:5], v[10:11]
	s_cbranch_execnz .LBB175_19
.LBB175_18:                             ;   in Loop: Header=BB175_4 Depth=1
	v_add_co_u32 v8, vcc_lo, s20, v0
	s_wait_alu 0xfffd
	v_add_co_ci_u32_e64 v9, null, s21, v1, vcc_lo
	flat_load_b64 v[8:9], v[8:9]
	s_wait_loadcnt_dscnt 0x0
	v_mul_f64_e32 v[6:7], v[6:7], v[8:9]
	s_delay_alu instid0(VALU_DEP_1)
	v_fma_f64 v[8:9], v[4:5], v[10:11], v[6:7]
.LBB175_19:                             ;   in Loop: Header=BB175_4 Depth=1
	s_or_b32 s1, s1, exec_lo
.LBB175_20:                             ;   in Loop: Header=BB175_4 Depth=1
	s_or_b32 exec_lo, exec_lo, s25
.LBB175_21:                             ;   in Loop: Header=BB175_4 Depth=1
	s_wait_alu 0xfffe
	s_and_saveexec_b32 s22, s1
	s_cbranch_execz .LBB175_2
; %bb.22:                               ;   in Loop: Header=BB175_4 Depth=1
	v_add_co_u32 v4, vcc_lo, s20, v0
	s_wait_alu 0xfffd
	v_add_co_ci_u32_e64 v5, null, s21, v1, vcc_lo
	flat_store_b64 v[4:5], v[8:9]
	s_branch .LBB175_2
.LBB175_23:                             ;   in Loop: Header=BB175_4 Depth=1
                                        ; implicit-def: $vgpr8_vgpr9
	s_branch .LBB175_18
.LBB175_24:
	s_endpgm
	.section	.rodata,"a",@progbits
	.p2align	6, 0x0
	.amdhsa_kernel _ZL36rocblas_hemvn_kernel_lower_block_sumILi64EiPKdPKPddEviT1_lS5_lT2_lT0_lPT3_i
		.amdhsa_group_segment_fixed_size 0
		.amdhsa_private_segment_fixed_size 0
		.amdhsa_kernarg_size 344
		.amdhsa_user_sgpr_count 2
		.amdhsa_user_sgpr_dispatch_ptr 0
		.amdhsa_user_sgpr_queue_ptr 0
		.amdhsa_user_sgpr_kernarg_segment_ptr 1
		.amdhsa_user_sgpr_dispatch_id 0
		.amdhsa_user_sgpr_private_segment_size 0
		.amdhsa_wavefront_size32 1
		.amdhsa_uses_dynamic_stack 0
		.amdhsa_enable_private_segment 0
		.amdhsa_system_sgpr_workgroup_id_x 1
		.amdhsa_system_sgpr_workgroup_id_y 0
		.amdhsa_system_sgpr_workgroup_id_z 1
		.amdhsa_system_sgpr_workgroup_info 0
		.amdhsa_system_vgpr_workitem_id 0
		.amdhsa_next_free_vgpr 15
		.amdhsa_next_free_sgpr 30
		.amdhsa_reserve_vcc 1
		.amdhsa_float_round_mode_32 0
		.amdhsa_float_round_mode_16_64 0
		.amdhsa_float_denorm_mode_32 3
		.amdhsa_float_denorm_mode_16_64 3
		.amdhsa_fp16_overflow 0
		.amdhsa_workgroup_processor_mode 1
		.amdhsa_memory_ordered 1
		.amdhsa_forward_progress 1
		.amdhsa_inst_pref_size 6
		.amdhsa_round_robin_scheduling 0
		.amdhsa_exception_fp_ieee_invalid_op 0
		.amdhsa_exception_fp_denorm_src 0
		.amdhsa_exception_fp_ieee_div_zero 0
		.amdhsa_exception_fp_ieee_overflow 0
		.amdhsa_exception_fp_ieee_underflow 0
		.amdhsa_exception_fp_ieee_inexact 0
		.amdhsa_exception_int_div_zero 0
	.end_amdhsa_kernel
	.section	.text._ZL36rocblas_hemvn_kernel_lower_block_sumILi64EiPKdPKPddEviT1_lS5_lT2_lT0_lPT3_i,"axG",@progbits,_ZL36rocblas_hemvn_kernel_lower_block_sumILi64EiPKdPKPddEviT1_lS5_lT2_lT0_lPT3_i,comdat
.Lfunc_end175:
	.size	_ZL36rocblas_hemvn_kernel_lower_block_sumILi64EiPKdPKPddEviT1_lS5_lT2_lT0_lPT3_i, .Lfunc_end175-_ZL36rocblas_hemvn_kernel_lower_block_sumILi64EiPKdPKPddEviT1_lS5_lT2_lT0_lPT3_i
                                        ; -- End function
	.set _ZL36rocblas_hemvn_kernel_lower_block_sumILi64EiPKdPKPddEviT1_lS5_lT2_lT0_lPT3_i.num_vgpr, 15
	.set _ZL36rocblas_hemvn_kernel_lower_block_sumILi64EiPKdPKPddEviT1_lS5_lT2_lT0_lPT3_i.num_agpr, 0
	.set _ZL36rocblas_hemvn_kernel_lower_block_sumILi64EiPKdPKPddEviT1_lS5_lT2_lT0_lPT3_i.numbered_sgpr, 30
	.set _ZL36rocblas_hemvn_kernel_lower_block_sumILi64EiPKdPKPddEviT1_lS5_lT2_lT0_lPT3_i.num_named_barrier, 0
	.set _ZL36rocblas_hemvn_kernel_lower_block_sumILi64EiPKdPKPddEviT1_lS5_lT2_lT0_lPT3_i.private_seg_size, 0
	.set _ZL36rocblas_hemvn_kernel_lower_block_sumILi64EiPKdPKPddEviT1_lS5_lT2_lT0_lPT3_i.uses_vcc, 1
	.set _ZL36rocblas_hemvn_kernel_lower_block_sumILi64EiPKdPKPddEviT1_lS5_lT2_lT0_lPT3_i.uses_flat_scratch, 0
	.set _ZL36rocblas_hemvn_kernel_lower_block_sumILi64EiPKdPKPddEviT1_lS5_lT2_lT0_lPT3_i.has_dyn_sized_stack, 0
	.set _ZL36rocblas_hemvn_kernel_lower_block_sumILi64EiPKdPKPddEviT1_lS5_lT2_lT0_lPT3_i.has_recursion, 0
	.set _ZL36rocblas_hemvn_kernel_lower_block_sumILi64EiPKdPKPddEviT1_lS5_lT2_lT0_lPT3_i.has_indirect_call, 0
	.section	.AMDGPU.csdata,"",@progbits
; Kernel info:
; codeLenInByte = 752
; TotalNumSgprs: 32
; NumVgprs: 15
; ScratchSize: 0
; MemoryBound: 0
; FloatMode: 240
; IeeeMode: 1
; LDSByteSize: 0 bytes/workgroup (compile time only)
; SGPRBlocks: 0
; VGPRBlocks: 1
; NumSGPRsForWavesPerEU: 32
; NumVGPRsForWavesPerEU: 15
; Occupancy: 16
; WaveLimiterHint : 1
; COMPUTE_PGM_RSRC2:SCRATCH_EN: 0
; COMPUTE_PGM_RSRC2:USER_SGPR: 2
; COMPUTE_PGM_RSRC2:TRAP_HANDLER: 0
; COMPUTE_PGM_RSRC2:TGID_X_EN: 1
; COMPUTE_PGM_RSRC2:TGID_Y_EN: 0
; COMPUTE_PGM_RSRC2:TGID_Z_EN: 1
; COMPUTE_PGM_RSRC2:TIDIG_COMP_CNT: 0
	.section	.text._ZL26rocblas_hemvn_kernel_lowerILb0ELi64ELi4ELi33ELi32ELi16EldPKPKdPdEviT6_lT7_lT5_lS6_lS7_lS5_lT8_i,"axG",@progbits,_ZL26rocblas_hemvn_kernel_lowerILb0ELi64ELi4ELi33ELi32ELi16EldPKPKdPdEviT6_lT7_lT5_lS6_lS7_lS5_lT8_i,comdat
	.globl	_ZL26rocblas_hemvn_kernel_lowerILb0ELi64ELi4ELi33ELi32ELi16EldPKPKdPdEviT6_lT7_lT5_lS6_lS7_lS5_lT8_i ; -- Begin function _ZL26rocblas_hemvn_kernel_lowerILb0ELi64ELi4ELi33ELi32ELi16EldPKPKdPdEviT6_lT7_lT5_lS6_lS7_lS5_lT8_i
	.p2align	8
	.type	_ZL26rocblas_hemvn_kernel_lowerILb0ELi64ELi4ELi33ELi32ELi16EldPKPKdPdEviT6_lT7_lT5_lS6_lS7_lS5_lT8_i,@function
_ZL26rocblas_hemvn_kernel_lowerILb0ELi64ELi4ELi33ELi32ELi16EldPKPKdPdEviT6_lT7_lT5_lS6_lS7_lS5_lT8_i: ; @_ZL26rocblas_hemvn_kernel_lowerILb0ELi64ELi4ELi33ELi32ELi16EldPKPKdPdEviT6_lT7_lT5_lS6_lS7_lS5_lT8_i
; %bb.0:
	s_clause 0x1
	s_load_b64 s[2:3], s[0:1], 0x84
	s_load_b32 s33, s[0:1], 0x70
	s_lshr_b32 s28, ttmp7, 16
	s_wait_kmcnt 0x0
	s_lshr_b32 s4, s2, 16
	s_and_b32 s2, s2, 0xffff
	s_and_b32 s3, s3, 0xffff
	s_mul_i32 s2, s4, s2
	s_delay_alu instid0(SALU_CYCLE_1) | instskip(NEXT) | instid1(SALU_CYCLE_1)
	s_mul_i32 s2, s2, s3
	s_cmp_lg_u32 s2, 0x100
	s_cselect_b32 s2, -1, 0
	s_cmp_ge_u32 s28, s33
	s_cselect_b32 s3, -1, 0
	s_delay_alu instid0(SALU_CYCLE_1) | instskip(NEXT) | instid1(SALU_CYCLE_1)
	s_or_b32 s2, s2, s3
	s_and_b32 vcc_lo, exec_lo, s2
	s_cbranch_vccnz .LBB176_81
; %bb.1:
	s_clause 0x7
	s_load_b64 s[4:5], s[0:1], 0x8
	s_load_b64 s[8:9], s[0:1], 0x58
	s_load_b32 s6, s[0:1], 0x0
	s_load_b128 s[20:23], s[0:1], 0x18
	s_load_b64 s[82:83], s[0:1], 0x28
	s_load_b128 s[24:27], s[0:1], 0x38
	s_load_b64 s[30:31], s[0:1], 0x48
	s_load_b64 s[2:3], s[0:1], 0x68
	v_dual_mov_b32 v33, 0 :: v_dual_and_b32 v82, 0x3ff, v0
	v_bfe_u32 v14, v0, 10, 10
	s_add_nc_u64 s[10:11], s[0:1], 0x78
	s_lshl_b32 s84, ttmp9, 6
	v_and_b32_e32 v32, 31, v0
	v_add_nc_u32_e32 v1, s84, v82
	v_lshl_add_u32 v15, v14, 6, v82
	s_load_b32 s34, s[10:11], 0x0
	s_mov_b32 s35, 0
	v_sub_co_u32 v3, s7, 0, v32
	s_delay_alu instid0(VALU_DEP_2)
	v_lshrrev_b32_e32 v12, 5, v15
	v_sub_co_ci_u32_e64 v4, null, 0, 0, s7
	v_lshlrev_b32_e32 v16, 3, v32
	s_wait_kmcnt 0x0
	v_cmp_neq_f64_e64 s1, s[4:5], 0
	v_cmp_neq_f64_e64 s8, s[8:9], 1.0
	v_mad_co_u64_u32 v[5:6], null, s82, v12, v[32:33]
	v_mad_co_u64_u32 v[7:8], null, s30, v1, 0
	s_ashr_i32 s7, s6, 31
	v_cmp_eq_f64_e64 s94, s[4:5], 0
	s_wait_alu 0xfffe
	s_lshr_b32 s5, s7, 26
	s_mul_i32 s4, s6, ttmp9
	s_wait_alu 0xfffe
	s_add_co_i32 s5, s6, s5
	v_add_nc_u32_e32 v11, 8, v12
	v_mad_co_u64_u32 v[9:10], null, s83, v12, v[6:7]
	s_wait_alu 0xfffe
	s_and_not1_b32 s5, s5, 63
	s_add_co_i32 s9, s34, -1
	s_wait_alu 0xfffe
	s_sub_co_i32 s5, s6, s5
	s_mul_u64 s[38:39], s[34:35], s[6:7]
	v_add_nc_u32_e32 v10, 16, v12
	v_mul_u32_u24_e32 v23, 33, v32
	v_mov_b32_e32 v6, v9
	v_ashrrev_i32_e32 v2, 31, v1
	v_mul_lo_u32 v18, s31, v1
	v_lshlrev_b32_e32 v24, 3, v12
	v_lshl_or_b32 v86, v32, 8, v16
	v_and_b32_e32 v19, 0x7fe0, v15
	v_mul_lo_u32 v13, s30, v2
	v_mul_u32_u24_e32 v17, 0x108, v12
	v_lshl_add_u32 v89, v23, 3, v24
	v_mul_u32_u24_e32 v21, 0x420, v12
	v_add_nc_u32_e32 v87, v86, v19
	v_add_nc_u32_e32 v88, 0x2380, v19
	v_lshrrev_b32_e32 v19, 4, v15
	v_cmp_eq_u32_e64 s16, 1, v12
	v_add3_u32 v8, v8, v13, v18
	v_lshlrev_b32_e32 v13, 2, v12
	v_add_nc_u32_e32 v18, 24, v12
	v_mad_u32_u24 v90, v12, 24, v89
	v_lshlrev_b32_e32 v83, 3, v82
	s_or_b32 s95, s1, s8
	s_cmp_eq_u32 ttmp9, s9
	v_or_b32_e32 v20, 1, v13
	s_wait_alu 0xfffe
	s_cselect_b32 s40, s5, 0
	v_or_b32_e32 v22, 2, v13
	v_cmp_gt_i32_e32 vcc_lo, s40, v82
	s_cmp_eq_u32 s40, 0
	v_cmp_lt_u32_e64 s7, v20, v32
	s_cselect_b32 s6, -1, 0
	s_ashr_i32 s5, s4, 31
	s_wait_alu 0xfffe
	v_cndmask_b32_e64 v85, 0, 1, s6
	s_or_b32 s96, s6, vcc_lo
	v_cmp_lt_u32_e64 s6, v13, v32
	v_or_b32_e32 v13, 3, v13
	s_ashr_i32 s85, s84, 31
	s_lshl_b64 s[4:5], s[4:5], 3
	s_cmp_lg_u32 s40, 0
	s_wait_alu 0xfffe
	s_add_nc_u64 s[44:45], s[2:3], s[4:5]
	v_cmp_lt_u32_e64 s9, v13, v32
	v_or_b32_e32 v13, 32, v32
	s_cselect_b32 s17, -1, 0
	s_sub_co_i32 s15, s40, 32
	v_cmp_gt_i32_e64 s3, s40, v11
	v_cmp_gt_i32_e64 s4, s40, v10
	;; [unrolled: 1-line block ×3, first 2 shown]
	v_lshlrev_b32_e32 v13, 2, v14
	v_cmp_gt_i32_e64 s13, s15, v11
	v_cmp_gt_i32_e64 s14, s15, v10
	v_cmp_le_i32_e32 vcc_lo, s40, v82
	v_cmp_gt_i32_e64 s2, s40, v12
	v_mad_co_u64_u32 v[10:11], null, s82, v13, 0
	v_cmp_gt_i32_e64 s5, s40, v18
	v_cmp_gt_i32_e64 s12, s15, v12
	;; [unrolled: 1-line block ×3, first 2 shown]
	v_mul_i32_i24_e32 v18, 0xffffffe8, v12
	s_and_b32 s17, s17, vcc_lo
	v_cmp_lt_u32_e64 s8, v22, v32
	v_mad_co_u64_u32 v[11:12], null, s83, v13, v[11:12]
	v_sub_co_u32 v12, vcc_lo, 0, v5
	v_and_b32_e32 v22, 15, v0
	v_sub_co_ci_u32_e64 v13, null, 0, v9, vcc_lo
	v_and_b32_e32 v0, 48, v0
	v_lshlrev_b32_e32 v9, 5, v19
	v_mul_u32_u24_e32 v20, 0x108, v20
	v_mad_u32_u24 v93, 0x860, v14, v83
	v_or_b32_e32 v23, 0x78, v83
	v_lshlrev_b32_e32 v0, 3, v0
	v_mad_u32_u24 v94, 0x218, v22, v9
	v_mul_i32_i24_e32 v9, 0xffffffe8, v19
	v_cmp_eq_u32_e64 s0, 0, v14
	s_mul_u64 s[18:19], s[30:31], s[84:85]
	s_mul_u64 s[42:43], s[82:83], s[84:85]
	s_lshl_b64 s[50:51], s[82:83], 5
	v_lshlrev_b64_e32 v[34:35], 3, v[7:8]
	v_lshlrev_b64_e32 v[36:37], 3, v[5:6]
	;; [unrolled: 1-line block ×6, first 2 shown]
	v_add_nc_u32_e32 v84, 0x2380, v83
	v_cmp_gt_i32_e64 s1, s40, v32
	s_lshl_b64 s[46:47], s[82:83], 6
	s_lshl_b64 s[48:49], s[82:83], 7
	s_ashr_i32 s41, s40, 31
	v_cmp_gt_u32_e64 s10, 32, v15
	s_xor_b32 s29, s17, -1
	s_sub_nc_u64 s[88:89], 0, s[18:19]
	v_add_nc_u32_e32 v91, 0x2180, v83
	v_lshl_add_u32 v92, v14, 5, 0x2180
	v_cmp_gt_u32_e64 s18, 64, v15
	v_mad_u32_u24 v95, 0x218, v22, v0
	v_mad_u32_u24 v96, 0x218, v22, v23
	v_mad_i32_i24 v97, 0xfffff9b8, v14, v93
	v_add_nc_u32_e32 v98, 0x2380, v24
	v_add_nc_u32_e32 v99, v16, v17
	;; [unrolled: 1-line block ×6, first 2 shown]
	v_lshlrev_b32_e32 v104, 3, v32
	s_sub_nc_u64 s[86:87], 0, s[50:51]
	s_cmp_gt_i32 ttmp9, 0
	s_sub_nc_u64 s[90:91], 0, s[42:43]
	s_mul_u64 s[36:37], s[82:83], 0xc0
	s_cselect_b32 s97, -1, 0
	s_and_b32 s98, s0, s29
	s_wait_alu 0xfffe
	s_sub_nc_u64 s[52:53], 0, s[40:41]
	s_lshl_b64 s[54:55], s[82:83], 3
	s_lshl_b64 s[56:57], s[82:83], 4
	;; [unrolled: 1-line block ×3, first 2 shown]
	s_mul_u64 s[60:61], s[82:83], 24
	s_mul_u64 s[62:63], s[82:83], 0x90
	;; [unrolled: 1-line block ×3, first 2 shown]
	s_lshl_b64 s[66:67], s[82:83], 8
	s_mul_u64 s[68:69], s[82:83], 0x110
	s_mul_u64 s[70:71], s[82:83], 0x118
	;; [unrolled: 1-line block ×8, first 2 shown]
	s_lshl_b64 s[26:27], s[26:27], 3
	s_lshl_b64 s[22:23], s[22:23], 3
	;; [unrolled: 1-line block ×6, first 2 shown]
	s_branch .LBB176_4
.LBB176_2:                              ;   in Loop: Header=BB176_4 Depth=1
	s_wait_alu 0xfffe
	s_or_b32 exec_lo, exec_lo, s19
.LBB176_3:                              ;   in Loop: Header=BB176_4 Depth=1
	s_add_co_i32 s28, s28, 0x10000
	s_delay_alu instid0(SALU_CYCLE_1)
	s_cmp_lt_u32 s28, s33
	s_cbranch_scc0 .LBB176_81
.LBB176_4:                              ; =>This Loop Header: Depth=1
                                        ;     Child Loop BB176_69 Depth 2
	s_and_not1_b32 vcc_lo, exec_lo, s95
	s_wait_alu 0xfffe
	s_cbranch_vccnz .LBB176_3
; %bb.5:                                ;   in Loop: Header=BB176_4 Depth=1
	s_and_b32 vcc_lo, exec_lo, s94
	s_wait_alu 0xfffe
	s_cbranch_vccz .LBB176_7
; %bb.6:                                ;   in Loop: Header=BB176_4 Depth=1
	s_cbranch_execnz .LBB176_3
	s_branch .LBB176_8
.LBB176_7:                              ;   in Loop: Header=BB176_4 Depth=1
.LBB176_8:                              ;   in Loop: Header=BB176_4 Depth=1
	s_mov_b32 s29, s35
	s_delay_alu instid0(SALU_CYCLE_1)
	s_lshl_b64 s[92:93], s[28:29], 3
	s_wait_alu 0xfffe
	s_add_nc_u64 s[100:101], s[24:25], s[92:93]
	s_add_nc_u64 s[92:93], s[20:21], s[92:93]
	s_clause 0x1
	global_load_b64 v[2:3], v33, s[100:101]
	global_load_b64 v[0:1], v33, s[92:93]
	s_wait_loadcnt 0x1
	v_add_co_u32 v2, vcc_lo, v2, s26
	s_wait_alu 0xfffd
	v_add_co_ci_u32_e64 v3, null, s27, v3, vcc_lo
	s_delay_alu instid0(VALU_DEP_2) | instskip(SKIP_1) | instid1(VALU_DEP_2)
	v_add_co_u32 v16, vcc_lo, v2, v34
	s_wait_alu 0xfffd
	v_add_co_ci_u32_e64 v17, null, v3, v35, vcc_lo
	s_and_saveexec_b32 s19, s0
	s_cbranch_execz .LBB176_12
; %bb.9:                                ;   in Loop: Header=BB176_4 Depth=1
	v_mov_b32_e32 v2, 0
	v_mov_b32_e32 v3, 0
	s_and_saveexec_b32 s34, s96
	s_cbranch_execz .LBB176_11
; %bb.10:                               ;   in Loop: Header=BB176_4 Depth=1
	flat_load_b64 v[2:3], v[16:17]
.LBB176_11:                             ;   in Loop: Header=BB176_4 Depth=1
	s_wait_alu 0xfffe
	s_or_b32 exec_lo, exec_lo, s34
	s_wait_loadcnt_dscnt 0x0
	ds_store_b64 v84, v[2:3]
.LBB176_12:                             ;   in Loop: Header=BB176_4 Depth=1
	s_wait_alu 0xfffe
	s_or_b32 exec_lo, exec_lo, s19
	s_wait_loadcnt 0x0
	v_add_co_u32 v0, vcc_lo, v0, s22
	s_wait_alu 0xfffd
	v_add_co_ci_u32_e64 v1, null, s23, v1, vcc_lo
	s_lshl_b64 s[92:93], s[42:43], 3
	v_add_co_u32 v0, vcc_lo, v0, s84
	s_wait_alu 0xfffd
	v_add_co_ci_u32_e64 v1, null, s85, v1, vcc_lo
	s_delay_alu instid0(VALU_DEP_2) | instskip(SKIP_1) | instid1(VALU_DEP_2)
	v_add_co_u32 v0, vcc_lo, v0, v36
	s_wait_alu 0xfffd
	v_add_co_ci_u32_e64 v1, null, v1, v37, vcc_lo
	v_cmp_ne_u32_e32 vcc_lo, 1, v85
	s_wait_alu 0xfffe
	v_add_co_u32 v0, s19, v0, s92
	s_wait_alu 0xf1ff
	v_add_co_ci_u32_e64 v1, null, s93, v1, s19
	s_mov_b32 s19, -1
	s_cbranch_vccnz .LBB176_14
; %bb.13:                               ;   in Loop: Header=BB176_4 Depth=1
	v_add_co_u32 v2, vcc_lo, v0, s46
	s_wait_alu 0xfffd
	v_add_co_ci_u32_e64 v3, null, s47, v1, vcc_lo
	s_mov_b32 s19, 0
	v_add_co_u32 v4, vcc_lo, v2, s46
	s_wait_alu 0xfffd
	v_add_co_ci_u32_e64 v5, null, s47, v3, vcc_lo
	s_delay_alu instid0(VALU_DEP_2) | instskip(SKIP_1) | instid1(VALU_DEP_2)
	v_add_co_u32 v6, vcc_lo, v4, s46
	s_wait_alu 0xfffd
	v_add_co_ci_u32_e64 v7, null, s47, v5, vcc_lo
	s_clause 0x3
	flat_load_b64 v[8:9], v[0:1]
	flat_load_b64 v[2:3], v[2:3]
	;; [unrolled: 1-line block ×4, first 2 shown]
	s_wait_loadcnt_dscnt 0x303
	ds_store_b64 v99, v[8:9]
	s_wait_loadcnt_dscnt 0x203
	ds_store_b64 v99, v[2:3] offset:2112
	s_wait_loadcnt_dscnt 0x103
	ds_store_b64 v99, v[4:5] offset:4224
	;; [unrolled: 2-line block ×3, first 2 shown]
.LBB176_14:                             ;   in Loop: Header=BB176_4 Depth=1
	s_wait_alu 0xfffe
	s_and_not1_b32 vcc_lo, exec_lo, s19
	s_wait_alu 0xfffe
	s_cbranch_vccnz .LBB176_24
; %bb.15:                               ;   in Loop: Header=BB176_4 Depth=1
	v_add_co_u32 v2, vcc_lo, v0, v38
	s_wait_alu 0xfffd
	v_add_co_ci_u32_e64 v3, null, v1, v39, vcc_lo
	s_lshl_b64 s[92:93], s[40:41], 3
	v_mov_b32_e32 v6, 0
	s_wait_alu 0xfffe
	v_add_co_u32 v2, vcc_lo, v2, s92
	s_wait_alu 0xfffd
	v_add_co_ci_u32_e64 v3, null, s93, v3, vcc_lo
	v_dual_mov_b32 v7, 0 :: v_dual_mov_b32 v4, 0
	s_delay_alu instid0(VALU_DEP_3) | instskip(SKIP_1) | instid1(VALU_DEP_3)
	v_add_co_u32 v2, vcc_lo, v2, -8
	s_wait_alu 0xfffd
	v_add_co_ci_u32_e64 v3, null, -1, v3, vcc_lo
	v_mov_b32_e32 v5, 0
	s_delay_alu instid0(VALU_DEP_3) | instskip(NEXT) | instid1(VALU_DEP_3)
	v_cndmask_b32_e64 v2, v2, v0, s1
	v_cndmask_b32_e64 v3, v3, v1, s1
	s_and_saveexec_b32 s19, s2
	s_cbranch_execz .LBB176_17
; %bb.16:                               ;   in Loop: Header=BB176_4 Depth=1
	flat_load_b64 v[4:5], v[2:3]
.LBB176_17:                             ;   in Loop: Header=BB176_4 Depth=1
	s_wait_alu 0xfffe
	s_or_b32 exec_lo, exec_lo, s19
	s_wait_loadcnt_dscnt 0x0
	ds_store_b64 v99, v[4:5]
	s_and_saveexec_b32 s19, s3
	s_cbranch_execz .LBB176_19
; %bb.18:                               ;   in Loop: Header=BB176_4 Depth=1
	v_add_co_u32 v4, vcc_lo, v2, s46
	s_wait_alu 0xfffd
	v_add_co_ci_u32_e64 v5, null, s47, v3, vcc_lo
	flat_load_b64 v[6:7], v[4:5]
.LBB176_19:                             ;   in Loop: Header=BB176_4 Depth=1
	s_wait_alu 0xfffe
	s_or_b32 exec_lo, exec_lo, s19
	v_mov_b32_e32 v4, 0
	v_dual_mov_b32 v5, 0 :: v_dual_mov_b32 v8, 0
	v_mov_b32_e32 v9, 0
	s_wait_loadcnt_dscnt 0x0
	ds_store_b64 v99, v[6:7] offset:2112
	s_and_saveexec_b32 s19, s4
	s_cbranch_execz .LBB176_21
; %bb.20:                               ;   in Loop: Header=BB176_4 Depth=1
	v_add_co_u32 v6, vcc_lo, v2, s48
	s_wait_alu 0xfffd
	v_add_co_ci_u32_e64 v7, null, s49, v3, vcc_lo
	flat_load_b64 v[8:9], v[6:7]
.LBB176_21:                             ;   in Loop: Header=BB176_4 Depth=1
	s_wait_alu 0xfffe
	s_or_b32 exec_lo, exec_lo, s19
	s_wait_loadcnt_dscnt 0x0
	ds_store_b64 v99, v[8:9] offset:4224
	s_and_saveexec_b32 s19, s5
	s_cbranch_execz .LBB176_23
; %bb.22:                               ;   in Loop: Header=BB176_4 Depth=1
	v_add_co_u32 v4, vcc_lo, v2, s36
	s_wait_alu 0xfffd
	v_add_co_ci_u32_e64 v5, null, s37, v3, vcc_lo
	flat_load_b64 v[4:5], v[4:5]
.LBB176_23:                             ;   in Loop: Header=BB176_4 Depth=1
	s_wait_alu 0xfffe
	s_or_b32 exec_lo, exec_lo, s19
	v_add_co_u32 v2, vcc_lo, v2, v104
	s_wait_alu 0xfffd
	v_add_co_ci_u32_e64 v3, null, 0, v3, vcc_lo
	s_lshl_b64 s[92:93], s[52:53], 3
	s_wait_loadcnt_dscnt 0x0
	ds_store_b64 v99, v[4:5] offset:6336
	s_wait_alu 0xfffe
	v_add_co_u32 v2, vcc_lo, v2, s92
	s_wait_alu 0xfffd
	v_add_co_ci_u32_e64 v3, null, s93, v3, vcc_lo
	s_delay_alu instid0(VALU_DEP_2) | instskip(SKIP_1) | instid1(VALU_DEP_2)
	v_add_co_u32 v2, vcc_lo, v2, 8
	s_wait_alu 0xfffd
	v_add_co_ci_u32_e64 v3, null, 0, v3, vcc_lo
	s_delay_alu instid0(VALU_DEP_2) | instskip(NEXT) | instid1(VALU_DEP_2)
	v_cndmask_b32_e64 v0, v2, v0, s1
	v_cndmask_b32_e64 v1, v3, v1, s1
.LBB176_24:                             ;   in Loop: Header=BB176_4 Depth=1
	s_wait_dscnt 0x0
	s_barrier_signal -1
	s_barrier_wait -1
	global_inv scope:SCOPE_SE
	s_and_saveexec_b32 s19, s6
	s_cbranch_execnz .LBB176_75
; %bb.25:                               ;   in Loop: Header=BB176_4 Depth=1
	s_wait_alu 0xfffe
	s_or_b32 exec_lo, exec_lo, s19
	s_and_saveexec_b32 s19, s7
	s_cbranch_execnz .LBB176_76
.LBB176_26:                             ;   in Loop: Header=BB176_4 Depth=1
	s_wait_alu 0xfffe
	s_or_b32 exec_lo, exec_lo, s19
	s_and_saveexec_b32 s19, s8
	s_cbranch_execnz .LBB176_77
.LBB176_27:                             ;   in Loop: Header=BB176_4 Depth=1
	s_wait_alu 0xfffe
	s_or_b32 exec_lo, exec_lo, s19
	s_and_saveexec_b32 s19, s9
	s_cbranch_execz .LBB176_29
.LBB176_28:                             ;   in Loop: Header=BB176_4 Depth=1
	ds_load_b64 v[2:3], v101 offset:528
	s_wait_dscnt 0x0
	ds_store_b64 v87, v[2:3] offset:24
.LBB176_29:                             ;   in Loop: Header=BB176_4 Depth=1
	s_wait_alu 0xfffe
	s_or_b32 exec_lo, exec_lo, s19
	s_wait_loadcnt_dscnt 0x0
	s_barrier_signal -1
	s_barrier_wait -1
	global_inv scope:SCOPE_SE
	ds_load_b64 v[10:11], v100
	ds_load_b128 v[2:5], v88
	ds_load_b128 v[6:9], v88 offset:16
	ds_load_b64 v[14:15], v101 offset:528
	v_mov_b32_e32 v46, 0
	v_mov_b32_e32 v47, 0
	s_wait_dscnt 0x2
	v_fma_f64 v[2:3], v[10:11], v[2:3], 0
	ds_load_2addr_b64 v[10:13], v101 offset1:33
	s_wait_loadcnt_dscnt 0x0
	s_barrier_signal -1
	s_barrier_wait -1
	global_inv scope:SCOPE_SE
	v_fma_f64 v[2:3], v[10:11], v[4:5], v[2:3]
	s_delay_alu instid0(VALU_DEP_1) | instskip(NEXT) | instid1(VALU_DEP_1)
	v_fma_f64 v[2:3], v[12:13], v[6:7], v[2:3]
	v_fma_f64 v[2:3], v[14:15], v[8:9], v[2:3]
	ds_store_b64 v89, v[2:3]
	s_wait_loadcnt_dscnt 0x0
	s_barrier_signal -1
	s_barrier_wait -1
	global_inv scope:SCOPE_SE
	s_and_saveexec_b32 s19, s10
	s_cbranch_execz .LBB176_31
; %bb.30:                               ;   in Loop: Header=BB176_4 Depth=1
	ds_load_2addr_b64 v[2:5], v86 offset1:1
	ds_load_2addr_b64 v[6:9], v86 offset0:2 offset1:3
	s_wait_dscnt 0x1
	v_add_f64_e32 v[2:3], v[2:3], v[4:5]
	s_wait_dscnt 0x0
	s_delay_alu instid0(VALU_DEP_1) | instskip(NEXT) | instid1(VALU_DEP_1)
	v_add_f64_e32 v[2:3], v[2:3], v[6:7]
	v_add_f64_e32 v[10:11], v[2:3], v[8:9]
	ds_load_2addr_b64 v[2:5], v86 offset0:4 offset1:5
	ds_load_2addr_b64 v[6:9], v86 offset0:6 offset1:7
	s_wait_dscnt 0x1
	v_add_f64_e32 v[2:3], v[10:11], v[2:3]
	s_delay_alu instid0(VALU_DEP_1) | instskip(SKIP_1) | instid1(VALU_DEP_1)
	v_add_f64_e32 v[2:3], v[2:3], v[4:5]
	s_wait_dscnt 0x0
	v_add_f64_e32 v[2:3], v[2:3], v[6:7]
	s_delay_alu instid0(VALU_DEP_1)
	v_add_f64_e32 v[46:47], v[2:3], v[8:9]
.LBB176_31:                             ;   in Loop: Header=BB176_4 Depth=1
	s_wait_alu 0xfffe
	s_or_b32 exec_lo, exec_lo, s19
	s_lshl_b64 s[92:93], s[50:51], 3
	v_cmp_ne_u32_e32 vcc_lo, 1, v85
	s_wait_alu 0xfffe
	v_add_co_u32 v0, s19, v0, s92
	s_wait_alu 0xf1ff
	v_add_co_ci_u32_e64 v1, null, s93, v1, s19
	s_and_b32 vcc_lo, exec_lo, vcc_lo
	s_mov_b32 s19, -1
	s_wait_loadcnt 0x0
	s_barrier_signal -1
	s_barrier_wait -1
	global_inv scope:SCOPE_SE
	s_wait_alu 0xfffe
	s_cbranch_vccnz .LBB176_33
; %bb.32:                               ;   in Loop: Header=BB176_4 Depth=1
	v_add_co_u32 v2, vcc_lo, v0, s46
	s_wait_alu 0xfffd
	v_add_co_ci_u32_e64 v3, null, s47, v1, vcc_lo
	s_mov_b32 s19, 0
	v_add_co_u32 v4, vcc_lo, v2, s46
	s_wait_alu 0xfffd
	v_add_co_ci_u32_e64 v5, null, s47, v3, vcc_lo
	s_delay_alu instid0(VALU_DEP_2) | instskip(SKIP_1) | instid1(VALU_DEP_2)
	v_add_co_u32 v6, vcc_lo, v4, s46
	s_wait_alu 0xfffd
	v_add_co_ci_u32_e64 v7, null, s47, v5, vcc_lo
	s_clause 0x3
	flat_load_b64 v[8:9], v[0:1] offset:256
	flat_load_b64 v[2:3], v[2:3] offset:256
	;; [unrolled: 1-line block ×4, first 2 shown]
	s_wait_loadcnt_dscnt 0x303
	ds_store_b64 v99, v[8:9]
	s_wait_loadcnt_dscnt 0x203
	ds_store_b64 v99, v[2:3] offset:2112
	s_wait_loadcnt_dscnt 0x103
	ds_store_b64 v99, v[4:5] offset:4224
	;; [unrolled: 2-line block ×3, first 2 shown]
.LBB176_33:                             ;   in Loop: Header=BB176_4 Depth=1
	v_add_co_u32 v8, vcc_lo, 0x100, v0
	s_wait_alu 0xfffd
	v_add_co_ci_u32_e64 v9, null, 0, v1, vcc_lo
	s_wait_alu 0xfffe
	s_and_not1_b32 vcc_lo, exec_lo, s19
	s_wait_alu 0xfffe
	s_cbranch_vccnz .LBB176_43
; %bb.34:                               ;   in Loop: Header=BB176_4 Depth=1
	v_add_co_u32 v0, vcc_lo, v0, v38
	s_wait_alu 0xfffd
	v_add_co_ci_u32_e64 v1, null, v1, v39, vcc_lo
	s_lshl_b64 s[92:93], s[40:41], 3
	v_mov_b32_e32 v4, 0
	s_wait_alu 0xfffe
	v_add_co_u32 v0, vcc_lo, v0, s92
	s_wait_alu 0xfffd
	v_add_co_ci_u32_e64 v1, null, s93, v1, vcc_lo
	v_dual_mov_b32 v5, 0 :: v_dual_mov_b32 v2, 0
	s_delay_alu instid0(VALU_DEP_3) | instskip(SKIP_1) | instid1(VALU_DEP_3)
	v_add_co_u32 v0, vcc_lo, v0, -8
	s_wait_alu 0xfffd
	v_add_co_ci_u32_e64 v1, null, -1, v1, vcc_lo
	v_mov_b32_e32 v3, 0
	s_delay_alu instid0(VALU_DEP_3) | instskip(NEXT) | instid1(VALU_DEP_3)
	v_cndmask_b32_e64 v0, v0, v8, s11
	v_cndmask_b32_e64 v1, v1, v9, s11
	s_and_saveexec_b32 s19, s12
	s_cbranch_execz .LBB176_36
; %bb.35:                               ;   in Loop: Header=BB176_4 Depth=1
	flat_load_b64 v[2:3], v[0:1]
.LBB176_36:                             ;   in Loop: Header=BB176_4 Depth=1
	s_wait_alu 0xfffe
	s_or_b32 exec_lo, exec_lo, s19
	s_wait_loadcnt_dscnt 0x0
	ds_store_b64 v99, v[2:3]
	s_and_saveexec_b32 s19, s13
	s_cbranch_execz .LBB176_38
; %bb.37:                               ;   in Loop: Header=BB176_4 Depth=1
	v_add_co_u32 v2, vcc_lo, v0, s46
	s_wait_alu 0xfffd
	v_add_co_ci_u32_e64 v3, null, s47, v1, vcc_lo
	flat_load_b64 v[4:5], v[2:3]
.LBB176_38:                             ;   in Loop: Header=BB176_4 Depth=1
	s_wait_alu 0xfffe
	s_or_b32 exec_lo, exec_lo, s19
	v_mov_b32_e32 v2, 0
	v_dual_mov_b32 v3, 0 :: v_dual_mov_b32 v6, 0
	v_mov_b32_e32 v7, 0
	s_wait_loadcnt_dscnt 0x0
	ds_store_b64 v99, v[4:5] offset:2112
	s_and_saveexec_b32 s19, s14
	s_cbranch_execz .LBB176_40
; %bb.39:                               ;   in Loop: Header=BB176_4 Depth=1
	v_add_co_u32 v4, vcc_lo, v0, s48
	s_wait_alu 0xfffd
	v_add_co_ci_u32_e64 v5, null, s49, v1, vcc_lo
	flat_load_b64 v[6:7], v[4:5]
.LBB176_40:                             ;   in Loop: Header=BB176_4 Depth=1
	s_wait_alu 0xfffe
	s_or_b32 exec_lo, exec_lo, s19
	s_wait_loadcnt_dscnt 0x0
	ds_store_b64 v99, v[6:7] offset:4224
	s_and_saveexec_b32 s19, s15
	s_cbranch_execz .LBB176_42
; %bb.41:                               ;   in Loop: Header=BB176_4 Depth=1
	v_add_co_u32 v2, vcc_lo, v0, s36
	s_wait_alu 0xfffd
	v_add_co_ci_u32_e64 v3, null, s37, v1, vcc_lo
	flat_load_b64 v[2:3], v[2:3]
.LBB176_42:                             ;   in Loop: Header=BB176_4 Depth=1
	s_wait_alu 0xfffe
	s_or_b32 exec_lo, exec_lo, s19
	v_add_co_u32 v0, vcc_lo, v0, v104
	s_wait_alu 0xfffd
	v_add_co_ci_u32_e64 v1, null, 0, v1, vcc_lo
	s_lshl_b64 s[92:93], s[52:53], 3
	s_wait_loadcnt_dscnt 0x0
	ds_store_b64 v99, v[2:3] offset:6336
	s_wait_alu 0xfffe
	v_add_co_u32 v0, vcc_lo, v0, s92
	s_wait_alu 0xfffd
	v_add_co_ci_u32_e64 v1, null, s93, v1, vcc_lo
	s_delay_alu instid0(VALU_DEP_2) | instskip(SKIP_1) | instid1(VALU_DEP_2)
	v_add_co_u32 v0, vcc_lo, 0x108, v0
	s_wait_alu 0xfffd
	v_add_co_ci_u32_e64 v1, null, 0, v1, vcc_lo
	s_delay_alu instid0(VALU_DEP_2) | instskip(NEXT) | instid1(VALU_DEP_2)
	v_cndmask_b32_e64 v8, v0, v8, s11
	v_cndmask_b32_e64 v9, v1, v9, s11
.LBB176_43:                             ;   in Loop: Header=BB176_4 Depth=1
	s_wait_loadcnt_dscnt 0x0
	s_barrier_signal -1
	s_barrier_wait -1
	global_inv scope:SCOPE_SE
	s_and_saveexec_b32 s19, s6
	s_cbranch_execnz .LBB176_78
; %bb.44:                               ;   in Loop: Header=BB176_4 Depth=1
	s_wait_alu 0xfffe
	s_or_b32 exec_lo, exec_lo, s19
	s_and_saveexec_b32 s19, s7
	s_cbranch_execnz .LBB176_79
.LBB176_45:                             ;   in Loop: Header=BB176_4 Depth=1
	s_wait_alu 0xfffe
	s_or_b32 exec_lo, exec_lo, s19
	s_and_saveexec_b32 s19, s8
	s_cbranch_execnz .LBB176_80
.LBB176_46:                             ;   in Loop: Header=BB176_4 Depth=1
	s_wait_alu 0xfffe
	s_or_b32 exec_lo, exec_lo, s19
	s_and_saveexec_b32 s19, s9
	s_cbranch_execz .LBB176_48
.LBB176_47:                             ;   in Loop: Header=BB176_4 Depth=1
	ds_load_b64 v[0:1], v101 offset:528
	s_wait_dscnt 0x0
	ds_store_b64 v87, v[0:1] offset:24
.LBB176_48:                             ;   in Loop: Header=BB176_4 Depth=1
	s_wait_alu 0xfffe
	s_or_b32 exec_lo, exec_lo, s19
	s_wait_loadcnt_dscnt 0x0
	s_barrier_signal -1
	s_barrier_wait -1
	global_inv scope:SCOPE_SE
	ds_load_b64 v[10:11], v100
	ds_load_b128 v[0:3], v88 offset:256
	ds_load_b128 v[4:7], v88 offset:272
	ds_load_b64 v[14:15], v101 offset:528
	s_wait_dscnt 0x2
	v_fma_f64 v[0:1], v[10:11], v[0:1], 0
	ds_load_2addr_b64 v[10:13], v101 offset1:33
	s_wait_loadcnt_dscnt 0x0
	s_barrier_signal -1
	s_barrier_wait -1
	global_inv scope:SCOPE_SE
	v_fma_f64 v[0:1], v[10:11], v[2:3], v[0:1]
	s_delay_alu instid0(VALU_DEP_1) | instskip(NEXT) | instid1(VALU_DEP_1)
	v_fma_f64 v[0:1], v[12:13], v[4:5], v[0:1]
	v_fma_f64 v[0:1], v[14:15], v[6:7], v[0:1]
	ds_store_b64 v89, v[0:1]
	s_wait_loadcnt_dscnt 0x0
	s_barrier_signal -1
	s_barrier_wait -1
	global_inv scope:SCOPE_SE
	s_and_saveexec_b32 s19, s16
	s_cbranch_execz .LBB176_50
; %bb.49:                               ;   in Loop: Header=BB176_4 Depth=1
	ds_load_2addr_b64 v[0:3], v86 offset1:1
	ds_load_2addr_b64 v[4:7], v86 offset0:2 offset1:3
	s_wait_dscnt 0x1
	v_add_f64_e32 v[0:1], v[0:1], v[2:3]
	s_wait_dscnt 0x0
	s_delay_alu instid0(VALU_DEP_1) | instskip(NEXT) | instid1(VALU_DEP_1)
	v_add_f64_e32 v[0:1], v[0:1], v[4:5]
	v_add_f64_e32 v[10:11], v[0:1], v[6:7]
	ds_load_2addr_b64 v[0:3], v86 offset0:4 offset1:5
	ds_load_2addr_b64 v[4:7], v86 offset0:6 offset1:7
	s_wait_dscnt 0x1
	v_add_f64_e32 v[0:1], v[10:11], v[0:1]
	s_delay_alu instid0(VALU_DEP_1) | instskip(SKIP_1) | instid1(VALU_DEP_1)
	v_add_f64_e32 v[0:1], v[0:1], v[2:3]
	s_wait_dscnt 0x0
	v_add_f64_e32 v[0:1], v[0:1], v[4:5]
	s_delay_alu instid0(VALU_DEP_1)
	v_add_f64_e32 v[46:47], v[0:1], v[6:7]
.LBB176_50:                             ;   in Loop: Header=BB176_4 Depth=1
	s_wait_alu 0xfffe
	s_or_b32 exec_lo, exec_lo, s19
	v_cmp_ne_u32_e32 vcc_lo, 1, v85
	v_add_co_u32 v18, s19, v8, s86
	s_wait_alu 0xf1ff
	v_add_co_ci_u32_e64 v19, null, s87, v9, s19
	s_and_b32 vcc_lo, exec_lo, vcc_lo
	s_mov_b32 s19, -1
	s_wait_loadcnt 0x0
	s_barrier_signal -1
	s_barrier_wait -1
	global_inv scope:SCOPE_SE
	s_wait_alu 0xfffe
	s_cbranch_vccnz .LBB176_52
; %bb.51:                               ;   in Loop: Header=BB176_4 Depth=1
	v_add_co_u32 v0, vcc_lo, v18, s46
	s_wait_alu 0xfffd
	v_add_co_ci_u32_e64 v1, null, s47, v19, vcc_lo
	s_mov_b32 s19, 0
	v_add_co_u32 v2, vcc_lo, v0, s46
	s_wait_alu 0xfffd
	v_add_co_ci_u32_e64 v3, null, s47, v1, vcc_lo
	s_delay_alu instid0(VALU_DEP_2) | instskip(SKIP_1) | instid1(VALU_DEP_2)
	v_add_co_u32 v4, vcc_lo, v2, s46
	s_wait_alu 0xfffd
	v_add_co_ci_u32_e64 v5, null, s47, v3, vcc_lo
	s_clause 0x3
	flat_load_b64 v[6:7], v[18:19]
	flat_load_b64 v[0:1], v[0:1]
	;; [unrolled: 1-line block ×4, first 2 shown]
	s_wait_loadcnt_dscnt 0x303
	ds_store_b64 v99, v[6:7]
	s_wait_loadcnt_dscnt 0x203
	ds_store_b64 v99, v[0:1] offset:2112
	s_wait_loadcnt_dscnt 0x103
	ds_store_b64 v99, v[2:3] offset:4224
	;; [unrolled: 2-line block ×3, first 2 shown]
.LBB176_52:                             ;   in Loop: Header=BB176_4 Depth=1
	s_wait_alu 0xfffe
	s_and_not1_b32 vcc_lo, exec_lo, s19
	s_wait_alu 0xfffe
	s_cbranch_vccnz .LBB176_62
; %bb.53:                               ;   in Loop: Header=BB176_4 Depth=1
	v_add_co_u32 v0, vcc_lo, v18, v38
	s_wait_alu 0xfffd
	v_add_co_ci_u32_e64 v1, null, v19, v39, vcc_lo
	s_lshl_b64 s[92:93], s[40:41], 3
	v_mov_b32_e32 v4, 0
	s_wait_alu 0xfffe
	v_add_co_u32 v0, vcc_lo, v0, s92
	s_wait_alu 0xfffd
	v_add_co_ci_u32_e64 v1, null, s93, v1, vcc_lo
	v_dual_mov_b32 v5, 0 :: v_dual_mov_b32 v2, 0
	s_delay_alu instid0(VALU_DEP_3) | instskip(SKIP_1) | instid1(VALU_DEP_3)
	v_add_co_u32 v0, vcc_lo, 0xfffffef8, v0
	s_wait_alu 0xfffd
	v_add_co_ci_u32_e64 v1, null, -1, v1, vcc_lo
	v_mov_b32_e32 v3, 0
	s_delay_alu instid0(VALU_DEP_3) | instskip(NEXT) | instid1(VALU_DEP_3)
	v_cndmask_b32_e64 v0, v0, v18, s11
	v_cndmask_b32_e64 v1, v1, v19, s11
	s_and_saveexec_b32 s19, s2
	s_cbranch_execz .LBB176_55
; %bb.54:                               ;   in Loop: Header=BB176_4 Depth=1
	flat_load_b64 v[2:3], v[0:1]
.LBB176_55:                             ;   in Loop: Header=BB176_4 Depth=1
	s_wait_alu 0xfffe
	s_or_b32 exec_lo, exec_lo, s19
	s_wait_loadcnt_dscnt 0x0
	ds_store_b64 v99, v[2:3]
	s_and_saveexec_b32 s19, s3
	s_cbranch_execz .LBB176_57
; %bb.56:                               ;   in Loop: Header=BB176_4 Depth=1
	v_add_co_u32 v2, vcc_lo, v0, s46
	s_wait_alu 0xfffd
	v_add_co_ci_u32_e64 v3, null, s47, v1, vcc_lo
	flat_load_b64 v[4:5], v[2:3]
.LBB176_57:                             ;   in Loop: Header=BB176_4 Depth=1
	s_wait_alu 0xfffe
	s_or_b32 exec_lo, exec_lo, s19
	v_mov_b32_e32 v2, 0
	v_dual_mov_b32 v3, 0 :: v_dual_mov_b32 v6, 0
	v_mov_b32_e32 v7, 0
	s_wait_loadcnt_dscnt 0x0
	ds_store_b64 v99, v[4:5] offset:2112
	s_and_saveexec_b32 s19, s4
	s_cbranch_execz .LBB176_59
; %bb.58:                               ;   in Loop: Header=BB176_4 Depth=1
	v_add_co_u32 v4, vcc_lo, v0, s48
	s_wait_alu 0xfffd
	v_add_co_ci_u32_e64 v5, null, s49, v1, vcc_lo
	flat_load_b64 v[6:7], v[4:5]
.LBB176_59:                             ;   in Loop: Header=BB176_4 Depth=1
	s_wait_alu 0xfffe
	s_or_b32 exec_lo, exec_lo, s19
	s_wait_loadcnt_dscnt 0x0
	ds_store_b64 v99, v[6:7] offset:4224
	s_and_saveexec_b32 s19, s5
	s_cbranch_execz .LBB176_61
; %bb.60:                               ;   in Loop: Header=BB176_4 Depth=1
	v_add_co_u32 v2, vcc_lo, v0, s36
	s_wait_alu 0xfffd
	v_add_co_ci_u32_e64 v3, null, s37, v1, vcc_lo
	flat_load_b64 v[2:3], v[2:3]
.LBB176_61:                             ;   in Loop: Header=BB176_4 Depth=1
	s_wait_alu 0xfffe
	s_or_b32 exec_lo, exec_lo, s19
	v_add_co_u32 v0, vcc_lo, v0, v104
	s_wait_alu 0xfffd
	v_add_co_ci_u32_e64 v1, null, 0, v1, vcc_lo
	s_lshl_b64 s[92:93], s[52:53], 3
	s_wait_loadcnt_dscnt 0x0
	ds_store_b64 v99, v[2:3] offset:6336
	s_wait_alu 0xfffe
	v_add_co_u32 v0, vcc_lo, v0, s92
	s_wait_alu 0xfffd
	v_add_co_ci_u32_e64 v1, null, s93, v1, vcc_lo
	s_delay_alu instid0(VALU_DEP_2) | instskip(SKIP_1) | instid1(VALU_DEP_2)
	v_add_co_u32 v0, vcc_lo, 0x108, v0
	s_wait_alu 0xfffd
	v_add_co_ci_u32_e64 v1, null, 0, v1, vcc_lo
	s_delay_alu instid0(VALU_DEP_2) | instskip(NEXT) | instid1(VALU_DEP_2)
	v_cndmask_b32_e64 v18, v0, v18, s11
	v_cndmask_b32_e64 v19, v1, v19, s11
.LBB176_62:                             ;   in Loop: Header=BB176_4 Depth=1
	s_wait_loadcnt_dscnt 0x0
	s_barrier_signal -1
	s_barrier_wait -1
	global_inv scope:SCOPE_SE
	ds_load_b64 v[0:1], v99
	ds_load_b64 v[2:3], v102
	ds_load_b64 v[4:5], v99 offset:6336
	ds_load_b64 v[6:7], v99 offset:2112
	;; [unrolled: 1-line block ×4, first 2 shown]
	s_wait_dscnt 0x4
	v_fma_f64 v[12:13], v[0:1], v[2:3], 0
	ds_load_2addr_b64 v[0:3], v98 offset0:8 offset1:16
	s_wait_dscnt 0x0
	v_fma_f64 v[0:1], v[6:7], v[0:1], v[12:13]
	s_delay_alu instid0(VALU_DEP_1) | instskip(NEXT) | instid1(VALU_DEP_1)
	v_fma_f64 v[0:1], v[8:9], v[2:3], v[0:1]
	v_fma_f64 v[20:21], v[4:5], v[10:11], v[0:1]
	ds_load_b128 v[8:11], v88 offset:256
	ds_load_b128 v[0:3], v88 offset:272
	ds_load_2addr_b64 v[12:15], v90 offset1:1
	ds_load_2addr_b64 v[4:7], v90 offset0:2 offset1:3
	s_wait_loadcnt_dscnt 0x0
	s_barrier_signal -1
	s_barrier_wait -1
	global_inv scope:SCOPE_SE
	ds_store_b64 v89, v[20:21]
	s_wait_loadcnt_dscnt 0x0
	s_barrier_signal -1
	s_barrier_wait -1
	global_inv scope:SCOPE_SE
	s_and_saveexec_b32 s19, s16
	s_cbranch_execz .LBB176_64
; %bb.63:                               ;   in Loop: Header=BB176_4 Depth=1
	ds_load_2addr_b64 v[20:23], v86 offset1:1
	ds_load_2addr_b64 v[24:27], v86 offset0:2 offset1:3
	s_wait_dscnt 0x1
	v_add_f64_e32 v[20:21], v[46:47], v[20:21]
	s_delay_alu instid0(VALU_DEP_1) | instskip(SKIP_1) | instid1(VALU_DEP_1)
	v_add_f64_e32 v[20:21], v[20:21], v[22:23]
	s_wait_dscnt 0x0
	v_add_f64_e32 v[20:21], v[20:21], v[24:25]
	s_delay_alu instid0(VALU_DEP_1) | instskip(SKIP_4) | instid1(VALU_DEP_1)
	v_add_f64_e32 v[28:29], v[20:21], v[26:27]
	ds_load_2addr_b64 v[20:23], v86 offset0:4 offset1:5
	ds_load_2addr_b64 v[24:27], v86 offset0:6 offset1:7
	s_wait_dscnt 0x1
	v_add_f64_e32 v[20:21], v[28:29], v[20:21]
	v_add_f64_e32 v[20:21], v[20:21], v[22:23]
	s_wait_dscnt 0x0
	s_delay_alu instid0(VALU_DEP_1) | instskip(NEXT) | instid1(VALU_DEP_1)
	v_add_f64_e32 v[20:21], v[20:21], v[24:25]
	v_add_f64_e32 v[46:47], v[20:21], v[26:27]
.LBB176_64:                             ;   in Loop: Header=BB176_4 Depth=1
	s_wait_alu 0xfffe
	s_or_b32 exec_lo, exec_lo, s19
	v_fma_f64 v[8:9], v[12:13], v[8:9], 0
	s_wait_loadcnt 0x0
	s_barrier_signal -1
	s_barrier_wait -1
	global_inv scope:SCOPE_SE
	v_fma_f64 v[8:9], v[14:15], v[10:11], v[8:9]
	s_delay_alu instid0(VALU_DEP_1) | instskip(NEXT) | instid1(VALU_DEP_1)
	v_fma_f64 v[0:1], v[4:5], v[0:1], v[8:9]
	v_fma_f64 v[0:1], v[6:7], v[2:3], v[0:1]
	ds_store_b64 v89, v[0:1]
	s_wait_loadcnt_dscnt 0x0
	s_barrier_signal -1
	s_barrier_wait -1
	global_inv scope:SCOPE_SE
	s_and_saveexec_b32 s19, s10
	s_cbranch_execz .LBB176_66
; %bb.65:                               ;   in Loop: Header=BB176_4 Depth=1
	ds_load_2addr_b64 v[0:3], v86 offset1:1
	ds_load_2addr_b64 v[4:7], v86 offset0:2 offset1:3
	s_wait_dscnt 0x1
	v_add_f64_e32 v[0:1], v[46:47], v[0:1]
	s_delay_alu instid0(VALU_DEP_1) | instskip(SKIP_1) | instid1(VALU_DEP_1)
	v_add_f64_e32 v[0:1], v[0:1], v[2:3]
	s_wait_dscnt 0x0
	v_add_f64_e32 v[0:1], v[0:1], v[4:5]
	s_delay_alu instid0(VALU_DEP_1) | instskip(SKIP_4) | instid1(VALU_DEP_1)
	v_add_f64_e32 v[8:9], v[0:1], v[6:7]
	ds_load_2addr_b64 v[0:3], v86 offset0:4 offset1:5
	ds_load_2addr_b64 v[4:7], v86 offset0:6 offset1:7
	s_wait_dscnt 0x1
	v_add_f64_e32 v[0:1], v[8:9], v[0:1]
	v_add_f64_e32 v[0:1], v[0:1], v[2:3]
	s_wait_dscnt 0x0
	s_delay_alu instid0(VALU_DEP_1) | instskip(NEXT) | instid1(VALU_DEP_1)
	v_add_f64_e32 v[0:1], v[0:1], v[4:5]
	v_add_f64_e32 v[46:47], v[0:1], v[6:7]
.LBB176_66:                             ;   in Loop: Header=BB176_4 Depth=1
	s_wait_alu 0xfffe
	s_or_b32 exec_lo, exec_lo, s19
	s_mul_u64 s[92:93], s[38:39], s[28:29]
	s_and_not1_b32 vcc_lo, exec_lo, s97
	s_wait_alu 0xfffe
	s_lshl_b64 s[92:93], s[92:93], 3
	s_wait_loadcnt 0x0
	s_wait_alu 0xfffe
	s_add_nc_u64 s[92:93], s[44:45], s[92:93]
	s_barrier_signal -1
	s_barrier_wait -1
	global_inv scope:SCOPE_SE
	s_cbranch_vccnz .LBB176_73
; %bb.67:                               ;   in Loop: Header=BB176_4 Depth=1
	v_add_co_u32 v0, vcc_lo, v18, s90
	s_wait_alu 0xfffd
	v_add_co_ci_u32_e64 v1, null, s91, v19, vcc_lo
	v_lshlrev_b32_e32 v2, 3, v82
	s_delay_alu instid0(VALU_DEP_3) | instskip(SKIP_1) | instid1(VALU_DEP_3)
	v_add_co_u32 v0, vcc_lo, v0, v40
	s_wait_alu 0xfffd
	v_add_co_ci_u32_e64 v1, null, v1, v41, vcc_lo
	s_lshl_b64 s[100:101], s[40:41], 3
	v_add_co_u32 v0, vcc_lo, v0, v42
	s_wait_alu 0xfffd
	v_add_co_ci_u32_e64 v1, null, v1, v43, vcc_lo
	s_mov_b32 s19, ttmp9
	s_wait_alu 0xfffe
	v_add_co_u32 v3, vcc_lo, v0, s100
	s_wait_alu 0xfffd
	v_add_co_ci_u32_e64 v4, null, s101, v1, vcc_lo
	v_add_co_u32 v0, vcc_lo, v0, v2
	s_wait_alu 0xfffd
	v_add_co_ci_u32_e64 v1, null, 0, v1, vcc_lo
	v_add_co_u32 v2, vcc_lo, 0xfffffef8, v3
	s_wait_alu 0xfffd
	v_add_co_ci_u32_e64 v3, null, -1, v4, vcc_lo
	v_add_co_u32 v0, vcc_lo, 0xffffff00, v0
	s_wait_alu 0xfffd
	v_add_co_ci_u32_e64 v1, null, -1, v1, vcc_lo
	v_add_co_u32 v105, vcc_lo, v16, s88
	s_wait_alu 0xfffd
	v_add_co_ci_u32_e64 v106, null, s89, v17, vcc_lo
	s_delay_alu instid0(VALU_DEP_3)
	v_cndmask_b32_e64 v49, v1, v3, s17
	v_cndmask_b32_e64 v48, v0, v2, s17
	s_mov_b32 s34, 0
	s_branch .LBB176_69
.LBB176_68:                             ;   in Loop: Header=BB176_69 Depth=2
	s_or_b32 exec_lo, exec_lo, s29
	v_fma_f64 v[0:1], v[50:51], v[0:1], v[46:47]
	v_add_co_u32 v48, vcc_lo, v48, s58
	s_wait_alu 0xfffd
	v_add_co_ci_u32_e64 v49, null, s59, v49, vcc_lo
	s_wait_alu 0xfffe
	s_add_co_i32 s19, s19, -1
	s_add_co_i32 s34, s34, 64
	s_wait_alu 0xfffe
	s_cmp_eq_u32 s19, 0
	s_wait_loadcnt 0x0
	s_wait_storecnt 0x0
	s_barrier_signal -1
	s_barrier_wait -1
	global_inv scope:SCOPE_SE
	v_fma_f64 v[0:1], v[52:53], v[2:3], v[0:1]
	s_delay_alu instid0(VALU_DEP_1) | instskip(NEXT) | instid1(VALU_DEP_1)
	v_fma_f64 v[0:1], v[54:55], v[4:5], v[0:1]
	v_fma_f64 v[0:1], v[56:57], v[6:7], v[0:1]
	s_delay_alu instid0(VALU_DEP_1) | instskip(NEXT) | instid1(VALU_DEP_1)
	v_fma_f64 v[0:1], v[58:59], v[8:9], v[0:1]
	;; [unrolled: 3-line block ×7, first 2 shown]
	v_fma_f64 v[46:47], v[80:81], v[30:31], v[0:1]
	s_cbranch_scc1 .LBB176_73
.LBB176_69:                             ;   Parent Loop BB176_4 Depth=1
                                        ; =>  This Inner Loop Header: Depth=2
	s_and_saveexec_b32 s29, s0
	s_cbranch_execz .LBB176_71
; %bb.70:                               ;   in Loop: Header=BB176_69 Depth=2
	s_wait_alu 0xfffe
	s_mul_u64 s[100:101], s[30:31], s[34:35]
	s_wait_alu 0xfffe
	s_lshl_b64 s[100:101], s[100:101], 3
	s_wait_alu 0xfffe
	v_add_co_u32 v0, vcc_lo, v105, s100
	s_wait_alu 0xfffd
	v_add_co_ci_u32_e64 v1, null, s101, v106, vcc_lo
	flat_load_b64 v[0:1], v[0:1]
	s_wait_loadcnt_dscnt 0x0
	ds_store_b64 v91, v[0:1]
.LBB176_71:                             ;   in Loop: Header=BB176_69 Depth=2
	s_or_b32 exec_lo, exec_lo, s29
	v_add_co_u32 v0, vcc_lo, v48, s54
	s_wait_alu 0xfffd
	v_add_co_ci_u32_e64 v1, null, s55, v49, vcc_lo
	v_add_co_u32 v2, vcc_lo, v48, s56
	s_wait_alu 0xfffd
	v_add_co_ci_u32_e64 v3, null, s57, v49, vcc_lo
	;; [unrolled: 3-line block ×3, first 2 shown]
	s_wait_loadcnt_dscnt 0x0
	s_barrier_signal -1
	s_barrier_wait -1
	global_inv scope:SCOPE_SE
	s_clause 0x3
	flat_load_b64 v[50:51], v[48:49]
	flat_load_b64 v[52:53], v[0:1]
	;; [unrolled: 1-line block ×4, first 2 shown]
	ds_load_b64 v[4:5], v84
	ds_load_b128 v[0:3], v92
	v_add_co_u32 v16, vcc_lo, v48, s48
	s_wait_alu 0xfffd
	v_add_co_ci_u32_e64 v17, null, s49, v49, vcc_lo
	v_add_co_u32 v18, vcc_lo, v48, s82
	s_wait_alu 0xfffd
	v_add_co_ci_u32_e64 v19, null, s83, v49, vcc_lo
	;; [unrolled: 3-line block ×12, first 2 shown]
	s_wait_loadcnt_dscnt 0x301
	v_mul_f64_e32 v[8:9], v[50:51], v[4:5]
	s_wait_loadcnt 0x2
	v_mul_f64_e32 v[10:11], v[52:53], v[4:5]
	s_wait_loadcnt 0x1
	v_mul_f64_e32 v[12:13], v[54:55], v[4:5]
	s_wait_loadcnt 0x0
	v_mul_f64_e32 v[14:15], v[56:57], v[4:5]
	ds_load_b128 v[4:7], v92 offset:16
	ds_store_2addr_b64 v93, v[8:9], v[10:11] offset1:67
	ds_store_2addr_b64 v93, v[12:13], v[14:15] offset0:134 offset1:201
	s_wait_dscnt 0x0
	s_barrier_signal -1
	s_barrier_wait -1
	global_inv scope:SCOPE_SE
	ds_load_2addr_b64 v[107:110], v94 offset1:1
	ds_load_2addr_b64 v[111:114], v94 offset0:2 offset1:3
	s_wait_loadcnt_dscnt 0x0
	s_barrier_signal -1
	s_barrier_wait -1
	global_inv scope:SCOPE_SE
	s_clause 0x3
	flat_load_b64 v[58:59], v[16:17]
	flat_load_b64 v[60:61], v[18:19]
	flat_load_b64 v[62:63], v[20:21]
	flat_load_b64 v[64:65], v[22:23]
	ds_load_b64 v[12:13], v84
	ds_load_b128 v[8:11], v92 offset:128
	v_add_f64_e32 v[107:108], 0, v[107:108]
	s_delay_alu instid0(VALU_DEP_1) | instskip(NEXT) | instid1(VALU_DEP_1)
	v_add_f64_e32 v[107:108], v[107:108], v[109:110]
	v_add_f64_e32 v[107:108], v[107:108], v[111:112]
	s_delay_alu instid0(VALU_DEP_1)
	v_add_f64_e32 v[107:108], v[107:108], v[113:114]
	s_wait_loadcnt_dscnt 0x301
	v_mul_f64_e32 v[16:17], v[58:59], v[12:13]
	s_wait_loadcnt 0x2
	v_mul_f64_e32 v[18:19], v[60:61], v[12:13]
	s_wait_loadcnt 0x1
	v_mul_f64_e32 v[20:21], v[62:63], v[12:13]
	s_wait_loadcnt 0x0
	v_mul_f64_e32 v[22:23], v[64:65], v[12:13]
	ds_load_b128 v[12:15], v92 offset:144
	ds_store_2addr_b64 v93, v[16:17], v[18:19] offset1:67
	ds_store_2addr_b64 v93, v[20:21], v[22:23] offset0:134 offset1:201
	s_wait_dscnt 0x0
	s_barrier_signal -1
	s_barrier_wait -1
	global_inv scope:SCOPE_SE
	ds_load_2addr_b64 v[115:118], v94 offset1:1
	ds_load_2addr_b64 v[119:122], v94 offset0:2 offset1:3
	s_wait_loadcnt_dscnt 0x0
	s_barrier_signal -1
	s_barrier_wait -1
	global_inv scope:SCOPE_SE
	s_clause 0x3
	flat_load_b64 v[66:67], v[24:25]
	flat_load_b64 v[68:69], v[26:27]
	flat_load_b64 v[70:71], v[28:29]
	flat_load_b64 v[72:73], v[30:31]
	ds_load_b64 v[20:21], v84
	ds_load_b128 v[16:19], v92 offset:256
	v_add_f64_e32 v[115:116], 0, v[115:116]
	s_delay_alu instid0(VALU_DEP_1) | instskip(NEXT) | instid1(VALU_DEP_1)
	v_add_f64_e32 v[109:110], v[115:116], v[117:118]
	v_add_f64_e32 v[109:110], v[109:110], v[119:120]
	s_delay_alu instid0(VALU_DEP_1)
	v_add_f64_e32 v[109:110], v[109:110], v[121:122]
	;; [unrolled: 34-line block ×3, first 2 shown]
	s_wait_loadcnt_dscnt 0x301
	v_mul_f64_e32 v[131:132], v[74:75], v[28:29]
	s_wait_loadcnt 0x2
	v_mul_f64_e32 v[133:134], v[76:77], v[28:29]
	s_wait_loadcnt 0x1
	;; [unrolled: 2-line block ×3, first 2 shown]
	v_mul_f64_e32 v[137:138], v[80:81], v[28:29]
	ds_load_b128 v[28:31], v92 offset:400
	ds_store_2addr_b64 v93, v[131:132], v[133:134] offset1:67
	ds_store_2addr_b64 v93, v[135:136], v[137:138] offset0:134 offset1:201
	s_wait_dscnt 0x0
	s_barrier_signal -1
	s_barrier_wait -1
	global_inv scope:SCOPE_SE
	ds_load_2addr_b64 v[131:134], v94 offset1:1
	ds_load_2addr_b64 v[135:138], v94 offset0:2 offset1:3
	s_wait_loadcnt_dscnt 0x0
	s_barrier_signal -1
	s_barrier_wait -1
	global_inv scope:SCOPE_SE
	v_add_f64_e32 v[131:132], 0, v[131:132]
	s_delay_alu instid0(VALU_DEP_1) | instskip(NEXT) | instid1(VALU_DEP_1)
	v_add_f64_e32 v[117:118], v[131:132], v[133:134]
	v_add_f64_e32 v[115:116], v[117:118], v[135:136]
	s_delay_alu instid0(VALU_DEP_1)
	v_add_f64_e32 v[113:114], v[115:116], v[137:138]
	ds_store_2addr_b64 v103, v[107:108], v[109:110] offset1:16
	ds_store_2addr_b64 v103, v[111:112], v[113:114] offset0:32 offset1:48
	s_wait_loadcnt_dscnt 0x0
	s_barrier_signal -1
	s_barrier_wait -1
	global_inv scope:SCOPE_SE
	s_and_saveexec_b32 s29, s18
	s_cbranch_execz .LBB176_68
; %bb.72:                               ;   in Loop: Header=BB176_69 Depth=2
	ds_load_2addr_b64 v[107:110], v95 offset1:1
	ds_load_2addr_b64 v[111:114], v95 offset0:2 offset1:3
	s_wait_alu 0xfffe
	v_add_nc_u32_e32 v32, s34, v82
	s_wait_dscnt 0x1
	v_add_f64_e32 v[107:108], v[107:108], v[109:110]
	s_wait_dscnt 0x0
	s_delay_alu instid0(VALU_DEP_1) | instskip(NEXT) | instid1(VALU_DEP_1)
	v_add_f64_e32 v[107:108], v[107:108], v[111:112]
	v_add_f64_e32 v[115:116], v[107:108], v[113:114]
	ds_load_2addr_b64 v[107:110], v95 offset0:4 offset1:5
	ds_load_2addr_b64 v[111:114], v95 offset0:6 offset1:7
	s_wait_dscnt 0x1
	v_add_f64_e32 v[107:108], v[115:116], v[107:108]
	s_delay_alu instid0(VALU_DEP_1) | instskip(SKIP_1) | instid1(VALU_DEP_1)
	v_add_f64_e32 v[107:108], v[107:108], v[109:110]
	s_wait_dscnt 0x0
	v_add_f64_e32 v[107:108], v[107:108], v[111:112]
	s_delay_alu instid0(VALU_DEP_1) | instskip(SKIP_4) | instid1(VALU_DEP_1)
	v_add_f64_e32 v[115:116], v[107:108], v[113:114]
	ds_load_2addr_b64 v[107:110], v95 offset0:8 offset1:9
	ds_load_2addr_b64 v[111:114], v95 offset0:10 offset1:11
	s_wait_dscnt 0x1
	v_add_f64_e32 v[107:108], v[115:116], v[107:108]
	v_add_f64_e32 v[107:108], v[107:108], v[109:110]
	s_wait_dscnt 0x0
	s_delay_alu instid0(VALU_DEP_1) | instskip(NEXT) | instid1(VALU_DEP_1)
	v_add_f64_e32 v[107:108], v[107:108], v[111:112]
	v_add_f64_e32 v[111:112], v[107:108], v[113:114]
	ds_load_2addr_b64 v[107:110], v95 offset0:12 offset1:13
	ds_load_b64 v[113:114], v95 offset:112
	s_wait_dscnt 0x1
	v_add_f64_e32 v[107:108], v[111:112], v[107:108]
	s_delay_alu instid0(VALU_DEP_1) | instskip(SKIP_4) | instid1(VALU_DEP_1)
	v_add_f64_e32 v[107:108], v[107:108], v[109:110]
	ds_load_b64 v[109:110], v96
	s_wait_dscnt 0x1
	v_add_f64_e32 v[107:108], v[107:108], v[113:114]
	s_wait_dscnt 0x0
	v_add_f64_e32 v[107:108], v[107:108], v[109:110]
	v_lshlrev_b64_e32 v[109:110], 3, v[32:33]
	s_delay_alu instid0(VALU_DEP_1) | instskip(SKIP_1) | instid1(VALU_DEP_2)
	v_add_co_u32 v109, vcc_lo, s92, v109
	s_wait_alu 0xfffd
	v_add_co_ci_u32_e64 v110, null, s93, v110, vcc_lo
	global_store_b64 v[109:110], v[107:108], off
	s_branch .LBB176_68
.LBB176_73:                             ;   in Loop: Header=BB176_4 Depth=1
	ds_store_b64 v97, v[46:47]
	s_wait_loadcnt_dscnt 0x0
	s_barrier_signal -1
	s_barrier_wait -1
	global_inv scope:SCOPE_SE
	s_and_saveexec_b32 s19, s98
	s_cbranch_execz .LBB176_2
; %bb.74:                               ;   in Loop: Header=BB176_4 Depth=1
	ds_load_2addr_b64 v[0:3], v83 offset1:67
	s_wait_dscnt 0x0
	v_add_f64_e32 v[4:5], v[0:1], v[2:3]
	ds_load_2addr_b64 v[0:3], v83 offset0:134 offset1:201
	s_wait_dscnt 0x0
	v_add_f64_e32 v[0:1], v[4:5], v[0:1]
	s_delay_alu instid0(VALU_DEP_1)
	v_add_f64_e32 v[0:1], v[0:1], v[2:3]
	s_wait_alu 0xfffe
	v_add_co_u32 v2, vcc_lo, s92, v44
	s_wait_alu 0xfffd
	v_add_co_ci_u32_e64 v3, null, s93, v45, vcc_lo
	global_store_b64 v[2:3], v[0:1], off
	s_branch .LBB176_2
.LBB176_75:                             ;   in Loop: Header=BB176_4 Depth=1
	ds_load_b64 v[2:3], v100
	s_wait_dscnt 0x0
	ds_store_b64 v87, v[2:3]
	s_wait_alu 0xfffe
	s_or_b32 exec_lo, exec_lo, s19
	s_and_saveexec_b32 s19, s7
	s_cbranch_execz .LBB176_26
.LBB176_76:                             ;   in Loop: Header=BB176_4 Depth=1
	ds_load_b64 v[2:3], v101
	s_wait_dscnt 0x0
	ds_store_b64 v87, v[2:3] offset:8
	s_wait_alu 0xfffe
	s_or_b32 exec_lo, exec_lo, s19
	s_and_saveexec_b32 s19, s8
	s_cbranch_execz .LBB176_27
.LBB176_77:                             ;   in Loop: Header=BB176_4 Depth=1
	ds_load_b64 v[2:3], v101 offset:264
	s_wait_dscnt 0x0
	ds_store_b64 v87, v[2:3] offset:16
	s_wait_alu 0xfffe
	s_or_b32 exec_lo, exec_lo, s19
	s_and_saveexec_b32 s19, s9
	s_cbranch_execnz .LBB176_28
	s_branch .LBB176_29
.LBB176_78:                             ;   in Loop: Header=BB176_4 Depth=1
	ds_load_b64 v[0:1], v100
	s_wait_dscnt 0x0
	ds_store_b64 v87, v[0:1]
	s_wait_alu 0xfffe
	s_or_b32 exec_lo, exec_lo, s19
	s_and_saveexec_b32 s19, s7
	s_cbranch_execz .LBB176_45
.LBB176_79:                             ;   in Loop: Header=BB176_4 Depth=1
	ds_load_b64 v[0:1], v101
	s_wait_dscnt 0x0
	ds_store_b64 v87, v[0:1] offset:8
	s_wait_alu 0xfffe
	s_or_b32 exec_lo, exec_lo, s19
	s_and_saveexec_b32 s19, s8
	s_cbranch_execz .LBB176_46
.LBB176_80:                             ;   in Loop: Header=BB176_4 Depth=1
	ds_load_b64 v[0:1], v101 offset:264
	s_wait_dscnt 0x0
	ds_store_b64 v87, v[0:1] offset:16
	s_wait_alu 0xfffe
	s_or_b32 exec_lo, exec_lo, s19
	s_and_saveexec_b32 s19, s9
	s_cbranch_execnz .LBB176_47
	s_branch .LBB176_48
.LBB176_81:
	s_nop 0
	s_sendmsg sendmsg(MSG_DEALLOC_VGPRS)
	s_endpgm
	.section	.rodata,"a",@progbits
	.p2align	6, 0x0
	.amdhsa_kernel _ZL26rocblas_hemvn_kernel_lowerILb0ELi64ELi4ELi33ELi32ELi16EldPKPKdPdEviT6_lT7_lT5_lS6_lS7_lS5_lT8_i
		.amdhsa_group_segment_fixed_size 9600
		.amdhsa_private_segment_fixed_size 0
		.amdhsa_kernarg_size 376
		.amdhsa_user_sgpr_count 2
		.amdhsa_user_sgpr_dispatch_ptr 0
		.amdhsa_user_sgpr_queue_ptr 0
		.amdhsa_user_sgpr_kernarg_segment_ptr 1
		.amdhsa_user_sgpr_dispatch_id 0
		.amdhsa_user_sgpr_private_segment_size 0
		.amdhsa_wavefront_size32 1
		.amdhsa_uses_dynamic_stack 0
		.amdhsa_enable_private_segment 0
		.amdhsa_system_sgpr_workgroup_id_x 1
		.amdhsa_system_sgpr_workgroup_id_y 0
		.amdhsa_system_sgpr_workgroup_id_z 1
		.amdhsa_system_sgpr_workgroup_info 0
		.amdhsa_system_vgpr_workitem_id 1
		.amdhsa_next_free_vgpr 139
		.amdhsa_next_free_sgpr 102
		.amdhsa_reserve_vcc 1
		.amdhsa_float_round_mode_32 0
		.amdhsa_float_round_mode_16_64 0
		.amdhsa_float_denorm_mode_32 3
		.amdhsa_float_denorm_mode_16_64 3
		.amdhsa_fp16_overflow 0
		.amdhsa_workgroup_processor_mode 1
		.amdhsa_memory_ordered 1
		.amdhsa_forward_progress 1
		.amdhsa_inst_pref_size 57
		.amdhsa_round_robin_scheduling 0
		.amdhsa_exception_fp_ieee_invalid_op 0
		.amdhsa_exception_fp_denorm_src 0
		.amdhsa_exception_fp_ieee_div_zero 0
		.amdhsa_exception_fp_ieee_overflow 0
		.amdhsa_exception_fp_ieee_underflow 0
		.amdhsa_exception_fp_ieee_inexact 0
		.amdhsa_exception_int_div_zero 0
	.end_amdhsa_kernel
	.section	.text._ZL26rocblas_hemvn_kernel_lowerILb0ELi64ELi4ELi33ELi32ELi16EldPKPKdPdEviT6_lT7_lT5_lS6_lS7_lS5_lT8_i,"axG",@progbits,_ZL26rocblas_hemvn_kernel_lowerILb0ELi64ELi4ELi33ELi32ELi16EldPKPKdPdEviT6_lT7_lT5_lS6_lS7_lS5_lT8_i,comdat
.Lfunc_end176:
	.size	_ZL26rocblas_hemvn_kernel_lowerILb0ELi64ELi4ELi33ELi32ELi16EldPKPKdPdEviT6_lT7_lT5_lS6_lS7_lS5_lT8_i, .Lfunc_end176-_ZL26rocblas_hemvn_kernel_lowerILb0ELi64ELi4ELi33ELi32ELi16EldPKPKdPdEviT6_lT7_lT5_lS6_lS7_lS5_lT8_i
                                        ; -- End function
	.set _ZL26rocblas_hemvn_kernel_lowerILb0ELi64ELi4ELi33ELi32ELi16EldPKPKdPdEviT6_lT7_lT5_lS6_lS7_lS5_lT8_i.num_vgpr, 139
	.set _ZL26rocblas_hemvn_kernel_lowerILb0ELi64ELi4ELi33ELi32ELi16EldPKPKdPdEviT6_lT7_lT5_lS6_lS7_lS5_lT8_i.num_agpr, 0
	.set _ZL26rocblas_hemvn_kernel_lowerILb0ELi64ELi4ELi33ELi32ELi16EldPKPKdPdEviT6_lT7_lT5_lS6_lS7_lS5_lT8_i.numbered_sgpr, 102
	.set _ZL26rocblas_hemvn_kernel_lowerILb0ELi64ELi4ELi33ELi32ELi16EldPKPKdPdEviT6_lT7_lT5_lS6_lS7_lS5_lT8_i.num_named_barrier, 0
	.set _ZL26rocblas_hemvn_kernel_lowerILb0ELi64ELi4ELi33ELi32ELi16EldPKPKdPdEviT6_lT7_lT5_lS6_lS7_lS5_lT8_i.private_seg_size, 0
	.set _ZL26rocblas_hemvn_kernel_lowerILb0ELi64ELi4ELi33ELi32ELi16EldPKPKdPdEviT6_lT7_lT5_lS6_lS7_lS5_lT8_i.uses_vcc, 1
	.set _ZL26rocblas_hemvn_kernel_lowerILb0ELi64ELi4ELi33ELi32ELi16EldPKPKdPdEviT6_lT7_lT5_lS6_lS7_lS5_lT8_i.uses_flat_scratch, 1
	.set _ZL26rocblas_hemvn_kernel_lowerILb0ELi64ELi4ELi33ELi32ELi16EldPKPKdPdEviT6_lT7_lT5_lS6_lS7_lS5_lT8_i.has_dyn_sized_stack, 0
	.set _ZL26rocblas_hemvn_kernel_lowerILb0ELi64ELi4ELi33ELi32ELi16EldPKPKdPdEviT6_lT7_lT5_lS6_lS7_lS5_lT8_i.has_recursion, 0
	.set _ZL26rocblas_hemvn_kernel_lowerILb0ELi64ELi4ELi33ELi32ELi16EldPKPKdPdEviT6_lT7_lT5_lS6_lS7_lS5_lT8_i.has_indirect_call, 0
	.section	.AMDGPU.csdata,"",@progbits
; Kernel info:
; codeLenInByte = 7172
; TotalNumSgprs: 104
; NumVgprs: 139
; ScratchSize: 0
; MemoryBound: 0
; FloatMode: 240
; IeeeMode: 1
; LDSByteSize: 9600 bytes/workgroup (compile time only)
; SGPRBlocks: 0
; VGPRBlocks: 17
; NumSGPRsForWavesPerEU: 104
; NumVGPRsForWavesPerEU: 139
; Occupancy: 10
; WaveLimiterHint : 1
; COMPUTE_PGM_RSRC2:SCRATCH_EN: 0
; COMPUTE_PGM_RSRC2:USER_SGPR: 2
; COMPUTE_PGM_RSRC2:TRAP_HANDLER: 0
; COMPUTE_PGM_RSRC2:TGID_X_EN: 1
; COMPUTE_PGM_RSRC2:TGID_Y_EN: 0
; COMPUTE_PGM_RSRC2:TGID_Z_EN: 1
; COMPUTE_PGM_RSRC2:TIDIG_COMP_CNT: 1
	.section	.text._ZL36rocblas_hemvn_kernel_lower_block_sumILi64EldPKPddEviT1_lS3_lT2_lT0_lPT3_i,"axG",@progbits,_ZL36rocblas_hemvn_kernel_lower_block_sumILi64EldPKPddEviT1_lS3_lT2_lT0_lPT3_i,comdat
	.globl	_ZL36rocblas_hemvn_kernel_lower_block_sumILi64EldPKPddEviT1_lS3_lT2_lT0_lPT3_i ; -- Begin function _ZL36rocblas_hemvn_kernel_lower_block_sumILi64EldPKPddEviT1_lS3_lT2_lT0_lPT3_i
	.p2align	8
	.type	_ZL36rocblas_hemvn_kernel_lower_block_sumILi64EldPKPddEviT1_lS3_lT2_lT0_lPT3_i,@function
_ZL36rocblas_hemvn_kernel_lower_block_sumILi64EldPKPddEviT1_lS3_lT2_lT0_lPT3_i: ; @_ZL36rocblas_hemvn_kernel_lower_block_sumILi64EldPKPddEviT1_lS3_lT2_lT0_lPT3_i
; %bb.0:
	s_load_b32 s20, s[0:1], 0x50
	s_lshr_b32 s2, ttmp7, 16
	s_wait_kmcnt 0x0
	s_cmp_ge_u32 s2, s20
	s_cbranch_scc1 .LBB177_25
; %bb.1:
	s_clause 0x3
	s_load_b64 s[8:9], s[0:1], 0x8
	s_load_b64 s[10:11], s[0:1], 0x18
	s_load_b32 s16, s[0:1], 0x0
	s_load_b128 s[4:7], s[0:1], 0x30
	s_lshl_b32 s14, ttmp9, 6
	s_clause 0x1
	s_load_b64 s[18:19], s[0:1], 0x48
	s_load_b64 s[12:13], s[0:1], 0x28
	v_or_b32_e32 v0, s14, v0
	s_wait_kmcnt 0x0
	v_cmp_neq_f64_e64 s3, s[8:9], 0
	v_cmp_neq_f64_e64 s22, s[10:11], 1.0
	v_cmp_eq_f64_e64 s21, s[10:11], 0
	v_mul_lo_u32 v5, s7, v0
	v_mad_co_u64_u32 v[3:4], null, s6, v0, 0
	s_ashr_i32 s7, s14, 31
	s_add_nc_u64 s[14:15], s[0:1], 0x58
	s_wait_alu 0xfffe
	s_mul_i32 s1, s6, s7
	v_cmp_neq_f64_e64 s23, s[10:11], 0
	v_mad_co_u64_u32 v[1:2], null, s16, ttmp9, v[0:1]
	v_add3_u32 v4, v4, s1, v5
	v_cmp_eq_f64_e64 s1, s[8:9], 0
	v_cmp_gt_i32_e64 s0, s16, v0
	s_ashr_i32 s17, s16, 31
	s_lshl_b64 s[4:5], s[4:5], 3
	s_wait_alu 0xfffe
	s_lshl_b64 s[6:7], s[16:17], 3
	v_ashrrev_i32_e32 v2, 31, v1
	s_delay_alu instid0(VALU_DEP_1) | instskip(SKIP_1) | instid1(VALU_DEP_2)
	v_lshlrev_b64_e32 v[5:6], 3, v[1:2]
	v_lshlrev_b64_e32 v[0:1], 3, v[3:4]
	v_add_co_u32 v2, vcc_lo, s18, v5
	s_delay_alu instid0(VALU_DEP_1)
	v_add_co_ci_u32_e64 v3, null, s19, v6, vcc_lo
	s_or_b32 s22, s3, s22
	s_mov_b32 s3, 0
	s_branch .LBB177_4
.LBB177_2:                              ;   in Loop: Header=BB177_4 Depth=1
	s_wait_alu 0xfffe
	s_or_b32 exec_lo, exec_lo, s18
.LBB177_3:                              ;   in Loop: Header=BB177_4 Depth=1
	s_add_co_i32 s2, s2, 0x10000
	s_wait_alu 0xfffe
	s_cmp_lt_u32 s2, s20
	s_cbranch_scc0 .LBB177_25
.LBB177_4:                              ; =>This Loop Header: Depth=1
                                        ;     Child Loop BB177_16 Depth 2
	s_and_not1_b32 vcc_lo, exec_lo, s22
	s_wait_alu 0xfffe
	s_cbranch_vccnz .LBB177_3
; %bb.5:                                ;   in Loop: Header=BB177_4 Depth=1
	s_lshl_b64 s[16:17], s[2:3], 3
	s_and_not1_b32 vcc_lo, exec_lo, s1
	s_wait_alu 0xfffe
	s_add_nc_u64 s[16:17], s[12:13], s[16:17]
	s_load_b64 s[16:17], s[16:17], 0x0
	s_wait_kmcnt 0x0
	s_add_nc_u64 s[16:17], s[16:17], s[4:5]
	s_cbranch_vccnz .LBB177_9
; %bb.6:                                ;   in Loop: Header=BB177_4 Depth=1
	s_mov_b32 s18, 0
	s_mov_b32 s24, 0
                                        ; implicit-def: $vgpr4_vgpr5
	s_and_saveexec_b32 s19, s0
	s_cbranch_execz .LBB177_10
; %bb.7:                                ;   in Loop: Header=BB177_4 Depth=1
	s_and_not1_b32 vcc_lo, exec_lo, s23
	s_wait_alu 0xfffe
	s_cbranch_vccnz .LBB177_11
; %bb.8:                                ;   in Loop: Header=BB177_4 Depth=1
	v_add_co_u32 v4, vcc_lo, s16, v0
	s_wait_alu 0xfffd
	v_add_co_ci_u32_e64 v5, null, s17, v1, vcc_lo
	flat_load_b64 v[4:5], v[4:5]
	s_wait_loadcnt_dscnt 0x0
	v_mul_f64_e32 v[4:5], s[10:11], v[4:5]
	s_branch .LBB177_12
.LBB177_9:                              ;   in Loop: Header=BB177_4 Depth=1
	s_mov_b32 s24, 0
                                        ; implicit-def: $vgpr4_vgpr5
	s_cbranch_execnz .LBB177_13
	s_branch .LBB177_23
.LBB177_10:                             ;   in Loop: Header=BB177_4 Depth=1
	s_wait_alu 0xfffe
	s_or_b32 exec_lo, exec_lo, s19
	s_delay_alu instid0(SALU_CYCLE_1)
	s_and_b32 vcc_lo, exec_lo, s18
	s_wait_alu 0xfffe
	s_cbranch_vccnz .LBB177_13
	s_branch .LBB177_23
.LBB177_11:                             ;   in Loop: Header=BB177_4 Depth=1
	v_mov_b32_e32 v4, 0
	v_mov_b32_e32 v5, 0
.LBB177_12:                             ;   in Loop: Header=BB177_4 Depth=1
	s_mov_b32 s24, exec_lo
	s_or_b32 exec_lo, exec_lo, s19
	s_delay_alu instid0(SALU_CYCLE_1)
	s_and_b32 vcc_lo, exec_lo, s18
	s_wait_alu 0xfffe
	s_cbranch_vccz .LBB177_23
.LBB177_13:                             ;   in Loop: Header=BB177_4 Depth=1
                                        ; implicit-def: $vgpr4_vgpr5
	s_and_saveexec_b32 s25, s0
	s_cbranch_execz .LBB177_22
; %bb.14:                               ;   in Loop: Header=BB177_4 Depth=1
	s_load_b32 s18, s[14:15], 0x0
	v_mov_b32_e32 v6, 0
	v_mov_b32_e32 v7, 0
	s_wait_kmcnt 0x0
	s_cmp_ge_i32 ttmp9, s18
	s_cbranch_scc1 .LBB177_17
; %bb.15:                               ;   in Loop: Header=BB177_4 Depth=1
	s_mov_b32 s19, s3
	s_mov_b32 s26, ttmp9
	s_wait_alu 0xfffe
	s_mul_u64 s[28:29], s[6:7], s[18:19]
	s_wait_alu 0xfffe
	v_mad_co_u64_u32 v[4:5], null, s28, s2, v[2:3]
	s_delay_alu instid0(VALU_DEP_1)
	v_mad_co_u64_u32 v[5:6], null, s29, s2, v[5:6]
	v_mov_b32_e32 v6, 0
	v_mov_b32_e32 v7, 0
.LBB177_16:                             ;   Parent Loop BB177_4 Depth=1
                                        ; =>  This Inner Loop Header: Depth=2
	global_load_b64 v[8:9], v[4:5], off
	v_add_co_u32 v4, vcc_lo, v4, s6
	s_wait_alu 0xfffd
	v_add_co_ci_u32_e64 v5, null, s7, v5, vcc_lo
	s_add_co_i32 s26, s26, 1
	s_delay_alu instid0(SALU_CYCLE_1)
	s_cmp_ge_i32 s26, s18
	s_wait_loadcnt 0x0
	v_add_f64_e32 v[6:7], v[6:7], v[8:9]
	s_cbranch_scc0 .LBB177_16
.LBB177_17:                             ;   in Loop: Header=BB177_4 Depth=1
	s_and_b32 vcc_lo, exec_lo, s21
	s_mov_b32 s18, -1
                                        ; implicit-def: $vgpr4_vgpr5
	s_wait_alu 0xfffe
	s_cbranch_vccz .LBB177_19
; %bb.18:                               ;   in Loop: Header=BB177_4 Depth=1
	s_delay_alu instid0(VALU_DEP_1)
	v_mul_f64_e32 v[4:5], s[8:9], v[6:7]
	s_mov_b32 s18, 0
.LBB177_19:                             ;   in Loop: Header=BB177_4 Depth=1
	s_wait_alu 0xfffe
	s_and_not1_b32 vcc_lo, exec_lo, s18
	s_wait_alu 0xfffe
	s_cbranch_vccnz .LBB177_21
; %bb.20:                               ;   in Loop: Header=BB177_4 Depth=1
	v_add_co_u32 v4, vcc_lo, s16, v0
	s_wait_alu 0xfffd
	v_add_co_ci_u32_e64 v5, null, s17, v1, vcc_lo
	flat_load_b64 v[4:5], v[4:5]
	s_wait_loadcnt_dscnt 0x0
	v_mul_f64_e32 v[4:5], s[10:11], v[4:5]
	s_delay_alu instid0(VALU_DEP_1)
	v_fma_f64 v[4:5], s[8:9], v[6:7], v[4:5]
.LBB177_21:                             ;   in Loop: Header=BB177_4 Depth=1
	s_or_b32 s24, s24, exec_lo
.LBB177_22:                             ;   in Loop: Header=BB177_4 Depth=1
	s_or_b32 exec_lo, exec_lo, s25
.LBB177_23:                             ;   in Loop: Header=BB177_4 Depth=1
	s_and_saveexec_b32 s18, s24
	s_cbranch_execz .LBB177_2
; %bb.24:                               ;   in Loop: Header=BB177_4 Depth=1
	s_wait_alu 0xfffe
	v_add_co_u32 v6, vcc_lo, s16, v0
	s_wait_alu 0xfffd
	v_add_co_ci_u32_e64 v7, null, s17, v1, vcc_lo
	flat_store_b64 v[6:7], v[4:5]
	s_branch .LBB177_2
.LBB177_25:
	s_endpgm
	.section	.rodata,"a",@progbits
	.p2align	6, 0x0
	.amdhsa_kernel _ZL36rocblas_hemvn_kernel_lower_block_sumILi64EldPKPddEviT1_lS3_lT2_lT0_lPT3_i
		.amdhsa_group_segment_fixed_size 0
		.amdhsa_private_segment_fixed_size 0
		.amdhsa_kernarg_size 344
		.amdhsa_user_sgpr_count 2
		.amdhsa_user_sgpr_dispatch_ptr 0
		.amdhsa_user_sgpr_queue_ptr 0
		.amdhsa_user_sgpr_kernarg_segment_ptr 1
		.amdhsa_user_sgpr_dispatch_id 0
		.amdhsa_user_sgpr_private_segment_size 0
		.amdhsa_wavefront_size32 1
		.amdhsa_uses_dynamic_stack 0
		.amdhsa_enable_private_segment 0
		.amdhsa_system_sgpr_workgroup_id_x 1
		.amdhsa_system_sgpr_workgroup_id_y 0
		.amdhsa_system_sgpr_workgroup_id_z 1
		.amdhsa_system_sgpr_workgroup_info 0
		.amdhsa_system_vgpr_workitem_id 0
		.amdhsa_next_free_vgpr 10
		.amdhsa_next_free_sgpr 30
		.amdhsa_reserve_vcc 1
		.amdhsa_float_round_mode_32 0
		.amdhsa_float_round_mode_16_64 0
		.amdhsa_float_denorm_mode_32 3
		.amdhsa_float_denorm_mode_16_64 3
		.amdhsa_fp16_overflow 0
		.amdhsa_workgroup_processor_mode 1
		.amdhsa_memory_ordered 1
		.amdhsa_forward_progress 1
		.amdhsa_inst_pref_size 7
		.amdhsa_round_robin_scheduling 0
		.amdhsa_exception_fp_ieee_invalid_op 0
		.amdhsa_exception_fp_denorm_src 0
		.amdhsa_exception_fp_ieee_div_zero 0
		.amdhsa_exception_fp_ieee_overflow 0
		.amdhsa_exception_fp_ieee_underflow 0
		.amdhsa_exception_fp_ieee_inexact 0
		.amdhsa_exception_int_div_zero 0
	.end_amdhsa_kernel
	.section	.text._ZL36rocblas_hemvn_kernel_lower_block_sumILi64EldPKPddEviT1_lS3_lT2_lT0_lPT3_i,"axG",@progbits,_ZL36rocblas_hemvn_kernel_lower_block_sumILi64EldPKPddEviT1_lS3_lT2_lT0_lPT3_i,comdat
.Lfunc_end177:
	.size	_ZL36rocblas_hemvn_kernel_lower_block_sumILi64EldPKPddEviT1_lS3_lT2_lT0_lPT3_i, .Lfunc_end177-_ZL36rocblas_hemvn_kernel_lower_block_sumILi64EldPKPddEviT1_lS3_lT2_lT0_lPT3_i
                                        ; -- End function
	.set _ZL36rocblas_hemvn_kernel_lower_block_sumILi64EldPKPddEviT1_lS3_lT2_lT0_lPT3_i.num_vgpr, 10
	.set _ZL36rocblas_hemvn_kernel_lower_block_sumILi64EldPKPddEviT1_lS3_lT2_lT0_lPT3_i.num_agpr, 0
	.set _ZL36rocblas_hemvn_kernel_lower_block_sumILi64EldPKPddEviT1_lS3_lT2_lT0_lPT3_i.numbered_sgpr, 30
	.set _ZL36rocblas_hemvn_kernel_lower_block_sumILi64EldPKPddEviT1_lS3_lT2_lT0_lPT3_i.num_named_barrier, 0
	.set _ZL36rocblas_hemvn_kernel_lower_block_sumILi64EldPKPddEviT1_lS3_lT2_lT0_lPT3_i.private_seg_size, 0
	.set _ZL36rocblas_hemvn_kernel_lower_block_sumILi64EldPKPddEviT1_lS3_lT2_lT0_lPT3_i.uses_vcc, 1
	.set _ZL36rocblas_hemvn_kernel_lower_block_sumILi64EldPKPddEviT1_lS3_lT2_lT0_lPT3_i.uses_flat_scratch, 0
	.set _ZL36rocblas_hemvn_kernel_lower_block_sumILi64EldPKPddEviT1_lS3_lT2_lT0_lPT3_i.has_dyn_sized_stack, 0
	.set _ZL36rocblas_hemvn_kernel_lower_block_sumILi64EldPKPddEviT1_lS3_lT2_lT0_lPT3_i.has_recursion, 0
	.set _ZL36rocblas_hemvn_kernel_lower_block_sumILi64EldPKPddEviT1_lS3_lT2_lT0_lPT3_i.has_indirect_call, 0
	.section	.AMDGPU.csdata,"",@progbits
; Kernel info:
; codeLenInByte = 772
; TotalNumSgprs: 32
; NumVgprs: 10
; ScratchSize: 0
; MemoryBound: 0
; FloatMode: 240
; IeeeMode: 1
; LDSByteSize: 0 bytes/workgroup (compile time only)
; SGPRBlocks: 0
; VGPRBlocks: 1
; NumSGPRsForWavesPerEU: 32
; NumVGPRsForWavesPerEU: 10
; Occupancy: 16
; WaveLimiterHint : 1
; COMPUTE_PGM_RSRC2:SCRATCH_EN: 0
; COMPUTE_PGM_RSRC2:USER_SGPR: 2
; COMPUTE_PGM_RSRC2:TRAP_HANDLER: 0
; COMPUTE_PGM_RSRC2:TGID_X_EN: 1
; COMPUTE_PGM_RSRC2:TGID_Y_EN: 0
; COMPUTE_PGM_RSRC2:TGID_Z_EN: 1
; COMPUTE_PGM_RSRC2:TIDIG_COMP_CNT: 0
	.section	.text._ZL26rocblas_hemvn_kernel_lowerILb0ELi64ELi4ELi33ELi32ELi16EidPKPKdPdEviT6_lT7_lT5_lS6_lS7_lS5_lT8_i,"axG",@progbits,_ZL26rocblas_hemvn_kernel_lowerILb0ELi64ELi4ELi33ELi32ELi16EidPKPKdPdEviT6_lT7_lT5_lS6_lS7_lS5_lT8_i,comdat
	.globl	_ZL26rocblas_hemvn_kernel_lowerILb0ELi64ELi4ELi33ELi32ELi16EidPKPKdPdEviT6_lT7_lT5_lS6_lS7_lS5_lT8_i ; -- Begin function _ZL26rocblas_hemvn_kernel_lowerILb0ELi64ELi4ELi33ELi32ELi16EidPKPKdPdEviT6_lT7_lT5_lS6_lS7_lS5_lT8_i
	.p2align	8
	.type	_ZL26rocblas_hemvn_kernel_lowerILb0ELi64ELi4ELi33ELi32ELi16EidPKPKdPdEviT6_lT7_lT5_lS6_lS7_lS5_lT8_i,@function
_ZL26rocblas_hemvn_kernel_lowerILb0ELi64ELi4ELi33ELi32ELi16EidPKPKdPdEviT6_lT7_lT5_lS6_lS7_lS5_lT8_i: ; @_ZL26rocblas_hemvn_kernel_lowerILb0ELi64ELi4ELi33ELi32ELi16EidPKPKdPdEviT6_lT7_lT5_lS6_lS7_lS5_lT8_i
; %bb.0:
	s_clause 0x1
	s_load_b64 s[2:3], s[0:1], 0x84
	s_load_b32 s33, s[0:1], 0x70
	s_lshr_b32 s28, ttmp7, 16
	s_wait_kmcnt 0x0
	s_lshr_b32 s4, s2, 16
	s_and_b32 s2, s2, 0xffff
	s_and_b32 s3, s3, 0xffff
	s_mul_i32 s2, s4, s2
	s_delay_alu instid0(SALU_CYCLE_1) | instskip(NEXT) | instid1(SALU_CYCLE_1)
	s_mul_i32 s2, s2, s3
	s_cmp_lg_u32 s2, 0x100
	s_cselect_b32 s2, -1, 0
	s_cmp_ge_u32 s28, s33
	s_cselect_b32 s3, -1, 0
	s_delay_alu instid0(SALU_CYCLE_1) | instskip(NEXT) | instid1(SALU_CYCLE_1)
	s_or_b32 s2, s2, s3
	s_and_b32 vcc_lo, exec_lo, s2
	s_cbranch_vccnz .LBB178_81
; %bb.1:
	s_clause 0x2
	s_load_b64 s[2:3], s[0:1], 0x8
	s_load_b64 s[6:7], s[0:1], 0x58
	s_load_b32 s8, s[0:1], 0x0
	s_add_nc_u64 s[10:11], s[0:1], 0x78
	s_clause 0x4
	s_load_b128 s[20:23], s[0:1], 0x18
	s_load_b32 s78, s[0:1], 0x28
	s_load_b128 s[24:27], s[0:1], 0x38
	s_load_b32 s18, s[0:1], 0x48
	s_load_b64 s[4:5], s[0:1], 0x68
	s_load_b32 s10, s[10:11], 0x0
	v_dual_mov_b32 v33, 0 :: v_dual_and_b32 v84, 0x3ff, v0
	v_bfe_u32 v3, v0, 10, 10
	v_and_b32_e32 v1, 31, v0
	s_lshl_b32 s80, ttmp9, 6
	s_mov_b32 s29, 0
	v_add_nc_u32_e32 v2, s80, v84
	v_lshl_add_u32 v16, v3, 6, v84
	v_mul_u32_u24_e32 v22, 33, v1
	s_mov_b32 s11, s29
	v_lshlrev_b32_e32 v85, 3, v84
	v_lshlrev_b32_e32 v17, 3, v1
	v_lshrrev_b32_e32 v10, 5, v16
	v_and_b32_e32 v15, 0x7fe0, v16
	s_wait_kmcnt 0x0
	v_cmp_neq_f64_e64 s1, s[2:3], 0
	v_cmp_neq_f64_e64 s7, s[6:7], 1.0
	s_ashr_i32 s9, s8, 31
	v_cmp_eq_f64_e64 s96, s[2:3], 0
	s_lshr_b32 s2, s9, 26
	s_add_co_i32 s3, s10, -1
	s_wait_alu 0xfffe
	s_add_co_i32 s2, s8, s2
	s_ashr_i32 s79, s78, 31
	s_wait_alu 0xfffe
	s_and_not1_b32 s2, s2, 63
	v_sub_co_u32 v4, s6, 0, v1
	s_wait_alu 0xfffe
	s_sub_co_i32 s2, s8, s2
	v_lshlrev_b32_e32 v13, 2, v10
	v_lshlrev_b32_e32 v23, 3, v10
	v_sub_co_ci_u32_e64 v5, null, 0, 0, s6
	s_mul_i32 s6, s8, ttmp9
	s_mul_i32 s82, s78, s80
	s_mul_u64 s[34:35], s[10:11], s[8:9]
	v_or_b32_e32 v21, 2, v13
	v_lshl_add_u32 v91, v22, 3, v23
	v_mul_u32_u24_e32 v18, 0x108, v10
	v_add_nc_u32_e32 v11, 8, v10
	v_add_nc_u32_e32 v12, 16, v10
	v_mad_co_u64_u32 v[8:9], null, s78, v10, v[1:2]
	v_add_nc_u32_e32 v14, 24, v10
	v_mul_u32_u24_e32 v20, 0x420, v10
	v_cmp_eq_u32_e64 s16, 1, v10
	v_mad_u32_u24 v92, v10, 24, v91
	v_or_b32_e32 v19, 1, v13
	v_lshrrev_b32_e32 v22, 4, v16
	v_mul_lo_u32 v6, s18, v2
	s_mul_i32 s44, s18, s80
	v_ashrrev_i32_e32 v9, 31, v8
	v_lshl_or_b32 v88, v1, 8, v17
	v_mad_u32_u24 v95, 0x860, v3, v85
	v_and_b32_e32 v24, 15, v0
	v_and_b32_e32 v0, 48, v0
	s_or_b32 s97, s1, s7
	s_cmp_eq_u32 ttmp9, s3
	v_lshlrev_b32_e32 v25, 5, v22
	s_wait_alu 0xfffe
	s_cselect_b32 s36, s2, 0
	v_cmp_eq_u32_e64 s0, 0, v3
	v_cmp_gt_i32_e32 vcc_lo, s36, v84
	s_cmp_eq_u32 s36, 0
	v_cmp_gt_i32_e64 s2, s36, v10
	s_cselect_b32 s8, -1, 0
	s_ashr_i32 s7, s6, 31
	s_ashr_i32 s81, s80, 31
	;; [unrolled: 1-line block ×3, first 2 shown]
	s_wait_alu 0xfffe
	s_lshl_b64 s[6:7], s[6:7], 3
	s_or_b32 s98, s8, vcc_lo
	s_cmp_lg_u32 s36, 0
	v_cndmask_b32_e64 v87, 0, 1, s8
	s_cselect_b32 s17, -1, 0
	s_sub_co_i32 s15, s36, 32
	v_cmp_lt_u32_e64 s8, v21, v1
	v_cmp_gt_i32_e64 s12, s15, v10
	v_mul_i32_i24_e32 v21, 0xffffffe8, v10
	v_mul_lo_u32 v10, v3, s78
	s_wait_alu 0xfffe
	s_add_nc_u64 s[38:39], s[4:5], s[6:7]
	v_cmp_lt_u32_e64 s6, v13, v1
	v_or_b32_e32 v13, 3, v13
	v_cmp_le_i32_e32 vcc_lo, s36, v84
	s_ashr_i32 s45, s44, 31
	v_cmp_gt_i32_e64 s4, s36, v12
	v_cmp_gt_i32_e64 s5, s36, v14
	v_cmp_lt_u32_e64 s9, v13, v1
	v_or_b32_e32 v13, 32, v1
	v_lshl_add_u32 v10, v10, 2, v84
	v_cmp_gt_i32_e64 s13, s15, v11
	v_cmp_gt_i32_e64 s14, s15, v12
	;; [unrolled: 1-line block ×3, first 2 shown]
	s_and_b32 s17, s17, vcc_lo
	s_sub_nc_u64 s[88:89], 0, s[44:45]
	v_sub_co_u32 v12, vcc_lo, 0, v8
	v_sub_co_u32 v14, s44, 0, v84
	v_ashrrev_i32_e32 v7, 31, v6
	v_cmp_gt_i32_e64 s3, s36, v11
	v_add_nc_u32_e32 v89, v88, v15
	v_add_nc_u32_e32 v90, 0x2380, v15
	v_cmp_gt_i32_e64 s11, s36, v13
	v_sub_co_ci_u32_e64 v13, null, 0, v9, vcc_lo
	v_ashrrev_i32_e32 v11, 31, v10
	v_sub_co_ci_u32_e64 v15, null, 0, 0, s44
	v_lshl_add_u32 v94, v3, 5, 0x2180
	v_mad_i32_i24 v99, 0xfffff9b8, v3, v95
	v_ashrrev_i32_e32 v3, 31, v2
	s_mul_i32 s30, s78, 24
	s_lshl_b32 s40, s78, 3
	s_lshl_b32 s42, s78, 4
	v_cmp_lt_u32_e64 s7, v19, v1
	v_mul_u32_u24_e32 v19, 0x108, v19
	s_lshl_b32 s84, s78, 5
	v_lshlrev_b32_e32 v0, 3, v0
	v_or_b32_e32 v26, 0x78, v85
	v_mad_u32_u24 v96, 0x218, v24, v25
	v_mul_i32_i24_e32 v22, 0xffffffe8, v22
	s_ashr_i32 s31, s30, 31
	s_ashr_i32 s37, s36, 31
	;; [unrolled: 1-line block ×5, first 2 shown]
	s_xor_b32 s19, s17, -1
	s_cmp_gt_i32 ttmp9, 0
	v_lshlrev_b64_e32 v[34:35], 3, v[6:7]
	v_lshlrev_b64_e32 v[36:37], 3, v[8:9]
	;; [unrolled: 1-line block ×7, first 2 shown]
	v_add_nc_u32_e32 v86, 0x2380, v85
	v_cmp_gt_i32_e64 s1, s36, v1
	v_cmp_gt_u32_e64 s10, 32, v16
	s_cselect_b32 s99, -1, 0
	s_lshl_b32 s100, s18, 6
	v_add_nc_u32_e32 v93, 0x2180, v85
	v_cmp_gt_u32_e64 s18, 64, v16
	v_mad_u32_u24 v97, 0x218, v24, v0
	v_mad_u32_u24 v98, 0x218, v24, v26
	v_add_nc_u32_e32 v100, 0x2380, v23
	v_add_nc_u32_e32 v101, v17, v18
	;; [unrolled: 1-line block ×6, first 2 shown]
	v_lshlrev_b32_e32 v106, 3, v1
	s_sub_nc_u64 s[86:87], 0, s[84:85]
	s_sub_nc_u64 s[90:91], 0, s[82:83]
	s_wait_alu 0xfffe
	s_and_b32 s101, s0, s19
	s_lshl_b64 s[44:45], s[78:79], 6
	s_sub_nc_u64 s[46:47], 0, s[36:37]
	s_lshl_b64 s[48:49], s[78:79], 3
	s_lshl_b64 s[50:51], s[78:79], 4
	;; [unrolled: 1-line block ×3, first 2 shown]
	s_mul_u64 s[54:55], s[78:79], 24
	s_lshl_b64 s[56:57], s[78:79], 7
	s_mul_u64 s[58:59], s[78:79], 0x90
	s_mul_u64 s[60:61], s[78:79], 0x98
	s_lshl_b64 s[62:63], s[78:79], 8
	s_mul_u64 s[64:65], s[78:79], 0x110
	s_mul_u64 s[66:67], s[78:79], 0x118
	;; [unrolled: 1-line block ×8, first 2 shown]
	s_lshl_b64 s[26:27], s[26:27], 3
	s_lshl_b64 s[22:23], s[22:23], 3
	;; [unrolled: 1-line block ×8, first 2 shown]
	s_branch .LBB178_4
.LBB178_2:                              ;   in Loop: Header=BB178_4 Depth=1
	s_wait_alu 0xfffe
	s_or_b32 exec_lo, exec_lo, s19
.LBB178_3:                              ;   in Loop: Header=BB178_4 Depth=1
	s_add_co_i32 s28, s28, 0x10000
	s_delay_alu instid0(SALU_CYCLE_1)
	s_cmp_lt_u32 s28, s33
	s_cbranch_scc0 .LBB178_81
.LBB178_4:                              ; =>This Loop Header: Depth=1
                                        ;     Child Loop BB178_69 Depth 2
	s_and_not1_b32 vcc_lo, exec_lo, s97
	s_wait_alu 0xfffe
	s_cbranch_vccnz .LBB178_3
; %bb.5:                                ;   in Loop: Header=BB178_4 Depth=1
	s_and_b32 vcc_lo, exec_lo, s96
	s_wait_alu 0xfffe
	s_cbranch_vccz .LBB178_7
; %bb.6:                                ;   in Loop: Header=BB178_4 Depth=1
	s_cbranch_execnz .LBB178_3
	s_branch .LBB178_8
.LBB178_7:                              ;   in Loop: Header=BB178_4 Depth=1
.LBB178_8:                              ;   in Loop: Header=BB178_4 Depth=1
	s_lshl_b64 s[92:93], s[28:29], 3
	s_wait_alu 0xfffe
	s_add_nc_u64 s[94:95], s[24:25], s[92:93]
	s_add_nc_u64 s[92:93], s[20:21], s[92:93]
	s_clause 0x1
	global_load_b64 v[2:3], v33, s[94:95]
	global_load_b64 v[0:1], v33, s[92:93]
	s_wait_loadcnt 0x1
	v_add_co_u32 v2, vcc_lo, v2, s26
	s_wait_alu 0xfffd
	v_add_co_ci_u32_e64 v3, null, s27, v3, vcc_lo
	s_delay_alu instid0(VALU_DEP_2) | instskip(SKIP_1) | instid1(VALU_DEP_2)
	v_add_co_u32 v16, vcc_lo, v2, v34
	s_wait_alu 0xfffd
	v_add_co_ci_u32_e64 v17, null, v3, v35, vcc_lo
	s_and_saveexec_b32 s19, s0
	s_cbranch_execz .LBB178_12
; %bb.9:                                ;   in Loop: Header=BB178_4 Depth=1
	v_mov_b32_e32 v2, 0
	v_mov_b32_e32 v3, 0
	s_and_saveexec_b32 s92, s98
	s_cbranch_execz .LBB178_11
; %bb.10:                               ;   in Loop: Header=BB178_4 Depth=1
	flat_load_b64 v[2:3], v[16:17]
.LBB178_11:                             ;   in Loop: Header=BB178_4 Depth=1
	s_wait_alu 0xfffe
	s_or_b32 exec_lo, exec_lo, s92
	s_wait_loadcnt_dscnt 0x0
	ds_store_b64 v86, v[2:3]
.LBB178_12:                             ;   in Loop: Header=BB178_4 Depth=1
	s_wait_alu 0xfffe
	s_or_b32 exec_lo, exec_lo, s19
	s_wait_loadcnt 0x0
	v_add_co_u32 v0, vcc_lo, v0, s22
	s_wait_alu 0xfffd
	v_add_co_ci_u32_e64 v1, null, s23, v1, vcc_lo
	s_delay_alu instid0(VALU_DEP_2) | instskip(SKIP_1) | instid1(VALU_DEP_2)
	v_add_co_u32 v0, vcc_lo, v0, s80
	s_wait_alu 0xfffd
	v_add_co_ci_u32_e64 v1, null, s81, v1, vcc_lo
	s_delay_alu instid0(VALU_DEP_2) | instskip(SKIP_1) | instid1(VALU_DEP_2)
	v_add_co_u32 v0, vcc_lo, v0, v36
	s_wait_alu 0xfffd
	v_add_co_ci_u32_e64 v1, null, v1, v37, vcc_lo
	v_cmp_ne_u32_e32 vcc_lo, 1, v87
	s_delay_alu instid0(VALU_DEP_3) | instskip(SKIP_1) | instid1(VALU_DEP_3)
	v_add_co_u32 v0, s19, v0, s82
	s_wait_alu 0xf1ff
	v_add_co_ci_u32_e64 v1, null, s83, v1, s19
	s_mov_b32 s19, -1
	s_cbranch_vccnz .LBB178_14
; %bb.13:                               ;   in Loop: Header=BB178_4 Depth=1
	s_lshl_b64 s[92:93], s[40:41], 3
	s_mov_b32 s19, 0
	s_wait_alu 0xfffe
	v_add_co_u32 v2, vcc_lo, v0, s92
	s_wait_alu 0xfffd
	v_add_co_ci_u32_e64 v3, null, s93, v1, vcc_lo
	s_delay_alu instid0(VALU_DEP_2) | instskip(SKIP_1) | instid1(VALU_DEP_2)
	v_add_co_u32 v4, vcc_lo, v2, s44
	s_wait_alu 0xfffd
	v_add_co_ci_u32_e64 v5, null, s45, v3, vcc_lo
	s_delay_alu instid0(VALU_DEP_2) | instskip(SKIP_1) | instid1(VALU_DEP_2)
	v_add_co_u32 v6, vcc_lo, v4, s44
	s_wait_alu 0xfffd
	v_add_co_ci_u32_e64 v7, null, s45, v5, vcc_lo
	s_clause 0x3
	flat_load_b64 v[8:9], v[0:1]
	flat_load_b64 v[2:3], v[2:3]
	;; [unrolled: 1-line block ×4, first 2 shown]
	s_wait_loadcnt_dscnt 0x303
	ds_store_b64 v101, v[8:9]
	s_wait_loadcnt_dscnt 0x203
	ds_store_b64 v101, v[2:3] offset:2112
	s_wait_loadcnt_dscnt 0x103
	ds_store_b64 v101, v[4:5] offset:4224
	;; [unrolled: 2-line block ×3, first 2 shown]
.LBB178_14:                             ;   in Loop: Header=BB178_4 Depth=1
	s_wait_alu 0xfffe
	s_and_not1_b32 vcc_lo, exec_lo, s19
	s_wait_alu 0xfffe
	s_cbranch_vccnz .LBB178_24
; %bb.15:                               ;   in Loop: Header=BB178_4 Depth=1
	v_add_co_u32 v2, vcc_lo, v0, v38
	s_wait_alu 0xfffd
	v_add_co_ci_u32_e64 v3, null, v1, v39, vcc_lo
	s_lshl_b64 s[92:93], s[36:37], 3
	v_mov_b32_e32 v6, 0
	s_wait_alu 0xfffe
	v_add_co_u32 v2, vcc_lo, v2, s92
	s_wait_alu 0xfffd
	v_add_co_ci_u32_e64 v3, null, s93, v3, vcc_lo
	v_dual_mov_b32 v7, 0 :: v_dual_mov_b32 v4, 0
	s_delay_alu instid0(VALU_DEP_3) | instskip(SKIP_1) | instid1(VALU_DEP_3)
	v_add_co_u32 v2, vcc_lo, v2, -8
	s_wait_alu 0xfffd
	v_add_co_ci_u32_e64 v3, null, -1, v3, vcc_lo
	v_mov_b32_e32 v5, 0
	s_delay_alu instid0(VALU_DEP_3) | instskip(NEXT) | instid1(VALU_DEP_3)
	v_cndmask_b32_e64 v2, v2, v0, s1
	v_cndmask_b32_e64 v3, v3, v1, s1
	s_and_saveexec_b32 s19, s2
	s_cbranch_execz .LBB178_17
; %bb.16:                               ;   in Loop: Header=BB178_4 Depth=1
	flat_load_b64 v[4:5], v[2:3]
.LBB178_17:                             ;   in Loop: Header=BB178_4 Depth=1
	s_wait_alu 0xfffe
	s_or_b32 exec_lo, exec_lo, s19
	s_wait_loadcnt_dscnt 0x0
	ds_store_b64 v101, v[4:5]
	s_and_saveexec_b32 s19, s3
	s_cbranch_execz .LBB178_19
; %bb.18:                               ;   in Loop: Header=BB178_4 Depth=1
	s_lshl_b64 s[92:93], s[40:41], 3
	s_wait_alu 0xfffe
	v_add_co_u32 v4, vcc_lo, v2, s92
	s_wait_alu 0xfffd
	v_add_co_ci_u32_e64 v5, null, s93, v3, vcc_lo
	flat_load_b64 v[6:7], v[4:5]
.LBB178_19:                             ;   in Loop: Header=BB178_4 Depth=1
	s_wait_alu 0xfffe
	s_or_b32 exec_lo, exec_lo, s19
	v_mov_b32_e32 v4, 0
	v_dual_mov_b32 v5, 0 :: v_dual_mov_b32 v8, 0
	v_mov_b32_e32 v9, 0
	s_wait_loadcnt_dscnt 0x0
	ds_store_b64 v101, v[6:7] offset:2112
	s_and_saveexec_b32 s19, s4
	s_cbranch_execz .LBB178_21
; %bb.20:                               ;   in Loop: Header=BB178_4 Depth=1
	s_lshl_b64 s[92:93], s[42:43], 3
	s_wait_alu 0xfffe
	v_add_co_u32 v6, vcc_lo, v2, s92
	s_wait_alu 0xfffd
	v_add_co_ci_u32_e64 v7, null, s93, v3, vcc_lo
	flat_load_b64 v[8:9], v[6:7]
.LBB178_21:                             ;   in Loop: Header=BB178_4 Depth=1
	s_wait_alu 0xfffe
	s_or_b32 exec_lo, exec_lo, s19
	s_wait_loadcnt_dscnt 0x0
	ds_store_b64 v101, v[8:9] offset:4224
	s_and_saveexec_b32 s19, s5
	s_cbranch_execz .LBB178_23
; %bb.22:                               ;   in Loop: Header=BB178_4 Depth=1
	s_lshl_b64 s[92:93], s[30:31], 3
	s_wait_alu 0xfffe
	v_add_co_u32 v4, vcc_lo, v2, s92
	s_wait_alu 0xfffd
	v_add_co_ci_u32_e64 v5, null, s93, v3, vcc_lo
	flat_load_b64 v[4:5], v[4:5]
.LBB178_23:                             ;   in Loop: Header=BB178_4 Depth=1
	s_wait_alu 0xfffe
	s_or_b32 exec_lo, exec_lo, s19
	v_add_co_u32 v2, vcc_lo, v2, v106
	s_wait_alu 0xfffd
	v_add_co_ci_u32_e64 v3, null, 0, v3, vcc_lo
	s_lshl_b64 s[92:93], s[46:47], 3
	s_wait_loadcnt_dscnt 0x0
	ds_store_b64 v101, v[4:5] offset:6336
	s_wait_alu 0xfffe
	v_add_co_u32 v2, vcc_lo, v2, s92
	s_wait_alu 0xfffd
	v_add_co_ci_u32_e64 v3, null, s93, v3, vcc_lo
	s_delay_alu instid0(VALU_DEP_2) | instskip(SKIP_1) | instid1(VALU_DEP_2)
	v_add_co_u32 v2, vcc_lo, v2, 8
	s_wait_alu 0xfffd
	v_add_co_ci_u32_e64 v3, null, 0, v3, vcc_lo
	s_delay_alu instid0(VALU_DEP_2) | instskip(NEXT) | instid1(VALU_DEP_2)
	v_cndmask_b32_e64 v0, v2, v0, s1
	v_cndmask_b32_e64 v1, v3, v1, s1
.LBB178_24:                             ;   in Loop: Header=BB178_4 Depth=1
	s_wait_dscnt 0x0
	s_barrier_signal -1
	s_barrier_wait -1
	global_inv scope:SCOPE_SE
	s_and_saveexec_b32 s19, s6
	s_cbranch_execnz .LBB178_75
; %bb.25:                               ;   in Loop: Header=BB178_4 Depth=1
	s_wait_alu 0xfffe
	s_or_b32 exec_lo, exec_lo, s19
	s_and_saveexec_b32 s19, s7
	s_cbranch_execnz .LBB178_76
.LBB178_26:                             ;   in Loop: Header=BB178_4 Depth=1
	s_wait_alu 0xfffe
	s_or_b32 exec_lo, exec_lo, s19
	s_and_saveexec_b32 s19, s8
	s_cbranch_execnz .LBB178_77
.LBB178_27:                             ;   in Loop: Header=BB178_4 Depth=1
	s_wait_alu 0xfffe
	s_or_b32 exec_lo, exec_lo, s19
	s_and_saveexec_b32 s19, s9
	s_cbranch_execz .LBB178_29
.LBB178_28:                             ;   in Loop: Header=BB178_4 Depth=1
	ds_load_b64 v[2:3], v103 offset:528
	s_wait_dscnt 0x0
	ds_store_b64 v89, v[2:3] offset:24
.LBB178_29:                             ;   in Loop: Header=BB178_4 Depth=1
	s_wait_alu 0xfffe
	s_or_b32 exec_lo, exec_lo, s19
	s_wait_loadcnt_dscnt 0x0
	s_barrier_signal -1
	s_barrier_wait -1
	global_inv scope:SCOPE_SE
	ds_load_b64 v[10:11], v102
	ds_load_b128 v[2:5], v90
	ds_load_b128 v[6:9], v90 offset:16
	ds_load_b64 v[14:15], v103 offset:528
	v_mov_b32_e32 v48, 0
	v_mov_b32_e32 v49, 0
	s_wait_dscnt 0x2
	v_fma_f64 v[2:3], v[10:11], v[2:3], 0
	ds_load_2addr_b64 v[10:13], v103 offset1:33
	s_wait_loadcnt_dscnt 0x0
	s_barrier_signal -1
	s_barrier_wait -1
	global_inv scope:SCOPE_SE
	v_fma_f64 v[2:3], v[10:11], v[4:5], v[2:3]
	s_delay_alu instid0(VALU_DEP_1) | instskip(NEXT) | instid1(VALU_DEP_1)
	v_fma_f64 v[2:3], v[12:13], v[6:7], v[2:3]
	v_fma_f64 v[2:3], v[14:15], v[8:9], v[2:3]
	ds_store_b64 v91, v[2:3]
	s_wait_loadcnt_dscnt 0x0
	s_barrier_signal -1
	s_barrier_wait -1
	global_inv scope:SCOPE_SE
	s_and_saveexec_b32 s19, s10
	s_cbranch_execz .LBB178_31
; %bb.30:                               ;   in Loop: Header=BB178_4 Depth=1
	ds_load_2addr_b64 v[2:5], v88 offset1:1
	ds_load_2addr_b64 v[6:9], v88 offset0:2 offset1:3
	s_wait_dscnt 0x1
	v_add_f64_e32 v[2:3], v[2:3], v[4:5]
	s_wait_dscnt 0x0
	s_delay_alu instid0(VALU_DEP_1) | instskip(NEXT) | instid1(VALU_DEP_1)
	v_add_f64_e32 v[2:3], v[2:3], v[6:7]
	v_add_f64_e32 v[10:11], v[2:3], v[8:9]
	ds_load_2addr_b64 v[2:5], v88 offset0:4 offset1:5
	ds_load_2addr_b64 v[6:9], v88 offset0:6 offset1:7
	s_wait_dscnt 0x1
	v_add_f64_e32 v[2:3], v[10:11], v[2:3]
	s_delay_alu instid0(VALU_DEP_1) | instskip(SKIP_1) | instid1(VALU_DEP_1)
	v_add_f64_e32 v[2:3], v[2:3], v[4:5]
	s_wait_dscnt 0x0
	v_add_f64_e32 v[2:3], v[2:3], v[6:7]
	s_delay_alu instid0(VALU_DEP_1)
	v_add_f64_e32 v[48:49], v[2:3], v[8:9]
.LBB178_31:                             ;   in Loop: Header=BB178_4 Depth=1
	s_wait_alu 0xfffe
	s_or_b32 exec_lo, exec_lo, s19
	v_cmp_ne_u32_e32 vcc_lo, 1, v87
	v_add_co_u32 v0, s19, v0, s84
	s_wait_alu 0xf1ff
	v_add_co_ci_u32_e64 v1, null, s85, v1, s19
	s_and_b32 vcc_lo, exec_lo, vcc_lo
	s_mov_b32 s19, -1
	s_wait_loadcnt 0x0
	s_barrier_signal -1
	s_barrier_wait -1
	global_inv scope:SCOPE_SE
	s_wait_alu 0xfffe
	s_cbranch_vccnz .LBB178_33
; %bb.32:                               ;   in Loop: Header=BB178_4 Depth=1
	s_lshl_b64 s[92:93], s[40:41], 3
	s_mov_b32 s19, 0
	s_wait_alu 0xfffe
	v_add_co_u32 v2, vcc_lo, v0, s92
	s_wait_alu 0xfffd
	v_add_co_ci_u32_e64 v3, null, s93, v1, vcc_lo
	s_delay_alu instid0(VALU_DEP_2) | instskip(SKIP_1) | instid1(VALU_DEP_2)
	v_add_co_u32 v4, vcc_lo, v2, s44
	s_wait_alu 0xfffd
	v_add_co_ci_u32_e64 v5, null, s45, v3, vcc_lo
	s_delay_alu instid0(VALU_DEP_2) | instskip(SKIP_1) | instid1(VALU_DEP_2)
	v_add_co_u32 v6, vcc_lo, v4, s44
	s_wait_alu 0xfffd
	v_add_co_ci_u32_e64 v7, null, s45, v5, vcc_lo
	s_clause 0x3
	flat_load_b64 v[8:9], v[0:1] offset:256
	flat_load_b64 v[2:3], v[2:3] offset:256
	;; [unrolled: 1-line block ×4, first 2 shown]
	s_wait_loadcnt_dscnt 0x303
	ds_store_b64 v101, v[8:9]
	s_wait_loadcnt_dscnt 0x203
	ds_store_b64 v101, v[2:3] offset:2112
	s_wait_loadcnt_dscnt 0x103
	ds_store_b64 v101, v[4:5] offset:4224
	;; [unrolled: 2-line block ×3, first 2 shown]
.LBB178_33:                             ;   in Loop: Header=BB178_4 Depth=1
	v_add_co_u32 v8, vcc_lo, 0x100, v0
	s_wait_alu 0xfffd
	v_add_co_ci_u32_e64 v9, null, 0, v1, vcc_lo
	s_and_not1_b32 vcc_lo, exec_lo, s19
	s_wait_alu 0xfffe
	s_cbranch_vccnz .LBB178_43
; %bb.34:                               ;   in Loop: Header=BB178_4 Depth=1
	v_add_co_u32 v0, vcc_lo, v0, v38
	s_wait_alu 0xfffd
	v_add_co_ci_u32_e64 v1, null, v1, v39, vcc_lo
	s_lshl_b64 s[92:93], s[36:37], 3
	v_mov_b32_e32 v4, 0
	s_wait_alu 0xfffe
	v_add_co_u32 v0, vcc_lo, v0, s92
	s_wait_alu 0xfffd
	v_add_co_ci_u32_e64 v1, null, s93, v1, vcc_lo
	v_dual_mov_b32 v5, 0 :: v_dual_mov_b32 v2, 0
	s_delay_alu instid0(VALU_DEP_3) | instskip(SKIP_1) | instid1(VALU_DEP_3)
	v_add_co_u32 v0, vcc_lo, v0, -8
	s_wait_alu 0xfffd
	v_add_co_ci_u32_e64 v1, null, -1, v1, vcc_lo
	v_mov_b32_e32 v3, 0
	s_delay_alu instid0(VALU_DEP_3) | instskip(NEXT) | instid1(VALU_DEP_3)
	v_cndmask_b32_e64 v0, v0, v8, s11
	v_cndmask_b32_e64 v1, v1, v9, s11
	s_and_saveexec_b32 s19, s12
	s_cbranch_execz .LBB178_36
; %bb.35:                               ;   in Loop: Header=BB178_4 Depth=1
	flat_load_b64 v[2:3], v[0:1]
.LBB178_36:                             ;   in Loop: Header=BB178_4 Depth=1
	s_wait_alu 0xfffe
	s_or_b32 exec_lo, exec_lo, s19
	s_wait_loadcnt_dscnt 0x0
	ds_store_b64 v101, v[2:3]
	s_and_saveexec_b32 s19, s13
	s_cbranch_execz .LBB178_38
; %bb.37:                               ;   in Loop: Header=BB178_4 Depth=1
	s_lshl_b64 s[92:93], s[40:41], 3
	s_wait_alu 0xfffe
	v_add_co_u32 v2, vcc_lo, v0, s92
	s_wait_alu 0xfffd
	v_add_co_ci_u32_e64 v3, null, s93, v1, vcc_lo
	flat_load_b64 v[4:5], v[2:3]
.LBB178_38:                             ;   in Loop: Header=BB178_4 Depth=1
	s_wait_alu 0xfffe
	s_or_b32 exec_lo, exec_lo, s19
	v_mov_b32_e32 v2, 0
	v_dual_mov_b32 v3, 0 :: v_dual_mov_b32 v6, 0
	v_mov_b32_e32 v7, 0
	s_wait_loadcnt_dscnt 0x0
	ds_store_b64 v101, v[4:5] offset:2112
	s_and_saveexec_b32 s19, s14
	s_cbranch_execz .LBB178_40
; %bb.39:                               ;   in Loop: Header=BB178_4 Depth=1
	s_lshl_b64 s[92:93], s[42:43], 3
	s_wait_alu 0xfffe
	v_add_co_u32 v4, vcc_lo, v0, s92
	s_wait_alu 0xfffd
	v_add_co_ci_u32_e64 v5, null, s93, v1, vcc_lo
	flat_load_b64 v[6:7], v[4:5]
.LBB178_40:                             ;   in Loop: Header=BB178_4 Depth=1
	s_wait_alu 0xfffe
	s_or_b32 exec_lo, exec_lo, s19
	s_wait_loadcnt_dscnt 0x0
	ds_store_b64 v101, v[6:7] offset:4224
	s_and_saveexec_b32 s19, s15
	s_cbranch_execz .LBB178_42
; %bb.41:                               ;   in Loop: Header=BB178_4 Depth=1
	s_lshl_b64 s[92:93], s[30:31], 3
	s_wait_alu 0xfffe
	v_add_co_u32 v2, vcc_lo, v0, s92
	s_wait_alu 0xfffd
	v_add_co_ci_u32_e64 v3, null, s93, v1, vcc_lo
	flat_load_b64 v[2:3], v[2:3]
.LBB178_42:                             ;   in Loop: Header=BB178_4 Depth=1
	s_wait_alu 0xfffe
	s_or_b32 exec_lo, exec_lo, s19
	v_add_co_u32 v0, vcc_lo, v0, v106
	s_wait_alu 0xfffd
	v_add_co_ci_u32_e64 v1, null, 0, v1, vcc_lo
	s_lshl_b64 s[92:93], s[46:47], 3
	s_wait_loadcnt_dscnt 0x0
	ds_store_b64 v101, v[2:3] offset:6336
	s_wait_alu 0xfffe
	v_add_co_u32 v0, vcc_lo, v0, s92
	s_wait_alu 0xfffd
	v_add_co_ci_u32_e64 v1, null, s93, v1, vcc_lo
	s_delay_alu instid0(VALU_DEP_2) | instskip(SKIP_1) | instid1(VALU_DEP_2)
	v_add_co_u32 v0, vcc_lo, 0x108, v0
	s_wait_alu 0xfffd
	v_add_co_ci_u32_e64 v1, null, 0, v1, vcc_lo
	s_delay_alu instid0(VALU_DEP_2) | instskip(NEXT) | instid1(VALU_DEP_2)
	v_cndmask_b32_e64 v8, v0, v8, s11
	v_cndmask_b32_e64 v9, v1, v9, s11
.LBB178_43:                             ;   in Loop: Header=BB178_4 Depth=1
	s_wait_loadcnt_dscnt 0x0
	s_barrier_signal -1
	s_barrier_wait -1
	global_inv scope:SCOPE_SE
	s_and_saveexec_b32 s19, s6
	s_cbranch_execnz .LBB178_78
; %bb.44:                               ;   in Loop: Header=BB178_4 Depth=1
	s_wait_alu 0xfffe
	s_or_b32 exec_lo, exec_lo, s19
	s_and_saveexec_b32 s19, s7
	s_cbranch_execnz .LBB178_79
.LBB178_45:                             ;   in Loop: Header=BB178_4 Depth=1
	s_wait_alu 0xfffe
	s_or_b32 exec_lo, exec_lo, s19
	s_and_saveexec_b32 s19, s8
	s_cbranch_execnz .LBB178_80
.LBB178_46:                             ;   in Loop: Header=BB178_4 Depth=1
	s_wait_alu 0xfffe
	s_or_b32 exec_lo, exec_lo, s19
	s_and_saveexec_b32 s19, s9
	s_cbranch_execz .LBB178_48
.LBB178_47:                             ;   in Loop: Header=BB178_4 Depth=1
	ds_load_b64 v[0:1], v103 offset:528
	s_wait_dscnt 0x0
	ds_store_b64 v89, v[0:1] offset:24
.LBB178_48:                             ;   in Loop: Header=BB178_4 Depth=1
	s_wait_alu 0xfffe
	s_or_b32 exec_lo, exec_lo, s19
	s_wait_loadcnt_dscnt 0x0
	s_barrier_signal -1
	s_barrier_wait -1
	global_inv scope:SCOPE_SE
	ds_load_b64 v[10:11], v102
	ds_load_b128 v[0:3], v90 offset:256
	ds_load_b128 v[4:7], v90 offset:272
	ds_load_b64 v[14:15], v103 offset:528
	s_wait_dscnt 0x2
	v_fma_f64 v[0:1], v[10:11], v[0:1], 0
	ds_load_2addr_b64 v[10:13], v103 offset1:33
	s_wait_loadcnt_dscnt 0x0
	s_barrier_signal -1
	s_barrier_wait -1
	global_inv scope:SCOPE_SE
	v_fma_f64 v[0:1], v[10:11], v[2:3], v[0:1]
	s_delay_alu instid0(VALU_DEP_1) | instskip(NEXT) | instid1(VALU_DEP_1)
	v_fma_f64 v[0:1], v[12:13], v[4:5], v[0:1]
	v_fma_f64 v[0:1], v[14:15], v[6:7], v[0:1]
	ds_store_b64 v91, v[0:1]
	s_wait_loadcnt_dscnt 0x0
	s_barrier_signal -1
	s_barrier_wait -1
	global_inv scope:SCOPE_SE
	s_and_saveexec_b32 s19, s16
	s_cbranch_execz .LBB178_50
; %bb.49:                               ;   in Loop: Header=BB178_4 Depth=1
	ds_load_2addr_b64 v[0:3], v88 offset1:1
	ds_load_2addr_b64 v[4:7], v88 offset0:2 offset1:3
	s_wait_dscnt 0x1
	v_add_f64_e32 v[0:1], v[0:1], v[2:3]
	s_wait_dscnt 0x0
	s_delay_alu instid0(VALU_DEP_1) | instskip(NEXT) | instid1(VALU_DEP_1)
	v_add_f64_e32 v[0:1], v[0:1], v[4:5]
	v_add_f64_e32 v[10:11], v[0:1], v[6:7]
	ds_load_2addr_b64 v[0:3], v88 offset0:4 offset1:5
	ds_load_2addr_b64 v[4:7], v88 offset0:6 offset1:7
	s_wait_dscnt 0x1
	v_add_f64_e32 v[0:1], v[10:11], v[0:1]
	s_delay_alu instid0(VALU_DEP_1) | instskip(SKIP_1) | instid1(VALU_DEP_1)
	v_add_f64_e32 v[0:1], v[0:1], v[2:3]
	s_wait_dscnt 0x0
	v_add_f64_e32 v[0:1], v[0:1], v[4:5]
	s_delay_alu instid0(VALU_DEP_1)
	v_add_f64_e32 v[48:49], v[0:1], v[6:7]
.LBB178_50:                             ;   in Loop: Header=BB178_4 Depth=1
	s_wait_alu 0xfffe
	s_or_b32 exec_lo, exec_lo, s19
	v_cmp_ne_u32_e32 vcc_lo, 1, v87
	v_add_co_u32 v18, s19, v8, s86
	s_wait_alu 0xf1ff
	v_add_co_ci_u32_e64 v19, null, s87, v9, s19
	s_and_b32 vcc_lo, exec_lo, vcc_lo
	s_mov_b32 s19, -1
	s_wait_loadcnt 0x0
	s_barrier_signal -1
	s_barrier_wait -1
	global_inv scope:SCOPE_SE
	s_wait_alu 0xfffe
	s_cbranch_vccnz .LBB178_52
; %bb.51:                               ;   in Loop: Header=BB178_4 Depth=1
	s_lshl_b64 s[92:93], s[40:41], 3
	s_mov_b32 s19, 0
	s_wait_alu 0xfffe
	v_add_co_u32 v0, vcc_lo, v18, s92
	s_wait_alu 0xfffd
	v_add_co_ci_u32_e64 v1, null, s93, v19, vcc_lo
	s_delay_alu instid0(VALU_DEP_2) | instskip(SKIP_1) | instid1(VALU_DEP_2)
	v_add_co_u32 v2, vcc_lo, v0, s44
	s_wait_alu 0xfffd
	v_add_co_ci_u32_e64 v3, null, s45, v1, vcc_lo
	s_delay_alu instid0(VALU_DEP_2) | instskip(SKIP_1) | instid1(VALU_DEP_2)
	v_add_co_u32 v4, vcc_lo, v2, s44
	s_wait_alu 0xfffd
	v_add_co_ci_u32_e64 v5, null, s45, v3, vcc_lo
	s_clause 0x3
	flat_load_b64 v[6:7], v[18:19]
	flat_load_b64 v[0:1], v[0:1]
	;; [unrolled: 1-line block ×4, first 2 shown]
	s_wait_loadcnt_dscnt 0x303
	ds_store_b64 v101, v[6:7]
	s_wait_loadcnt_dscnt 0x203
	ds_store_b64 v101, v[0:1] offset:2112
	s_wait_loadcnt_dscnt 0x103
	ds_store_b64 v101, v[2:3] offset:4224
	;; [unrolled: 2-line block ×3, first 2 shown]
.LBB178_52:                             ;   in Loop: Header=BB178_4 Depth=1
	s_and_not1_b32 vcc_lo, exec_lo, s19
	s_wait_alu 0xfffe
	s_cbranch_vccnz .LBB178_62
; %bb.53:                               ;   in Loop: Header=BB178_4 Depth=1
	v_add_co_u32 v0, vcc_lo, v18, v38
	s_wait_alu 0xfffd
	v_add_co_ci_u32_e64 v1, null, v19, v39, vcc_lo
	s_lshl_b64 s[92:93], s[36:37], 3
	v_mov_b32_e32 v4, 0
	s_wait_alu 0xfffe
	v_add_co_u32 v0, vcc_lo, v0, s92
	s_wait_alu 0xfffd
	v_add_co_ci_u32_e64 v1, null, s93, v1, vcc_lo
	v_dual_mov_b32 v5, 0 :: v_dual_mov_b32 v2, 0
	s_delay_alu instid0(VALU_DEP_3) | instskip(SKIP_1) | instid1(VALU_DEP_3)
	v_add_co_u32 v0, vcc_lo, 0xfffffef8, v0
	s_wait_alu 0xfffd
	v_add_co_ci_u32_e64 v1, null, -1, v1, vcc_lo
	v_mov_b32_e32 v3, 0
	s_delay_alu instid0(VALU_DEP_3) | instskip(NEXT) | instid1(VALU_DEP_3)
	v_cndmask_b32_e64 v0, v0, v18, s11
	v_cndmask_b32_e64 v1, v1, v19, s11
	s_and_saveexec_b32 s19, s2
	s_cbranch_execz .LBB178_55
; %bb.54:                               ;   in Loop: Header=BB178_4 Depth=1
	flat_load_b64 v[2:3], v[0:1]
.LBB178_55:                             ;   in Loop: Header=BB178_4 Depth=1
	s_wait_alu 0xfffe
	s_or_b32 exec_lo, exec_lo, s19
	s_wait_loadcnt_dscnt 0x0
	ds_store_b64 v101, v[2:3]
	s_and_saveexec_b32 s19, s3
	s_cbranch_execz .LBB178_57
; %bb.56:                               ;   in Loop: Header=BB178_4 Depth=1
	s_lshl_b64 s[92:93], s[40:41], 3
	s_wait_alu 0xfffe
	v_add_co_u32 v2, vcc_lo, v0, s92
	s_wait_alu 0xfffd
	v_add_co_ci_u32_e64 v3, null, s93, v1, vcc_lo
	flat_load_b64 v[4:5], v[2:3]
.LBB178_57:                             ;   in Loop: Header=BB178_4 Depth=1
	s_wait_alu 0xfffe
	s_or_b32 exec_lo, exec_lo, s19
	v_mov_b32_e32 v2, 0
	v_dual_mov_b32 v3, 0 :: v_dual_mov_b32 v6, 0
	v_mov_b32_e32 v7, 0
	s_wait_loadcnt_dscnt 0x0
	ds_store_b64 v101, v[4:5] offset:2112
	s_and_saveexec_b32 s19, s4
	s_cbranch_execz .LBB178_59
; %bb.58:                               ;   in Loop: Header=BB178_4 Depth=1
	s_lshl_b64 s[92:93], s[42:43], 3
	s_wait_alu 0xfffe
	v_add_co_u32 v4, vcc_lo, v0, s92
	s_wait_alu 0xfffd
	v_add_co_ci_u32_e64 v5, null, s93, v1, vcc_lo
	flat_load_b64 v[6:7], v[4:5]
.LBB178_59:                             ;   in Loop: Header=BB178_4 Depth=1
	s_wait_alu 0xfffe
	s_or_b32 exec_lo, exec_lo, s19
	s_wait_loadcnt_dscnt 0x0
	ds_store_b64 v101, v[6:7] offset:4224
	s_and_saveexec_b32 s19, s5
	s_cbranch_execz .LBB178_61
; %bb.60:                               ;   in Loop: Header=BB178_4 Depth=1
	s_lshl_b64 s[92:93], s[30:31], 3
	s_wait_alu 0xfffe
	v_add_co_u32 v2, vcc_lo, v0, s92
	s_wait_alu 0xfffd
	v_add_co_ci_u32_e64 v3, null, s93, v1, vcc_lo
	flat_load_b64 v[2:3], v[2:3]
.LBB178_61:                             ;   in Loop: Header=BB178_4 Depth=1
	s_wait_alu 0xfffe
	s_or_b32 exec_lo, exec_lo, s19
	v_add_co_u32 v0, vcc_lo, v0, v106
	s_wait_alu 0xfffd
	v_add_co_ci_u32_e64 v1, null, 0, v1, vcc_lo
	s_lshl_b64 s[92:93], s[46:47], 3
	s_wait_loadcnt_dscnt 0x0
	ds_store_b64 v101, v[2:3] offset:6336
	s_wait_alu 0xfffe
	v_add_co_u32 v0, vcc_lo, v0, s92
	s_wait_alu 0xfffd
	v_add_co_ci_u32_e64 v1, null, s93, v1, vcc_lo
	s_delay_alu instid0(VALU_DEP_2) | instskip(SKIP_1) | instid1(VALU_DEP_2)
	v_add_co_u32 v0, vcc_lo, 0x108, v0
	s_wait_alu 0xfffd
	v_add_co_ci_u32_e64 v1, null, 0, v1, vcc_lo
	s_delay_alu instid0(VALU_DEP_2) | instskip(NEXT) | instid1(VALU_DEP_2)
	v_cndmask_b32_e64 v18, v0, v18, s11
	v_cndmask_b32_e64 v19, v1, v19, s11
.LBB178_62:                             ;   in Loop: Header=BB178_4 Depth=1
	s_wait_loadcnt_dscnt 0x0
	s_barrier_signal -1
	s_barrier_wait -1
	global_inv scope:SCOPE_SE
	ds_load_b64 v[0:1], v101
	ds_load_b64 v[2:3], v104
	ds_load_b64 v[4:5], v101 offset:6336
	ds_load_b64 v[6:7], v101 offset:2112
	;; [unrolled: 1-line block ×4, first 2 shown]
	s_wait_dscnt 0x4
	v_fma_f64 v[12:13], v[0:1], v[2:3], 0
	ds_load_2addr_b64 v[0:3], v100 offset0:8 offset1:16
	s_wait_dscnt 0x0
	v_fma_f64 v[0:1], v[6:7], v[0:1], v[12:13]
	s_delay_alu instid0(VALU_DEP_1) | instskip(NEXT) | instid1(VALU_DEP_1)
	v_fma_f64 v[0:1], v[8:9], v[2:3], v[0:1]
	v_fma_f64 v[20:21], v[4:5], v[10:11], v[0:1]
	ds_load_b128 v[8:11], v90 offset:256
	ds_load_b128 v[0:3], v90 offset:272
	ds_load_2addr_b64 v[12:15], v92 offset1:1
	ds_load_2addr_b64 v[4:7], v92 offset0:2 offset1:3
	s_wait_loadcnt_dscnt 0x0
	s_barrier_signal -1
	s_barrier_wait -1
	global_inv scope:SCOPE_SE
	ds_store_b64 v91, v[20:21]
	s_wait_loadcnt_dscnt 0x0
	s_barrier_signal -1
	s_barrier_wait -1
	global_inv scope:SCOPE_SE
	s_and_saveexec_b32 s19, s16
	s_cbranch_execz .LBB178_64
; %bb.63:                               ;   in Loop: Header=BB178_4 Depth=1
	ds_load_2addr_b64 v[20:23], v88 offset1:1
	ds_load_2addr_b64 v[24:27], v88 offset0:2 offset1:3
	s_wait_dscnt 0x1
	v_add_f64_e32 v[20:21], v[48:49], v[20:21]
	s_delay_alu instid0(VALU_DEP_1) | instskip(SKIP_1) | instid1(VALU_DEP_1)
	v_add_f64_e32 v[20:21], v[20:21], v[22:23]
	s_wait_dscnt 0x0
	v_add_f64_e32 v[20:21], v[20:21], v[24:25]
	s_delay_alu instid0(VALU_DEP_1) | instskip(SKIP_4) | instid1(VALU_DEP_1)
	v_add_f64_e32 v[28:29], v[20:21], v[26:27]
	ds_load_2addr_b64 v[20:23], v88 offset0:4 offset1:5
	ds_load_2addr_b64 v[24:27], v88 offset0:6 offset1:7
	s_wait_dscnt 0x1
	v_add_f64_e32 v[20:21], v[28:29], v[20:21]
	v_add_f64_e32 v[20:21], v[20:21], v[22:23]
	s_wait_dscnt 0x0
	s_delay_alu instid0(VALU_DEP_1) | instskip(NEXT) | instid1(VALU_DEP_1)
	v_add_f64_e32 v[20:21], v[20:21], v[24:25]
	v_add_f64_e32 v[48:49], v[20:21], v[26:27]
.LBB178_64:                             ;   in Loop: Header=BB178_4 Depth=1
	s_wait_alu 0xfffe
	s_or_b32 exec_lo, exec_lo, s19
	v_fma_f64 v[8:9], v[12:13], v[8:9], 0
	s_wait_loadcnt 0x0
	s_barrier_signal -1
	s_barrier_wait -1
	global_inv scope:SCOPE_SE
	v_fma_f64 v[8:9], v[14:15], v[10:11], v[8:9]
	s_delay_alu instid0(VALU_DEP_1) | instskip(NEXT) | instid1(VALU_DEP_1)
	v_fma_f64 v[0:1], v[4:5], v[0:1], v[8:9]
	v_fma_f64 v[0:1], v[6:7], v[2:3], v[0:1]
	ds_store_b64 v91, v[0:1]
	s_wait_loadcnt_dscnt 0x0
	s_barrier_signal -1
	s_barrier_wait -1
	global_inv scope:SCOPE_SE
	s_and_saveexec_b32 s19, s10
	s_cbranch_execz .LBB178_66
; %bb.65:                               ;   in Loop: Header=BB178_4 Depth=1
	ds_load_2addr_b64 v[0:3], v88 offset1:1
	ds_load_2addr_b64 v[4:7], v88 offset0:2 offset1:3
	s_wait_dscnt 0x1
	v_add_f64_e32 v[0:1], v[48:49], v[0:1]
	s_delay_alu instid0(VALU_DEP_1) | instskip(SKIP_1) | instid1(VALU_DEP_1)
	v_add_f64_e32 v[0:1], v[0:1], v[2:3]
	s_wait_dscnt 0x0
	v_add_f64_e32 v[0:1], v[0:1], v[4:5]
	s_delay_alu instid0(VALU_DEP_1) | instskip(SKIP_4) | instid1(VALU_DEP_1)
	v_add_f64_e32 v[8:9], v[0:1], v[6:7]
	ds_load_2addr_b64 v[0:3], v88 offset0:4 offset1:5
	ds_load_2addr_b64 v[4:7], v88 offset0:6 offset1:7
	s_wait_dscnt 0x1
	v_add_f64_e32 v[0:1], v[8:9], v[0:1]
	v_add_f64_e32 v[0:1], v[0:1], v[2:3]
	s_wait_dscnt 0x0
	s_delay_alu instid0(VALU_DEP_1) | instskip(NEXT) | instid1(VALU_DEP_1)
	v_add_f64_e32 v[0:1], v[0:1], v[4:5]
	v_add_f64_e32 v[48:49], v[0:1], v[6:7]
.LBB178_66:                             ;   in Loop: Header=BB178_4 Depth=1
	s_wait_alu 0xfffe
	s_or_b32 exec_lo, exec_lo, s19
	s_mul_u64 s[92:93], s[34:35], s[28:29]
	s_and_not1_b32 vcc_lo, exec_lo, s99
	s_wait_alu 0xfffe
	s_lshl_b64 s[92:93], s[92:93], 3
	s_wait_loadcnt 0x0
	s_wait_alu 0xfffe
	s_add_nc_u64 s[92:93], s[38:39], s[92:93]
	s_barrier_signal -1
	s_barrier_wait -1
	global_inv scope:SCOPE_SE
	s_cbranch_vccnz .LBB178_73
; %bb.67:                               ;   in Loop: Header=BB178_4 Depth=1
	v_add_co_u32 v0, vcc_lo, v18, s90
	s_wait_alu 0xfffd
	v_add_co_ci_u32_e64 v1, null, s91, v19, vcc_lo
	s_lshl_b64 s[94:95], s[36:37], 3
	v_add_co_u32 v0, vcc_lo, v0, v40
	s_wait_alu 0xfffd
	v_add_co_ci_u32_e64 v1, null, v1, v41, vcc_lo
	v_mov_b32_e32 v32, v84
	s_delay_alu instid0(VALU_DEP_3) | instskip(SKIP_1) | instid1(VALU_DEP_3)
	v_add_co_u32 v0, vcc_lo, v0, v42
	s_wait_alu 0xfffd
	v_add_co_ci_u32_e64 v1, null, v1, v43, vcc_lo
	s_mov_b32 s19, ttmp9
	v_add_co_u32 v2, vcc_lo, v0, v44
	s_wait_alu 0xfffd
	v_add_co_ci_u32_e64 v3, null, v1, v45, vcc_lo
	s_wait_alu 0xfffe
	s_delay_alu instid0(VALU_DEP_2) | instskip(SKIP_1) | instid1(VALU_DEP_2)
	v_add_co_u32 v2, vcc_lo, v2, s94
	s_wait_alu 0xfffd
	v_add_co_ci_u32_e64 v3, null, s95, v3, vcc_lo
	v_add_co_u32 v0, vcc_lo, 0xffffff00, v0
	s_wait_alu 0xfffd
	v_add_co_ci_u32_e64 v1, null, -1, v1, vcc_lo
	v_add_co_u32 v2, vcc_lo, 0xfffffef8, v2
	s_wait_alu 0xfffd
	v_add_co_ci_u32_e64 v3, null, -1, v3, vcc_lo
	v_add_co_u32 v107, vcc_lo, v16, s88
	s_wait_alu 0xfffd
	v_add_co_ci_u32_e64 v108, null, s89, v17, vcc_lo
	s_delay_alu instid0(VALU_DEP_3)
	v_cndmask_b32_e64 v51, v1, v3, s17
	v_cndmask_b32_e64 v50, v0, v2, s17
	s_mov_b32 s94, 0
	s_branch .LBB178_69
.LBB178_68:                             ;   in Loop: Header=BB178_69 Depth=2
	s_wait_alu 0xfffe
	s_or_b32 exec_lo, exec_lo, s95
	v_fma_f64 v[0:1], v[52:53], v[0:1], v[48:49]
	v_add_co_u32 v50, vcc_lo, v50, s52
	s_wait_alu 0xfffd
	v_add_co_ci_u32_e64 v51, null, s53, v51, vcc_lo
	v_add_nc_u32_e32 v32, 64, v32
	s_add_co_i32 s19, s19, -1
	s_add_co_i32 s94, s94, s100
	s_wait_alu 0xfffe
	s_cmp_eq_u32 s19, 0
	s_wait_loadcnt 0x0
	s_wait_storecnt 0x0
	s_barrier_signal -1
	s_barrier_wait -1
	global_inv scope:SCOPE_SE
	v_fma_f64 v[0:1], v[54:55], v[2:3], v[0:1]
	s_delay_alu instid0(VALU_DEP_1) | instskip(NEXT) | instid1(VALU_DEP_1)
	v_fma_f64 v[0:1], v[56:57], v[4:5], v[0:1]
	v_fma_f64 v[0:1], v[58:59], v[6:7], v[0:1]
	s_delay_alu instid0(VALU_DEP_1) | instskip(NEXT) | instid1(VALU_DEP_1)
	v_fma_f64 v[0:1], v[60:61], v[8:9], v[0:1]
	;; [unrolled: 3-line block ×7, first 2 shown]
	v_fma_f64 v[48:49], v[82:83], v[30:31], v[0:1]
	s_cbranch_scc1 .LBB178_73
.LBB178_69:                             ;   Parent Loop BB178_4 Depth=1
                                        ; =>  This Inner Loop Header: Depth=2
	s_and_saveexec_b32 s102, s0
	s_cbranch_execz .LBB178_71
; %bb.70:                               ;   in Loop: Header=BB178_69 Depth=2
	s_wait_alu 0xfffe
	s_ashr_i32 s95, s94, 31
	s_wait_alu 0xfffe
	s_lshl_b64 vcc, s[94:95], 3
	s_wait_alu 0xfffe
	v_add_co_u32 v0, vcc_lo, v107, vcc_lo
	s_wait_alu 0xfffd
	v_add_co_ci_u32_e64 v1, null, vcc_hi, v108, vcc_lo
	flat_load_b64 v[0:1], v[0:1]
	s_wait_loadcnt_dscnt 0x0
	ds_store_b64 v93, v[0:1]
.LBB178_71:                             ;   in Loop: Header=BB178_69 Depth=2
	s_or_b32 exec_lo, exec_lo, s102
	v_add_co_u32 v0, vcc_lo, v50, s48
	s_wait_alu 0xfffd
	v_add_co_ci_u32_e64 v1, null, s49, v51, vcc_lo
	v_add_co_u32 v2, vcc_lo, v50, s50
	s_wait_alu 0xfffd
	v_add_co_ci_u32_e64 v3, null, s51, v51, vcc_lo
	;; [unrolled: 3-line block ×3, first 2 shown]
	s_wait_loadcnt_dscnt 0x0
	s_barrier_signal -1
	s_barrier_wait -1
	global_inv scope:SCOPE_SE
	s_clause 0x3
	flat_load_b64 v[52:53], v[50:51]
	flat_load_b64 v[54:55], v[0:1]
	;; [unrolled: 1-line block ×4, first 2 shown]
	ds_load_b64 v[4:5], v86
	ds_load_b128 v[0:3], v94
	v_add_co_u32 v16, vcc_lo, v50, s56
	s_wait_alu 0xfffd
	v_add_co_ci_u32_e64 v17, null, s57, v51, vcc_lo
	v_add_co_u32 v18, vcc_lo, v50, s78
	s_wait_alu 0xfffd
	v_add_co_ci_u32_e64 v19, null, s79, v51, vcc_lo
	;; [unrolled: 3-line block ×12, first 2 shown]
	s_wait_loadcnt_dscnt 0x301
	v_mul_f64_e32 v[8:9], v[52:53], v[4:5]
	s_wait_loadcnt 0x2
	v_mul_f64_e32 v[10:11], v[54:55], v[4:5]
	s_wait_loadcnt 0x1
	v_mul_f64_e32 v[12:13], v[56:57], v[4:5]
	s_wait_loadcnt 0x0
	v_mul_f64_e32 v[14:15], v[58:59], v[4:5]
	ds_load_b128 v[4:7], v94 offset:16
	ds_store_2addr_b64 v95, v[8:9], v[10:11] offset1:67
	ds_store_2addr_b64 v95, v[12:13], v[14:15] offset0:134 offset1:201
	s_wait_dscnt 0x0
	s_barrier_signal -1
	s_barrier_wait -1
	global_inv scope:SCOPE_SE
	ds_load_2addr_b64 v[109:112], v96 offset1:1
	ds_load_2addr_b64 v[113:116], v96 offset0:2 offset1:3
	s_wait_loadcnt_dscnt 0x0
	s_barrier_signal -1
	s_barrier_wait -1
	global_inv scope:SCOPE_SE
	s_clause 0x3
	flat_load_b64 v[60:61], v[16:17]
	flat_load_b64 v[62:63], v[18:19]
	flat_load_b64 v[64:65], v[20:21]
	flat_load_b64 v[66:67], v[22:23]
	ds_load_b64 v[12:13], v86
	ds_load_b128 v[8:11], v94 offset:128
	v_add_f64_e32 v[109:110], 0, v[109:110]
	s_delay_alu instid0(VALU_DEP_1) | instskip(NEXT) | instid1(VALU_DEP_1)
	v_add_f64_e32 v[109:110], v[109:110], v[111:112]
	v_add_f64_e32 v[109:110], v[109:110], v[113:114]
	s_delay_alu instid0(VALU_DEP_1)
	v_add_f64_e32 v[109:110], v[109:110], v[115:116]
	s_wait_loadcnt_dscnt 0x301
	v_mul_f64_e32 v[16:17], v[60:61], v[12:13]
	s_wait_loadcnt 0x2
	v_mul_f64_e32 v[18:19], v[62:63], v[12:13]
	s_wait_loadcnt 0x1
	v_mul_f64_e32 v[20:21], v[64:65], v[12:13]
	s_wait_loadcnt 0x0
	v_mul_f64_e32 v[22:23], v[66:67], v[12:13]
	ds_load_b128 v[12:15], v94 offset:144
	ds_store_2addr_b64 v95, v[16:17], v[18:19] offset1:67
	ds_store_2addr_b64 v95, v[20:21], v[22:23] offset0:134 offset1:201
	s_wait_dscnt 0x0
	s_barrier_signal -1
	s_barrier_wait -1
	global_inv scope:SCOPE_SE
	ds_load_2addr_b64 v[117:120], v96 offset1:1
	ds_load_2addr_b64 v[121:124], v96 offset0:2 offset1:3
	s_wait_loadcnt_dscnt 0x0
	s_barrier_signal -1
	s_barrier_wait -1
	global_inv scope:SCOPE_SE
	s_clause 0x3
	flat_load_b64 v[68:69], v[24:25]
	flat_load_b64 v[70:71], v[26:27]
	flat_load_b64 v[72:73], v[28:29]
	flat_load_b64 v[74:75], v[30:31]
	ds_load_b64 v[20:21], v86
	ds_load_b128 v[16:19], v94 offset:256
	v_add_f64_e32 v[117:118], 0, v[117:118]
	s_delay_alu instid0(VALU_DEP_1) | instskip(NEXT) | instid1(VALU_DEP_1)
	v_add_f64_e32 v[111:112], v[117:118], v[119:120]
	v_add_f64_e32 v[111:112], v[111:112], v[121:122]
	s_delay_alu instid0(VALU_DEP_1)
	v_add_f64_e32 v[111:112], v[111:112], v[123:124]
	;; [unrolled: 34-line block ×3, first 2 shown]
	s_wait_loadcnt_dscnt 0x301
	v_mul_f64_e32 v[133:134], v[76:77], v[28:29]
	s_wait_loadcnt 0x2
	v_mul_f64_e32 v[135:136], v[78:79], v[28:29]
	s_wait_loadcnt 0x1
	;; [unrolled: 2-line block ×3, first 2 shown]
	v_mul_f64_e32 v[139:140], v[82:83], v[28:29]
	ds_load_b128 v[28:31], v94 offset:400
	ds_store_2addr_b64 v95, v[133:134], v[135:136] offset1:67
	ds_store_2addr_b64 v95, v[137:138], v[139:140] offset0:134 offset1:201
	s_wait_dscnt 0x0
	s_barrier_signal -1
	s_barrier_wait -1
	global_inv scope:SCOPE_SE
	ds_load_2addr_b64 v[133:136], v96 offset1:1
	ds_load_2addr_b64 v[137:140], v96 offset0:2 offset1:3
	s_wait_loadcnt_dscnt 0x0
	s_barrier_signal -1
	s_barrier_wait -1
	global_inv scope:SCOPE_SE
	v_add_f64_e32 v[133:134], 0, v[133:134]
	s_delay_alu instid0(VALU_DEP_1) | instskip(NEXT) | instid1(VALU_DEP_1)
	v_add_f64_e32 v[119:120], v[133:134], v[135:136]
	v_add_f64_e32 v[117:118], v[119:120], v[137:138]
	s_delay_alu instid0(VALU_DEP_1)
	v_add_f64_e32 v[115:116], v[117:118], v[139:140]
	ds_store_2addr_b64 v105, v[109:110], v[111:112] offset1:16
	ds_store_2addr_b64 v105, v[113:114], v[115:116] offset0:32 offset1:48
	s_wait_loadcnt_dscnt 0x0
	s_barrier_signal -1
	s_barrier_wait -1
	global_inv scope:SCOPE_SE
	s_and_saveexec_b32 s95, s18
	s_cbranch_execz .LBB178_68
; %bb.72:                               ;   in Loop: Header=BB178_69 Depth=2
	ds_load_2addr_b64 v[109:112], v97 offset1:1
	ds_load_2addr_b64 v[113:116], v97 offset0:2 offset1:3
	s_wait_dscnt 0x1
	v_add_f64_e32 v[109:110], v[109:110], v[111:112]
	s_wait_dscnt 0x0
	s_delay_alu instid0(VALU_DEP_1) | instskip(NEXT) | instid1(VALU_DEP_1)
	v_add_f64_e32 v[109:110], v[109:110], v[113:114]
	v_add_f64_e32 v[117:118], v[109:110], v[115:116]
	ds_load_2addr_b64 v[109:112], v97 offset0:4 offset1:5
	ds_load_2addr_b64 v[113:116], v97 offset0:6 offset1:7
	s_wait_dscnt 0x1
	v_add_f64_e32 v[109:110], v[117:118], v[109:110]
	s_delay_alu instid0(VALU_DEP_1) | instskip(SKIP_1) | instid1(VALU_DEP_1)
	v_add_f64_e32 v[109:110], v[109:110], v[111:112]
	s_wait_dscnt 0x0
	v_add_f64_e32 v[109:110], v[109:110], v[113:114]
	s_delay_alu instid0(VALU_DEP_1) | instskip(SKIP_4) | instid1(VALU_DEP_1)
	v_add_f64_e32 v[117:118], v[109:110], v[115:116]
	ds_load_2addr_b64 v[109:112], v97 offset0:8 offset1:9
	ds_load_2addr_b64 v[113:116], v97 offset0:10 offset1:11
	s_wait_dscnt 0x1
	v_add_f64_e32 v[109:110], v[117:118], v[109:110]
	v_add_f64_e32 v[109:110], v[109:110], v[111:112]
	s_wait_dscnt 0x0
	s_delay_alu instid0(VALU_DEP_1) | instskip(NEXT) | instid1(VALU_DEP_1)
	v_add_f64_e32 v[109:110], v[109:110], v[113:114]
	v_add_f64_e32 v[113:114], v[109:110], v[115:116]
	ds_load_2addr_b64 v[109:112], v97 offset0:12 offset1:13
	ds_load_b64 v[115:116], v97 offset:112
	s_wait_dscnt 0x1
	v_add_f64_e32 v[109:110], v[113:114], v[109:110]
	s_delay_alu instid0(VALU_DEP_1) | instskip(SKIP_4) | instid1(VALU_DEP_1)
	v_add_f64_e32 v[109:110], v[109:110], v[111:112]
	ds_load_b64 v[111:112], v98
	s_wait_dscnt 0x1
	v_add_f64_e32 v[109:110], v[109:110], v[115:116]
	s_wait_dscnt 0x0
	v_add_f64_e32 v[109:110], v[109:110], v[111:112]
	v_lshlrev_b64_e32 v[111:112], 3, v[32:33]
	s_wait_alu 0xfffe
	s_delay_alu instid0(VALU_DEP_1) | instskip(SKIP_1) | instid1(VALU_DEP_2)
	v_add_co_u32 v111, vcc_lo, s92, v111
	s_wait_alu 0xfffd
	v_add_co_ci_u32_e64 v112, null, s93, v112, vcc_lo
	global_store_b64 v[111:112], v[109:110], off
	s_branch .LBB178_68
.LBB178_73:                             ;   in Loop: Header=BB178_4 Depth=1
	ds_store_b64 v99, v[48:49]
	s_wait_loadcnt_dscnt 0x0
	s_barrier_signal -1
	s_barrier_wait -1
	global_inv scope:SCOPE_SE
	s_and_saveexec_b32 s19, s101
	s_cbranch_execz .LBB178_2
; %bb.74:                               ;   in Loop: Header=BB178_4 Depth=1
	ds_load_2addr_b64 v[0:3], v85 offset1:67
	s_wait_dscnt 0x0
	v_add_f64_e32 v[4:5], v[0:1], v[2:3]
	ds_load_2addr_b64 v[0:3], v85 offset0:134 offset1:201
	s_wait_dscnt 0x0
	v_add_f64_e32 v[0:1], v[4:5], v[0:1]
	s_delay_alu instid0(VALU_DEP_1)
	v_add_f64_e32 v[0:1], v[0:1], v[2:3]
	s_wait_alu 0xfffe
	v_add_co_u32 v2, vcc_lo, s92, v46
	s_wait_alu 0xfffd
	v_add_co_ci_u32_e64 v3, null, s93, v47, vcc_lo
	global_store_b64 v[2:3], v[0:1], off
	s_branch .LBB178_2
.LBB178_75:                             ;   in Loop: Header=BB178_4 Depth=1
	ds_load_b64 v[2:3], v102
	s_wait_dscnt 0x0
	ds_store_b64 v89, v[2:3]
	s_wait_alu 0xfffe
	s_or_b32 exec_lo, exec_lo, s19
	s_and_saveexec_b32 s19, s7
	s_cbranch_execz .LBB178_26
.LBB178_76:                             ;   in Loop: Header=BB178_4 Depth=1
	ds_load_b64 v[2:3], v103
	s_wait_dscnt 0x0
	ds_store_b64 v89, v[2:3] offset:8
	s_wait_alu 0xfffe
	s_or_b32 exec_lo, exec_lo, s19
	s_and_saveexec_b32 s19, s8
	s_cbranch_execz .LBB178_27
.LBB178_77:                             ;   in Loop: Header=BB178_4 Depth=1
	ds_load_b64 v[2:3], v103 offset:264
	s_wait_dscnt 0x0
	ds_store_b64 v89, v[2:3] offset:16
	s_wait_alu 0xfffe
	s_or_b32 exec_lo, exec_lo, s19
	s_and_saveexec_b32 s19, s9
	s_cbranch_execnz .LBB178_28
	s_branch .LBB178_29
.LBB178_78:                             ;   in Loop: Header=BB178_4 Depth=1
	ds_load_b64 v[0:1], v102
	s_wait_dscnt 0x0
	ds_store_b64 v89, v[0:1]
	s_wait_alu 0xfffe
	s_or_b32 exec_lo, exec_lo, s19
	s_and_saveexec_b32 s19, s7
	s_cbranch_execz .LBB178_45
.LBB178_79:                             ;   in Loop: Header=BB178_4 Depth=1
	ds_load_b64 v[0:1], v103
	s_wait_dscnt 0x0
	ds_store_b64 v89, v[0:1] offset:8
	s_wait_alu 0xfffe
	s_or_b32 exec_lo, exec_lo, s19
	s_and_saveexec_b32 s19, s8
	s_cbranch_execz .LBB178_46
.LBB178_80:                             ;   in Loop: Header=BB178_4 Depth=1
	ds_load_b64 v[0:1], v103 offset:264
	s_wait_dscnt 0x0
	ds_store_b64 v89, v[0:1] offset:16
	s_wait_alu 0xfffe
	s_or_b32 exec_lo, exec_lo, s19
	s_and_saveexec_b32 s19, s9
	s_cbranch_execnz .LBB178_47
	s_branch .LBB178_48
.LBB178_81:
	s_nop 0
	s_sendmsg sendmsg(MSG_DEALLOC_VGPRS)
	s_endpgm
	.section	.rodata,"a",@progbits
	.p2align	6, 0x0
	.amdhsa_kernel _ZL26rocblas_hemvn_kernel_lowerILb0ELi64ELi4ELi33ELi32ELi16EidPKPKdPdEviT6_lT7_lT5_lS6_lS7_lS5_lT8_i
		.amdhsa_group_segment_fixed_size 9600
		.amdhsa_private_segment_fixed_size 0
		.amdhsa_kernarg_size 376
		.amdhsa_user_sgpr_count 2
		.amdhsa_user_sgpr_dispatch_ptr 0
		.amdhsa_user_sgpr_queue_ptr 0
		.amdhsa_user_sgpr_kernarg_segment_ptr 1
		.amdhsa_user_sgpr_dispatch_id 0
		.amdhsa_user_sgpr_private_segment_size 0
		.amdhsa_wavefront_size32 1
		.amdhsa_uses_dynamic_stack 0
		.amdhsa_enable_private_segment 0
		.amdhsa_system_sgpr_workgroup_id_x 1
		.amdhsa_system_sgpr_workgroup_id_y 0
		.amdhsa_system_sgpr_workgroup_id_z 1
		.amdhsa_system_sgpr_workgroup_info 0
		.amdhsa_system_vgpr_workitem_id 1
		.amdhsa_next_free_vgpr 141
		.amdhsa_next_free_sgpr 103
		.amdhsa_reserve_vcc 1
		.amdhsa_float_round_mode_32 0
		.amdhsa_float_round_mode_16_64 0
		.amdhsa_float_denorm_mode_32 3
		.amdhsa_float_denorm_mode_16_64 3
		.amdhsa_fp16_overflow 0
		.amdhsa_workgroup_processor_mode 1
		.amdhsa_memory_ordered 1
		.amdhsa_forward_progress 1
		.amdhsa_inst_pref_size 57
		.amdhsa_round_robin_scheduling 0
		.amdhsa_exception_fp_ieee_invalid_op 0
		.amdhsa_exception_fp_denorm_src 0
		.amdhsa_exception_fp_ieee_div_zero 0
		.amdhsa_exception_fp_ieee_overflow 0
		.amdhsa_exception_fp_ieee_underflow 0
		.amdhsa_exception_fp_ieee_inexact 0
		.amdhsa_exception_int_div_zero 0
	.end_amdhsa_kernel
	.section	.text._ZL26rocblas_hemvn_kernel_lowerILb0ELi64ELi4ELi33ELi32ELi16EidPKPKdPdEviT6_lT7_lT5_lS6_lS7_lS5_lT8_i,"axG",@progbits,_ZL26rocblas_hemvn_kernel_lowerILb0ELi64ELi4ELi33ELi32ELi16EidPKPKdPdEviT6_lT7_lT5_lS6_lS7_lS5_lT8_i,comdat
.Lfunc_end178:
	.size	_ZL26rocblas_hemvn_kernel_lowerILb0ELi64ELi4ELi33ELi32ELi16EidPKPKdPdEviT6_lT7_lT5_lS6_lS7_lS5_lT8_i, .Lfunc_end178-_ZL26rocblas_hemvn_kernel_lowerILb0ELi64ELi4ELi33ELi32ELi16EidPKPKdPdEviT6_lT7_lT5_lS6_lS7_lS5_lT8_i
                                        ; -- End function
	.set _ZL26rocblas_hemvn_kernel_lowerILb0ELi64ELi4ELi33ELi32ELi16EidPKPKdPdEviT6_lT7_lT5_lS6_lS7_lS5_lT8_i.num_vgpr, 141
	.set _ZL26rocblas_hemvn_kernel_lowerILb0ELi64ELi4ELi33ELi32ELi16EidPKPKdPdEviT6_lT7_lT5_lS6_lS7_lS5_lT8_i.num_agpr, 0
	.set _ZL26rocblas_hemvn_kernel_lowerILb0ELi64ELi4ELi33ELi32ELi16EidPKPKdPdEviT6_lT7_lT5_lS6_lS7_lS5_lT8_i.numbered_sgpr, 103
	.set _ZL26rocblas_hemvn_kernel_lowerILb0ELi64ELi4ELi33ELi32ELi16EidPKPKdPdEviT6_lT7_lT5_lS6_lS7_lS5_lT8_i.num_named_barrier, 0
	.set _ZL26rocblas_hemvn_kernel_lowerILb0ELi64ELi4ELi33ELi32ELi16EidPKPKdPdEviT6_lT7_lT5_lS6_lS7_lS5_lT8_i.private_seg_size, 0
	.set _ZL26rocblas_hemvn_kernel_lowerILb0ELi64ELi4ELi33ELi32ELi16EidPKPKdPdEviT6_lT7_lT5_lS6_lS7_lS5_lT8_i.uses_vcc, 1
	.set _ZL26rocblas_hemvn_kernel_lowerILb0ELi64ELi4ELi33ELi32ELi16EidPKPKdPdEviT6_lT7_lT5_lS6_lS7_lS5_lT8_i.uses_flat_scratch, 1
	.set _ZL26rocblas_hemvn_kernel_lowerILb0ELi64ELi4ELi33ELi32ELi16EidPKPKdPdEviT6_lT7_lT5_lS6_lS7_lS5_lT8_i.has_dyn_sized_stack, 0
	.set _ZL26rocblas_hemvn_kernel_lowerILb0ELi64ELi4ELi33ELi32ELi16EidPKPKdPdEviT6_lT7_lT5_lS6_lS7_lS5_lT8_i.has_recursion, 0
	.set _ZL26rocblas_hemvn_kernel_lowerILb0ELi64ELi4ELi33ELi32ELi16EidPKPKdPdEviT6_lT7_lT5_lS6_lS7_lS5_lT8_i.has_indirect_call, 0
	.section	.AMDGPU.csdata,"",@progbits
; Kernel info:
; codeLenInByte = 7296
; TotalNumSgprs: 105
; NumVgprs: 141
; ScratchSize: 0
; MemoryBound: 0
; FloatMode: 240
; IeeeMode: 1
; LDSByteSize: 9600 bytes/workgroup (compile time only)
; SGPRBlocks: 0
; VGPRBlocks: 17
; NumSGPRsForWavesPerEU: 105
; NumVGPRsForWavesPerEU: 141
; Occupancy: 10
; WaveLimiterHint : 1
; COMPUTE_PGM_RSRC2:SCRATCH_EN: 0
; COMPUTE_PGM_RSRC2:USER_SGPR: 2
; COMPUTE_PGM_RSRC2:TRAP_HANDLER: 0
; COMPUTE_PGM_RSRC2:TGID_X_EN: 1
; COMPUTE_PGM_RSRC2:TGID_Y_EN: 0
; COMPUTE_PGM_RSRC2:TGID_Z_EN: 1
; COMPUTE_PGM_RSRC2:TIDIG_COMP_CNT: 1
	.section	.text._ZL36rocblas_hemvn_kernel_lower_block_sumILi64EidPKPddEviT1_lS3_lT2_lT0_lPT3_i,"axG",@progbits,_ZL36rocblas_hemvn_kernel_lower_block_sumILi64EidPKPddEviT1_lS3_lT2_lT0_lPT3_i,comdat
	.globl	_ZL36rocblas_hemvn_kernel_lower_block_sumILi64EidPKPddEviT1_lS3_lT2_lT0_lPT3_i ; -- Begin function _ZL36rocblas_hemvn_kernel_lower_block_sumILi64EidPKPddEviT1_lS3_lT2_lT0_lPT3_i
	.p2align	8
	.type	_ZL36rocblas_hemvn_kernel_lower_block_sumILi64EidPKPddEviT1_lS3_lT2_lT0_lPT3_i,@function
_ZL36rocblas_hemvn_kernel_lower_block_sumILi64EidPKPddEviT1_lS3_lT2_lT0_lPT3_i: ; @_ZL36rocblas_hemvn_kernel_lower_block_sumILi64EidPKPddEviT1_lS3_lT2_lT0_lPT3_i
; %bb.0:
	s_load_b32 s20, s[0:1], 0x50
	s_lshr_b32 s2, ttmp7, 16
	s_wait_kmcnt 0x0
	s_cmp_ge_u32 s2, s20
	s_cbranch_scc1 .LBB179_25
; %bb.1:
	s_clause 0x3
	s_load_b64 s[8:9], s[0:1], 0x8
	s_load_b64 s[10:11], s[0:1], 0x18
	s_load_b32 s14, s[0:1], 0x0
	s_load_b32 s4, s[0:1], 0x38
	v_lshl_or_b32 v0, ttmp9, 6, v0
	s_load_b64 s[16:17], s[0:1], 0x48
	s_add_nc_u64 s[12:13], s[0:1], 0x58
	s_wait_kmcnt 0x0
	v_cmp_neq_f64_e64 s3, s[8:9], 0
	v_cmp_neq_f64_e64 s18, s[10:11], 1.0
	v_cmp_eq_f64_e64 s21, s[10:11], 0
	v_mul_lo_u32 v3, s4, v0
	s_load_b128 s[4:7], s[0:1], 0x28
	v_cmp_eq_f64_e64 s1, s[8:9], 0
	v_cmp_neq_f64_e64 s23, s[10:11], 0
	v_mad_co_u64_u32 v[1:2], null, s14, ttmp9, v[0:1]
	v_cmp_gt_i32_e64 s0, s14, v0
	s_ashr_i32 s15, s14, 31
	v_ashrrev_i32_e32 v4, 31, v3
	s_wait_alu 0xfffe
	s_lshl_b64 s[14:15], s[14:15], 3
	v_ashrrev_i32_e32 v2, 31, v1
	s_delay_alu instid0(VALU_DEP_1) | instskip(SKIP_3) | instid1(VALU_DEP_2)
	v_lshlrev_b64_e32 v[5:6], 3, v[1:2]
	v_lshlrev_b64_e32 v[0:1], 3, v[3:4]
	s_wait_kmcnt 0x0
	s_lshl_b64 s[6:7], s[6:7], 3
	v_add_co_u32 v2, vcc_lo, s16, v5
	s_delay_alu instid0(VALU_DEP_1)
	v_add_co_ci_u32_e64 v3, null, s17, v6, vcc_lo
	s_or_b32 s22, s3, s18
	s_mov_b32 s3, 0
	s_branch .LBB179_4
.LBB179_2:                              ;   in Loop: Header=BB179_4 Depth=1
	s_or_b32 exec_lo, exec_lo, s18
.LBB179_3:                              ;   in Loop: Header=BB179_4 Depth=1
	s_add_co_i32 s2, s2, 0x10000
	s_wait_alu 0xfffe
	s_cmp_lt_u32 s2, s20
	s_cbranch_scc0 .LBB179_25
.LBB179_4:                              ; =>This Loop Header: Depth=1
                                        ;     Child Loop BB179_16 Depth 2
	s_and_not1_b32 vcc_lo, exec_lo, s22
	s_wait_alu 0xfffe
	s_cbranch_vccnz .LBB179_3
; %bb.5:                                ;   in Loop: Header=BB179_4 Depth=1
	s_lshl_b64 s[16:17], s[2:3], 3
	s_and_not1_b32 vcc_lo, exec_lo, s1
	s_wait_alu 0xfffe
	s_add_nc_u64 s[16:17], s[4:5], s[16:17]
	s_load_b64 s[16:17], s[16:17], 0x0
	s_wait_kmcnt 0x0
	s_add_nc_u64 s[16:17], s[16:17], s[6:7]
	s_cbranch_vccnz .LBB179_9
; %bb.6:                                ;   in Loop: Header=BB179_4 Depth=1
	s_mov_b32 s18, 0
	s_mov_b32 s24, 0
                                        ; implicit-def: $vgpr4_vgpr5
	s_and_saveexec_b32 s19, s0
	s_cbranch_execz .LBB179_10
; %bb.7:                                ;   in Loop: Header=BB179_4 Depth=1
	s_and_not1_b32 vcc_lo, exec_lo, s23
	s_wait_alu 0xfffe
	s_cbranch_vccnz .LBB179_11
; %bb.8:                                ;   in Loop: Header=BB179_4 Depth=1
	v_add_co_u32 v4, vcc_lo, s16, v0
	s_wait_alu 0xfffd
	v_add_co_ci_u32_e64 v5, null, s17, v1, vcc_lo
	flat_load_b64 v[4:5], v[4:5]
	s_wait_loadcnt_dscnt 0x0
	v_mul_f64_e32 v[4:5], s[10:11], v[4:5]
	s_branch .LBB179_12
.LBB179_9:                              ;   in Loop: Header=BB179_4 Depth=1
	s_mov_b32 s24, 0
                                        ; implicit-def: $vgpr4_vgpr5
	s_cbranch_execnz .LBB179_13
	s_branch .LBB179_23
.LBB179_10:                             ;   in Loop: Header=BB179_4 Depth=1
	s_or_b32 exec_lo, exec_lo, s19
	s_delay_alu instid0(SALU_CYCLE_1)
	s_and_b32 vcc_lo, exec_lo, s18
	s_wait_alu 0xfffe
	s_cbranch_vccnz .LBB179_13
	s_branch .LBB179_23
.LBB179_11:                             ;   in Loop: Header=BB179_4 Depth=1
	v_mov_b32_e32 v4, 0
	v_mov_b32_e32 v5, 0
.LBB179_12:                             ;   in Loop: Header=BB179_4 Depth=1
	s_mov_b32 s24, exec_lo
	s_or_b32 exec_lo, exec_lo, s19
	s_delay_alu instid0(SALU_CYCLE_1)
	s_and_b32 vcc_lo, exec_lo, s18
	s_wait_alu 0xfffe
	s_cbranch_vccz .LBB179_23
.LBB179_13:                             ;   in Loop: Header=BB179_4 Depth=1
                                        ; implicit-def: $vgpr4_vgpr5
	s_and_saveexec_b32 s25, s0
	s_cbranch_execz .LBB179_22
; %bb.14:                               ;   in Loop: Header=BB179_4 Depth=1
	s_load_b32 s18, s[12:13], 0x0
	v_mov_b32_e32 v6, 0
	v_mov_b32_e32 v7, 0
	s_wait_kmcnt 0x0
	s_cmp_ge_i32 ttmp9, s18
	s_cbranch_scc1 .LBB179_17
; %bb.15:                               ;   in Loop: Header=BB179_4 Depth=1
	s_mov_b32 s19, s3
	s_mov_b32 s26, ttmp9
	s_mul_u64 s[28:29], s[14:15], s[18:19]
	s_wait_alu 0xfffe
	v_mad_co_u64_u32 v[4:5], null, s28, s2, v[2:3]
	s_delay_alu instid0(VALU_DEP_1)
	v_mad_co_u64_u32 v[5:6], null, s29, s2, v[5:6]
	v_mov_b32_e32 v6, 0
	v_mov_b32_e32 v7, 0
.LBB179_16:                             ;   Parent Loop BB179_4 Depth=1
                                        ; =>  This Inner Loop Header: Depth=2
	global_load_b64 v[8:9], v[4:5], off
	v_add_co_u32 v4, vcc_lo, v4, s14
	s_wait_alu 0xfffd
	v_add_co_ci_u32_e64 v5, null, s15, v5, vcc_lo
	s_add_co_i32 s26, s26, 1
	s_delay_alu instid0(SALU_CYCLE_1)
	s_cmp_ge_i32 s26, s18
	s_wait_loadcnt 0x0
	v_add_f64_e32 v[6:7], v[6:7], v[8:9]
	s_cbranch_scc0 .LBB179_16
.LBB179_17:                             ;   in Loop: Header=BB179_4 Depth=1
	s_and_b32 vcc_lo, exec_lo, s21
	s_mov_b32 s18, -1
                                        ; implicit-def: $vgpr4_vgpr5
	s_wait_alu 0xfffe
	s_cbranch_vccz .LBB179_19
; %bb.18:                               ;   in Loop: Header=BB179_4 Depth=1
	s_delay_alu instid0(VALU_DEP_1)
	v_mul_f64_e32 v[4:5], s[8:9], v[6:7]
	s_mov_b32 s18, 0
.LBB179_19:                             ;   in Loop: Header=BB179_4 Depth=1
	s_delay_alu instid0(SALU_CYCLE_1)
	s_and_not1_b32 vcc_lo, exec_lo, s18
	s_wait_alu 0xfffe
	s_cbranch_vccnz .LBB179_21
; %bb.20:                               ;   in Loop: Header=BB179_4 Depth=1
	v_add_co_u32 v4, vcc_lo, s16, v0
	s_wait_alu 0xfffd
	v_add_co_ci_u32_e64 v5, null, s17, v1, vcc_lo
	flat_load_b64 v[4:5], v[4:5]
	s_wait_loadcnt_dscnt 0x0
	v_mul_f64_e32 v[4:5], s[10:11], v[4:5]
	s_delay_alu instid0(VALU_DEP_1)
	v_fma_f64 v[4:5], s[8:9], v[6:7], v[4:5]
.LBB179_21:                             ;   in Loop: Header=BB179_4 Depth=1
	s_or_b32 s24, s24, exec_lo
.LBB179_22:                             ;   in Loop: Header=BB179_4 Depth=1
	s_or_b32 exec_lo, exec_lo, s25
.LBB179_23:                             ;   in Loop: Header=BB179_4 Depth=1
	s_and_saveexec_b32 s18, s24
	s_cbranch_execz .LBB179_2
; %bb.24:                               ;   in Loop: Header=BB179_4 Depth=1
	s_wait_alu 0xfffe
	v_add_co_u32 v6, vcc_lo, s16, v0
	s_wait_alu 0xfffd
	v_add_co_ci_u32_e64 v7, null, s17, v1, vcc_lo
	flat_store_b64 v[6:7], v[4:5]
	s_branch .LBB179_2
.LBB179_25:
	s_endpgm
	.section	.rodata,"a",@progbits
	.p2align	6, 0x0
	.amdhsa_kernel _ZL36rocblas_hemvn_kernel_lower_block_sumILi64EidPKPddEviT1_lS3_lT2_lT0_lPT3_i
		.amdhsa_group_segment_fixed_size 0
		.amdhsa_private_segment_fixed_size 0
		.amdhsa_kernarg_size 344
		.amdhsa_user_sgpr_count 2
		.amdhsa_user_sgpr_dispatch_ptr 0
		.amdhsa_user_sgpr_queue_ptr 0
		.amdhsa_user_sgpr_kernarg_segment_ptr 1
		.amdhsa_user_sgpr_dispatch_id 0
		.amdhsa_user_sgpr_private_segment_size 0
		.amdhsa_wavefront_size32 1
		.amdhsa_uses_dynamic_stack 0
		.amdhsa_enable_private_segment 0
		.amdhsa_system_sgpr_workgroup_id_x 1
		.amdhsa_system_sgpr_workgroup_id_y 0
		.amdhsa_system_sgpr_workgroup_id_z 1
		.amdhsa_system_sgpr_workgroup_info 0
		.amdhsa_system_vgpr_workitem_id 0
		.amdhsa_next_free_vgpr 10
		.amdhsa_next_free_sgpr 30
		.amdhsa_reserve_vcc 1
		.amdhsa_float_round_mode_32 0
		.amdhsa_float_round_mode_16_64 0
		.amdhsa_float_denorm_mode_32 3
		.amdhsa_float_denorm_mode_16_64 3
		.amdhsa_fp16_overflow 0
		.amdhsa_workgroup_processor_mode 1
		.amdhsa_memory_ordered 1
		.amdhsa_forward_progress 1
		.amdhsa_inst_pref_size 6
		.amdhsa_round_robin_scheduling 0
		.amdhsa_exception_fp_ieee_invalid_op 0
		.amdhsa_exception_fp_denorm_src 0
		.amdhsa_exception_fp_ieee_div_zero 0
		.amdhsa_exception_fp_ieee_overflow 0
		.amdhsa_exception_fp_ieee_underflow 0
		.amdhsa_exception_fp_ieee_inexact 0
		.amdhsa_exception_int_div_zero 0
	.end_amdhsa_kernel
	.section	.text._ZL36rocblas_hemvn_kernel_lower_block_sumILi64EidPKPddEviT1_lS3_lT2_lT0_lPT3_i,"axG",@progbits,_ZL36rocblas_hemvn_kernel_lower_block_sumILi64EidPKPddEviT1_lS3_lT2_lT0_lPT3_i,comdat
.Lfunc_end179:
	.size	_ZL36rocblas_hemvn_kernel_lower_block_sumILi64EidPKPddEviT1_lS3_lT2_lT0_lPT3_i, .Lfunc_end179-_ZL36rocblas_hemvn_kernel_lower_block_sumILi64EidPKPddEviT1_lS3_lT2_lT0_lPT3_i
                                        ; -- End function
	.set _ZL36rocblas_hemvn_kernel_lower_block_sumILi64EidPKPddEviT1_lS3_lT2_lT0_lPT3_i.num_vgpr, 10
	.set _ZL36rocblas_hemvn_kernel_lower_block_sumILi64EidPKPddEviT1_lS3_lT2_lT0_lPT3_i.num_agpr, 0
	.set _ZL36rocblas_hemvn_kernel_lower_block_sumILi64EidPKPddEviT1_lS3_lT2_lT0_lPT3_i.numbered_sgpr, 30
	.set _ZL36rocblas_hemvn_kernel_lower_block_sumILi64EidPKPddEviT1_lS3_lT2_lT0_lPT3_i.num_named_barrier, 0
	.set _ZL36rocblas_hemvn_kernel_lower_block_sumILi64EidPKPddEviT1_lS3_lT2_lT0_lPT3_i.private_seg_size, 0
	.set _ZL36rocblas_hemvn_kernel_lower_block_sumILi64EidPKPddEviT1_lS3_lT2_lT0_lPT3_i.uses_vcc, 1
	.set _ZL36rocblas_hemvn_kernel_lower_block_sumILi64EidPKPddEviT1_lS3_lT2_lT0_lPT3_i.uses_flat_scratch, 0
	.set _ZL36rocblas_hemvn_kernel_lower_block_sumILi64EidPKPddEviT1_lS3_lT2_lT0_lPT3_i.has_dyn_sized_stack, 0
	.set _ZL36rocblas_hemvn_kernel_lower_block_sumILi64EidPKPddEviT1_lS3_lT2_lT0_lPT3_i.has_recursion, 0
	.set _ZL36rocblas_hemvn_kernel_lower_block_sumILi64EidPKPddEviT1_lS3_lT2_lT0_lPT3_i.has_indirect_call, 0
	.section	.AMDGPU.csdata,"",@progbits
; Kernel info:
; codeLenInByte = 736
; TotalNumSgprs: 32
; NumVgprs: 10
; ScratchSize: 0
; MemoryBound: 0
; FloatMode: 240
; IeeeMode: 1
; LDSByteSize: 0 bytes/workgroup (compile time only)
; SGPRBlocks: 0
; VGPRBlocks: 1
; NumSGPRsForWavesPerEU: 32
; NumVGPRsForWavesPerEU: 10
; Occupancy: 16
; WaveLimiterHint : 1
; COMPUTE_PGM_RSRC2:SCRATCH_EN: 0
; COMPUTE_PGM_RSRC2:USER_SGPR: 2
; COMPUTE_PGM_RSRC2:TRAP_HANDLER: 0
; COMPUTE_PGM_RSRC2:TGID_X_EN: 1
; COMPUTE_PGM_RSRC2:TGID_Y_EN: 0
; COMPUTE_PGM_RSRC2:TGID_Z_EN: 1
; COMPUTE_PGM_RSRC2:TIDIG_COMP_CNT: 0
	.section	.text._ZL26rocblas_hemvn_kernel_upperILb0ELi64ELi4ELi33ELi32ELi16ElPK19rocblas_complex_numIfEPKS3_PS1_EviT6_lT7_lT5_lS8_lS9_lS7_lT8_i,"axG",@progbits,_ZL26rocblas_hemvn_kernel_upperILb0ELi64ELi4ELi33ELi32ELi16ElPK19rocblas_complex_numIfEPKS3_PS1_EviT6_lT7_lT5_lS8_lS9_lS7_lT8_i,comdat
	.globl	_ZL26rocblas_hemvn_kernel_upperILb0ELi64ELi4ELi33ELi32ELi16ElPK19rocblas_complex_numIfEPKS3_PS1_EviT6_lT7_lT5_lS8_lS9_lS7_lT8_i ; -- Begin function _ZL26rocblas_hemvn_kernel_upperILb0ELi64ELi4ELi33ELi32ELi16ElPK19rocblas_complex_numIfEPKS3_PS1_EviT6_lT7_lT5_lS8_lS9_lS7_lT8_i
	.p2align	8
	.type	_ZL26rocblas_hemvn_kernel_upperILb0ELi64ELi4ELi33ELi32ELi16ElPK19rocblas_complex_numIfEPKS3_PS1_EviT6_lT7_lT5_lS8_lS9_lS7_lT8_i,@function
_ZL26rocblas_hemvn_kernel_upperILb0ELi64ELi4ELi33ELi32ELi16ElPK19rocblas_complex_numIfEPKS3_PS1_EviT6_lT7_lT5_lS8_lS9_lS7_lT8_i: ; @_ZL26rocblas_hemvn_kernel_upperILb0ELi64ELi4ELi33ELi32ELi16ElPK19rocblas_complex_numIfEPKS3_PS1_EviT6_lT7_lT5_lS8_lS9_lS7_lT8_i
; %bb.0:
	s_clause 0x1
	s_load_b64 s[2:3], s[0:1], 0x84
	s_load_b32 s33, s[0:1], 0x70
	s_lshr_b32 s34, ttmp7, 16
	s_wait_kmcnt 0x0
	s_lshr_b32 s4, s2, 16
	s_and_b32 s2, s2, 0xffff
	s_and_b32 s3, s3, 0xffff
	s_mul_i32 s2, s4, s2
	s_delay_alu instid0(SALU_CYCLE_1) | instskip(NEXT) | instid1(SALU_CYCLE_1)
	s_mul_i32 s2, s2, s3
	s_cmp_lg_u32 s2, 0x100
	s_cselect_b32 s2, -1, 0
	s_cmp_ge_u32 s34, s33
	s_cselect_b32 s3, -1, 0
	s_delay_alu instid0(SALU_CYCLE_1) | instskip(NEXT) | instid1(SALU_CYCLE_1)
	s_or_b32 s2, s2, s3
	s_and_b32 vcc_lo, exec_lo, s2
	s_cbranch_vccnz .LBB180_156
; %bb.1:
	s_clause 0x1
	s_load_b32 s2, s[0:1], 0x0
	s_load_b64 s[40:41], s[0:1], 0x48
	s_add_nc_u64 s[6:7], s[0:1], 0x78
	s_load_b32 s42, s[6:7], 0x0
	s_clause 0x1
	s_load_b64 s[60:61], s[0:1], 0x28
	s_load_b128 s[28:31], s[0:1], 0x38
	v_and_b32_e32 v100, 0x3ff, v0
	v_bfe_u32 v13, v0, 10, 10
	s_lshl_b32 s18, ttmp9, 6
	v_dual_mov_b32 v56, 0 :: v_dual_and_b32 v3, 31, v0
	s_delay_alu instid0(VALU_DEP_3) | instskip(NEXT) | instid1(VALU_DEP_3)
	v_add_nc_u32_e32 v1, s18, v100
	v_lshl_add_u32 v11, v13, 6, v100
	s_load_b256 s[20:27], s[0:1], 0x8
	s_delay_alu instid0(VALU_DEP_3)
	v_mov_b32_e32 v4, v56
	s_clause 0x1
	s_load_b64 s[6:7], s[0:1], 0x68
	s_load_b128 s[36:39], s[0:1], 0x58
	v_lshrrev_b32_e32 v12, 5, v11
	v_ashrrev_i32_e32 v2, 31, v1
	v_lshlrev_b32_e32 v19, 3, v3
	v_and_b32_e32 v18, 0x7fe0, v11
	s_wait_kmcnt 0x0
	s_ashr_i32 s3, s2, 31
	v_mul_lo_u32 v10, s41, v1
	s_lshr_b32 s0, s3, 26
	v_mad_co_u64_u32 v[7:8], null, s60, v12, v[3:4]
	s_add_co_i32 s0, s2, s0
	s_add_co_i32 s1, s42, -1
	s_and_not1_b32 s0, s0, 63
	v_mul_lo_u32 v9, s40, v2
	s_sub_co_i32 s72, s2, s0
	v_mad_co_u64_u32 v[5:6], null, s40, v1, 0
	s_cmp_eq_u32 ttmp9, s1
	v_dual_mov_b32 v4, v8 :: v_dual_lshlrev_b32 v101, 3, v100
	s_cselect_b32 s44, s72, 0
	v_lshlrev_b32_e32 v16, 2, v12
	v_lshl_or_b32 v17, v3, 8, v19
	s_cmp_lg_u32 s44, 0
	s_mov_b32 s35, 0
	s_cselect_b32 s73, -1, 0
	s_cmp_eq_u32 s44, 0
	v_add3_u32 v6, v6, v9, v10
	v_mad_co_u64_u32 v[8:9], null, s61, v12, v[4:5]
	v_add_nc_u32_e32 v4, 8, v12
	v_add_nc_u32_e32 v103, v17, v18
	v_or_b32_e32 v17, 1, v16
	v_mul_u32_u24_e32 v22, 33, v3
	s_mov_b32 s4, ttmp9
	s_cselect_b32 s1, -1, 0
	s_ashr_i32 s5, ttmp9, 31
	s_mov_b32 s43, s35
	s_mul_u64 s[4:5], s[2:3], s[4:5]
	s_mul_u64 s[46:47], s[42:43], s[2:3]
	v_sub_co_u32 v9, s2, 0, v3
	s_sub_co_i32 s15, s44, 32
	v_sub_co_ci_u32_e64 v10, null, 0, 0, s2
	v_add_nc_u32_e32 v14, 16, v12
	v_cmp_le_i32_e64 s2, s44, v12
	v_mul_u32_u24_e32 v20, 0x108, v12
	v_cmp_le_i32_e64 s3, s44, v4
	v_add_nc_u32_e32 v15, 24, v12
	v_mul_u32_u24_e32 v21, 0x420, v12
	v_or_b32_e32 v23, 2, v16
	v_mul_u32_u24_e32 v24, 0x108, v17
	v_lshlrev_b32_e32 v17, 3, v12
	v_lshlrev_b32_e32 v104, 3, v22
	v_cmp_le_i32_e64 s12, s15, v12
	v_cmp_le_i32_e64 s13, s15, v4
	v_cmp_eq_u32_e64 s16, 1, v12
	v_mul_i32_i24_e32 v107, 0xffffffe8, v12
	v_lshrrev_b32_e32 v4, 4, v11
	v_and_b32_e32 v12, 15, v0
	v_lshlrev_b32_e32 v22, 5, v13
	v_and_b32_e32 v0, 48, v0
	v_cmp_gt_i32_e32 vcc_lo, s44, v100
	s_lshl_b64 s[4:5], s[4:5], 3
	v_cmp_gt_u32_e64 s8, v23, v3
	s_add_nc_u64 s[48:49], s[6:7], s[4:5]
	v_cmp_le_i32_e64 s4, s44, v14
	v_cmp_le_i32_e64 s5, s44, v15
	;; [unrolled: 1-line block ×4, first 2 shown]
	v_lshlrev_b32_e32 v14, 5, v4
	v_lshlrev_b32_e32 v0, 3, v0
	v_or_b32_e32 v15, 0x78, v101
	v_mul_i32_i24_e32 v23, 0xffffffe8, v4
	v_add_nc_u32_e32 v4, 0x110, v22
	s_or_b32 s58, s1, vcc_lo
	s_add_co_i32 s17, ttmp9, 1
	s_xor_b32 s74, s58, -1
	s_ashr_i32 s19, s18, 31
	s_ashr_i32 s45, s44, 31
	s_lshl_b64 s[50:51], s[60:61], 6
	s_lshl_b64 s[52:53], s[60:61], 7
	;; [unrolled: 1-line block ×3, first 2 shown]
	v_cmp_gt_u32_e64 s10, 32, v11
	s_cmp_lt_u32 s17, s42
	v_mad_u32_u24 v112, 0x218, v12, v14
	v_cmp_gt_u32_e64 s17, 64, v11
	v_mad_u32_u24 v113, 0x218, v12, v0
	v_mad_u32_u24 v114, 0x218, v12, v15
	v_mad_co_u64_u32 v[11:12], null, s60, v4, 0
	v_cmp_gt_u32_e64 s6, v16, v3
	v_cmp_ge_u32_e64 s7, v16, v3
	v_or_b32_e32 v16, 3, v16
	v_add_nc_u32_e32 v105, 0x2380, v18
	v_add_nc_u32_e32 v18, 0x108, v22
	v_cmp_eq_u32_e64 s0, 0, v13
	v_mov_b32_e32 v0, v12
	v_cmp_gt_u32_e64 s9, v16, v3
	v_or_b32_e32 v16, 32, v3
	v_lshlrev_b32_e32 v108, 2, v13
	v_mad_u32_u24 v111, 0x860, v13, v101
	v_mad_u32_u24 v130, 0x218, v13, v101
	v_mad_co_u64_u32 v[13:14], null, s60, v18, 0
	v_cmp_gt_i32_e64 s11, s44, v16
	v_mad_co_u64_u32 v[15:16], null, s61, v4, v[0:1]
	v_lshlrev_b64_e32 v[58:59], 3, v[7:8]
	v_add_nc_u32_e32 v16, 0x118, v22
	v_dual_mov_b32 v0, v14 :: v_dual_add_nc_u32 v25, 0x198, v22
	v_add_nc_u32_e32 v27, 0x288, v22
	v_add_nc_u32_e32 v26, 0x290, v22
	v_sub_co_u32 v132, vcc_lo, v11, v58
	s_delay_alu instid0(VALU_DEP_1)
	v_sub_co_ci_u32_e64 v133, null, v15, v59, vcc_lo
	v_mad_co_u64_u32 v[14:15], null, s60, v16, 0
	v_mad_co_u64_u32 v[11:12], null, s61, v18, v[0:1]
	v_add_nc_u32_e32 v18, 0x190, v22
	v_sub_co_u32 v134, vcc_lo, v13, v58
	s_wait_alu 0xfffe
	s_mul_u64 s[56:57], s[40:41], s[18:19]
	s_delay_alu instid0(VALU_DEP_4)
	v_mov_b32_e32 v4, v15
	v_add_nc_u32_e32 v106, v104, v17
	v_add_nc_u32_e32 v131, 0x2380, v17
	;; [unrolled: 1-line block ×3, first 2 shown]
	s_wait_alu 0xfffd
	v_sub_co_ci_u32_e64 v135, null, v11, v59, vcc_lo
	v_mad_co_u64_u32 v[15:16], null, s61, v16, v[4:5]
	s_delay_alu instid0(VALU_DEP_3)
	v_mad_co_u64_u32 v[7:8], null, s60, v17, 0
	v_add_nc_u32_e32 v4, 0x188, v22
	v_lshlrev_b64_e32 v[60:61], 3, v[5:6]
	v_lshlrev_b64_e32 v[62:63], 3, v[1:2]
	;; [unrolled: 1-line block ×3, first 2 shown]
	v_add_nc_u32_e32 v102, 0x2380, v101
	v_cmp_gt_i32_e64 s1, s44, v3
	v_mov_b32_e32 v0, v8
	v_sub_co_u32 v136, vcc_lo, v7, v58
	v_mad_co_u64_u32 v[7:8], null, s60, v4, 0
	s_delay_alu instid0(VALU_DEP_3)
	v_mad_co_u64_u32 v[11:12], null, s61, v17, v[0:1]
	v_mad_co_u64_u32 v[12:13], null, s60, v18, 0
	v_add_nc_u32_e32 v109, 0x2180, v101
	v_add_nc_u32_e32 v110, 0x2180, v22
	v_or_b32_e32 v115, 1, v108
	v_or_b32_e32 v116, 2, v108
	s_wait_alu 0xfffd
	v_sub_co_ci_u32_e64 v137, null, v11, v59, vcc_lo
	v_dual_mov_b32 v0, v13 :: v_dual_add_nc_u32 v11, 0x180, v22
	v_sub_co_u32 v138, vcc_lo, v14, v58
	s_wait_alu 0xfffd
	v_sub_co_ci_u32_e64 v139, null, v15, v59, vcc_lo
	s_delay_alu instid0(VALU_DEP_3) | instskip(SKIP_4) | instid1(VALU_DEP_4)
	v_mad_co_u64_u32 v[13:14], null, s61, v18, v[0:1]
	v_mov_b32_e32 v0, v8
	v_mad_co_u64_u32 v[14:15], null, s60, v11, 0
	v_add_nc_u32_e32 v119, 17, v108
	v_sub_co_u32 v140, vcc_lo, v12, v58
	v_mad_co_u64_u32 v[16:17], null, s61, v4, v[0:1]
	v_mad_co_u64_u32 v[17:18], null, s60, v25, 0
	v_dual_mov_b32 v0, v15 :: v_dual_add_nc_u32 v121, 19, v108
	s_wait_alu 0xfffd
	v_sub_co_ci_u32_e64 v141, null, v13, v59, vcc_lo
	v_add_nc_u32_e32 v13, 0x210, v22
	v_sub_co_u32 v142, vcc_lo, v7, v58
	v_mov_b32_e32 v4, v18
	v_mad_co_u64_u32 v[7:8], null, s61, v11, v[0:1]
	s_wait_alu 0xfffd
	v_sub_co_ci_u32_e64 v143, null, v16, v59, vcc_lo
	v_mad_co_u64_u32 v[11:12], null, s60, v13, 0
	v_mad_co_u64_u32 v[15:16], null, s61, v25, v[4:5]
	v_add_nc_u32_e32 v4, 0x208, v22
	v_sub_co_u32 v144, vcc_lo, v14, v58
	s_wait_alu 0xfffd
	v_sub_co_ci_u32_e64 v145, null, v7, v59, vcc_lo
	s_delay_alu instid0(VALU_DEP_3)
	v_mad_co_u64_u32 v[7:8], null, s60, v4, 0
	v_dual_mov_b32 v0, v12 :: v_dual_add_nc_u32 v123, 33, v108
	v_add_nc_u32_e32 v18, 0x200, v22
	v_add_nc_u32_e32 v125, 35, v108
	;; [unrolled: 1-line block ×3, first 2 shown]
	v_sub_co_u32 v146, vcc_lo, v17, v58
	v_mad_co_u64_u32 v[12:13], null, s61, v13, v[0:1]
	v_mov_b32_e32 v0, v8
	v_mad_co_u64_u32 v[13:14], null, s60, v18, 0
	s_wait_alu 0xfffd
	v_sub_co_ci_u32_e64 v147, null, v15, v59, vcc_lo
	s_delay_alu instid0(VALU_DEP_3) | instskip(SKIP_1) | instid1(VALU_DEP_4)
	v_mad_co_u64_u32 v[15:16], null, s61, v4, v[0:1]
	v_mad_co_u64_u32 v[16:17], null, s60, v25, 0
	v_dual_mov_b32 v0, v14 :: v_dual_add_nc_u32 v127, 49, v108
	v_add_nc_u32_e32 v129, 51, v108
	v_sub_co_u32 v148, vcc_lo, v11, v58
	s_wait_alu 0xfffd
	v_sub_co_ci_u32_e64 v149, null, v12, v59, vcc_lo
	v_mov_b32_e32 v4, v17
	v_sub_co_u32 v150, vcc_lo, v7, v58
	v_mad_co_u64_u32 v[7:8], null, s61, v18, v[0:1]
	v_mad_co_u64_u32 v[17:18], null, s60, v27, 0
	s_wait_alu 0xfffd
	v_sub_co_ci_u32_e64 v151, null, v15, v59, vcc_lo
	v_mad_co_u64_u32 v[11:12], null, s61, v25, v[4:5]
	v_mad_co_u64_u32 v[14:15], null, s60, v26, 0
	v_add_nc_u32_e32 v25, 0x280, v22
	v_sub_co_u32 v152, vcc_lo, v13, v58
	s_wait_alu 0xfffd
	v_sub_co_ci_u32_e64 v153, null, v7, v59, vcc_lo
	v_mov_b32_e32 v4, v18
	v_mad_co_u64_u32 v[7:8], null, s60, v25, 0
	v_add_nc_u32_e32 v18, 0x298, v22
	v_mov_b32_e32 v0, v15
	v_sub_co_u32 v154, vcc_lo, v16, v58
	s_wait_alu 0xfffd
	v_sub_co_ci_u32_e64 v155, null, v11, v59, vcc_lo
	v_mad_co_u64_u32 v[15:16], null, s60, v18, 0
	v_mad_co_u64_u32 v[11:12], null, s61, v26, v[0:1]
	v_mov_b32_e32 v0, v8
	v_mad_co_u64_u32 v[12:13], null, s61, v27, v[4:5]
	v_sub_co_u32 v156, vcc_lo, v14, v58
	s_delay_alu instid0(VALU_DEP_3)
	v_mad_co_u64_u32 v[13:14], null, s61, v25, v[0:1]
	v_mov_b32_e32 v0, v16
	s_wait_alu 0xfffd
	v_sub_co_ci_u32_e64 v157, null, v11, v59, vcc_lo
	v_sub_co_u32 v158, vcc_lo, v17, v58
	s_wait_alu 0xfffd
	v_sub_co_ci_u32_e64 v159, null, v12, v59, vcc_lo
	v_mad_co_u64_u32 v[11:12], null, s61, v18, v[0:1]
	v_sub_co_u32 v160, vcc_lo, v7, v58
	s_wait_alu 0xfffd
	v_sub_co_ci_u32_e64 v161, null, v13, v59, vcc_lo
	v_sub_co_u32 v162, vcc_lo, v15, v58
	v_or_b32_e32 v117, 3, v108
	v_add_nc_u32_e32 v118, 16, v108
	v_add_nc_u32_e32 v120, 18, v108
	;; [unrolled: 1-line block ×6, first 2 shown]
	s_wait_alu 0xfffd
	v_sub_co_ci_u32_e64 v163, null, v11, v59, vcc_lo
	v_add_nc_u32_e32 v164, v112, v23
	v_add_nc_u32_e32 v165, v19, v20
	v_lshlrev_b32_e32 v166, 3, v3
	v_add_nc_u32_e32 v167, v19, v21
	v_add_nc_u32_e32 v168, v19, v24
	s_mul_u64 s[62:63], s[60:61], s[18:19]
	s_sub_nc_u64 s[66:67], 0, s[56:57]
	s_mul_u64 s[54:55], s[60:61], 0xc0
	s_cselect_b32 s43, -1, 0
	s_add_co_i32 s75, s42, -2
	s_and_b32 s76, s0, s58
	s_sub_nc_u64 s[56:57], 0, s[44:45]
	s_add_co_i32 s77, s18, 64
	s_lshl_b64 s[58:59], s[60:61], 9
	s_lshl_b64 s[30:31], s[30:31], 3
	;; [unrolled: 1-line block ×7, first 2 shown]
	s_branch .LBB180_4
.LBB180_2:                              ;   in Loop: Header=BB180_4 Depth=1
	s_wait_alu 0xfffe
	s_or_b32 exec_lo, exec_lo, s18
.LBB180_3:                              ;   in Loop: Header=BB180_4 Depth=1
	s_add_co_i32 s34, s34, 0x10000
	s_delay_alu instid0(SALU_CYCLE_1)
	s_cmp_lt_u32 s34, s33
	s_cbranch_scc0 .LBB180_156
.LBB180_4:                              ; =>This Loop Header: Depth=1
                                        ;     Child Loop BB180_78 Depth 2
	s_mul_u64 s[18:19], s[22:23], s[34:35]
	s_wait_alu 0xfffe
	s_lshl_b64 s[18:19], s[18:19], 3
	s_wait_alu 0xfffe
	s_add_nc_u64 s[18:19], s[20:21], s[18:19]
	global_load_b64 v[0:1], v56, s[18:19]
	s_mov_b32 s18, -1
	s_wait_loadcnt 0x0
	v_or_b32_e32 v0, v0, v1
	s_delay_alu instid0(VALU_DEP_1) | instskip(NEXT) | instid1(VALU_DEP_1)
	v_and_b32_e32 v0, 0x7fffffff, v0
	v_cmp_ne_u32_e32 vcc_lo, 0, v0
	s_cbranch_vccz .LBB180_6
; %bb.5:                                ;   in Loop: Header=BB180_4 Depth=1
	s_wait_alu 0xfffe
	s_and_not1_b32 vcc_lo, exec_lo, s18
	s_wait_alu 0xfffe
	s_cbranch_vccnz .LBB180_3
	s_branch .LBB180_7
.LBB180_6:                              ;   in Loop: Header=BB180_4 Depth=1
	s_mul_u64 s[18:19], s[38:39], s[34:35]
	s_wait_alu 0xfffe
	s_lshl_b64 s[18:19], s[18:19], 3
	s_wait_alu 0xfffe
	s_add_nc_u64 s[18:19], s[36:37], s[18:19]
	global_load_b64 v[0:1], v56, s[18:19]
	s_wait_loadcnt 0x0
	v_cmp_eq_f32_e32 vcc_lo, 1.0, v0
	v_cmp_eq_f32_e64 s18, 0, v1
	s_wait_alu 0xfffe
	s_and_b32 s18, vcc_lo, s18
	s_wait_alu 0xfffe
	s_and_not1_b32 vcc_lo, exec_lo, s18
	s_cbranch_execnz .LBB180_3
.LBB180_7:                              ;   in Loop: Header=BB180_4 Depth=1
	s_lshl_b64 s[18:19], s[34:35], 3
	s_wait_alu 0xfffe
	s_add_nc_u64 s[68:69], s[28:29], s[18:19]
	s_add_nc_u64 s[18:19], s[24:25], s[18:19]
	s_clause 0x1
	global_load_b64 v[2:3], v56, s[68:69]
	global_load_b64 v[0:1], v56, s[18:19]
	s_wait_loadcnt 0x1
	v_add_co_u32 v2, vcc_lo, v2, s30
	s_wait_alu 0xfffd
	v_add_co_ci_u32_e64 v3, null, s31, v3, vcc_lo
	s_delay_alu instid0(VALU_DEP_2) | instskip(SKIP_1) | instid1(VALU_DEP_2)
	v_add_co_u32 v12, vcc_lo, v2, v60
	s_wait_alu 0xfffd
	v_add_co_ci_u32_e64 v13, null, v3, v61, vcc_lo
	s_and_saveexec_b32 s18, s0
	s_cbranch_execz .LBB180_12
; %bb.8:                                ;   in Loop: Header=BB180_4 Depth=1
	s_and_saveexec_b32 s19, s74
	s_wait_alu 0xfffe
	s_xor_b32 s19, exec_lo, s19
; %bb.9:                                ;   in Loop: Header=BB180_4 Depth=1
	v_mov_b32_e32 v57, v56
	ds_store_b64 v102, v[56:57]
; %bb.10:                               ;   in Loop: Header=BB180_4 Depth=1
	s_wait_alu 0xfffe
	s_and_not1_saveexec_b32 s19, s19
	s_cbranch_execz .LBB180_12
; %bb.11:                               ;   in Loop: Header=BB180_4 Depth=1
	flat_load_b64 v[2:3], v[12:13]
	s_wait_loadcnt_dscnt 0x0
	ds_store_b64 v102, v[2:3]
.LBB180_12:                             ;   in Loop: Header=BB180_4 Depth=1
	s_wait_alu 0xfffe
	s_or_b32 exec_lo, exec_lo, s18
	s_wait_loadcnt 0x0
	v_add_co_u32 v0, vcc_lo, v0, s26
	s_wait_alu 0xfffd
	v_add_co_ci_u32_e64 v1, null, s27, v1, vcc_lo
	s_mov_b32 s18, -1
	v_add_co_u32 v0, vcc_lo, v0, s60
	s_wait_alu 0xfffd
	v_add_co_ci_u32_e64 v1, null, s61, v1, vcc_lo
	s_delay_alu instid0(VALU_DEP_2) | instskip(SKIP_1) | instid1(VALU_DEP_2)
	v_add_co_u32 v0, vcc_lo, v0, v58
	s_wait_alu 0xfffd
	v_add_co_ci_u32_e64 v1, null, v1, v59, vcc_lo
	s_delay_alu instid0(VALU_DEP_2) | instskip(SKIP_1) | instid1(VALU_DEP_2)
	v_add_co_u32 v2, vcc_lo, v0, s62
	s_wait_alu 0xfffd
	v_add_co_ci_u32_e64 v3, null, s63, v1, vcc_lo
	s_and_b32 vcc_lo, exec_lo, s73
                                        ; implicit-def: $vgpr0_vgpr1
	s_wait_alu 0xfffe
	s_cbranch_vccz .LBB180_24
; %bb.13:                               ;   in Loop: Header=BB180_4 Depth=1
	s_and_saveexec_b32 s18, s2
	s_wait_alu 0xfffe
	s_xor_b32 s18, exec_lo, s18
; %bb.14:                               ;   in Loop: Header=BB180_4 Depth=1
	v_mov_b32_e32 v57, v56
	ds_store_b64 v165, v[56:57]
; %bb.15:                               ;   in Loop: Header=BB180_4 Depth=1
	s_wait_alu 0xfffe
	s_or_saveexec_b32 s18, s18
	v_add_co_u32 v0, vcc_lo, v2, v64
	s_wait_alu 0xfffd
	v_add_co_ci_u32_e64 v1, null, v3, v65, vcc_lo
	s_lshl_b64 s[68:69], s[44:45], 3
	s_wait_alu 0xfffe
	v_add_co_u32 v0, vcc_lo, v0, s68
	s_wait_alu 0xfffd
	v_add_co_ci_u32_e64 v1, null, s69, v1, vcc_lo
	s_delay_alu instid0(VALU_DEP_2) | instskip(SKIP_1) | instid1(VALU_DEP_2)
	v_add_co_u32 v0, vcc_lo, v0, -8
	s_wait_alu 0xfffd
	v_add_co_ci_u32_e64 v1, null, -1, v1, vcc_lo
	s_delay_alu instid0(VALU_DEP_2) | instskip(NEXT) | instid1(VALU_DEP_2)
	v_cndmask_b32_e64 v0, v0, v2, s1
	v_cndmask_b32_e64 v1, v1, v3, s1
	s_xor_b32 exec_lo, exec_lo, s18
	s_cbranch_execnz .LBB180_138
; %bb.16:                               ;   in Loop: Header=BB180_4 Depth=1
	s_or_b32 exec_lo, exec_lo, s18
	s_and_saveexec_b32 s18, s3
	s_wait_alu 0xfffe
	s_xor_b32 s18, exec_lo, s18
	s_cbranch_execnz .LBB180_139
.LBB180_17:                             ;   in Loop: Header=BB180_4 Depth=1
	s_wait_alu 0xfffe
	s_and_not1_saveexec_b32 s18, s18
	s_cbranch_execnz .LBB180_140
.LBB180_18:                             ;   in Loop: Header=BB180_4 Depth=1
	s_wait_alu 0xfffe
	s_or_b32 exec_lo, exec_lo, s18
	s_and_saveexec_b32 s18, s4
	s_wait_alu 0xfffe
	s_xor_b32 s18, exec_lo, s18
	s_cbranch_execnz .LBB180_141
.LBB180_19:                             ;   in Loop: Header=BB180_4 Depth=1
	s_wait_alu 0xfffe
	s_and_not1_saveexec_b32 s18, s18
	s_cbranch_execnz .LBB180_142
.LBB180_20:                             ;   in Loop: Header=BB180_4 Depth=1
	s_wait_alu 0xfffe
	s_or_b32 exec_lo, exec_lo, s18
	s_and_saveexec_b32 s18, s5
	s_wait_alu 0xfffe
	s_xor_b32 s18, exec_lo, s18
	s_cbranch_execnz .LBB180_143
.LBB180_21:                             ;   in Loop: Header=BB180_4 Depth=1
	s_wait_alu 0xfffe
	s_and_not1_saveexec_b32 s18, s18
	s_cbranch_execz .LBB180_23
.LBB180_22:                             ;   in Loop: Header=BB180_4 Depth=1
	v_add_co_u32 v4, vcc_lo, v0, s54
	s_wait_alu 0xfffd
	v_add_co_ci_u32_e64 v5, null, s55, v1, vcc_lo
	flat_load_b64 v[4:5], v[4:5]
	s_wait_loadcnt_dscnt 0x0
	ds_store_b64 v165, v[4:5] offset:6336
.LBB180_23:                             ;   in Loop: Header=BB180_4 Depth=1
	s_wait_alu 0xfffe
	s_or_b32 exec_lo, exec_lo, s18
	v_add_co_u32 v0, vcc_lo, v0, v166
	s_wait_alu 0xfffd
	v_add_co_ci_u32_e64 v1, null, 0, v1, vcc_lo
	s_lshl_b64 s[18:19], s[56:57], 3
	s_wait_alu 0xfffe
	v_add_co_u32 v0, vcc_lo, v0, s18
	s_wait_alu 0xfffd
	v_add_co_ci_u32_e64 v1, null, s19, v1, vcc_lo
	s_mov_b32 s18, 0
	v_add_co_u32 v0, vcc_lo, v0, 8
	s_wait_alu 0xfffd
	v_add_co_ci_u32_e64 v1, null, 0, v1, vcc_lo
	s_delay_alu instid0(VALU_DEP_2) | instskip(NEXT) | instid1(VALU_DEP_2)
	v_cndmask_b32_e64 v0, v0, v2, s1
	v_cndmask_b32_e64 v1, v1, v3, s1
.LBB180_24:                             ;   in Loop: Header=BB180_4 Depth=1
	s_wait_alu 0xfffe
	s_and_b32 vcc_lo, exec_lo, s18
	s_wait_alu 0xfffe
	s_cbranch_vccz .LBB180_26
; %bb.25:                               ;   in Loop: Header=BB180_4 Depth=1
	v_add_co_u32 v0, vcc_lo, v2, s50
	s_wait_alu 0xfffd
	v_add_co_ci_u32_e64 v1, null, s51, v3, vcc_lo
	s_delay_alu instid0(VALU_DEP_2) | instskip(SKIP_1) | instid1(VALU_DEP_2)
	v_add_co_u32 v4, vcc_lo, v0, s50
	s_wait_alu 0xfffd
	v_add_co_ci_u32_e64 v5, null, s51, v1, vcc_lo
	s_delay_alu instid0(VALU_DEP_2) | instskip(SKIP_1) | instid1(VALU_DEP_2)
	v_add_co_u32 v6, vcc_lo, v4, s50
	s_wait_alu 0xfffd
	v_add_co_ci_u32_e64 v7, null, s51, v5, vcc_lo
	s_clause 0x3
	flat_load_b64 v[8:9], v[2:3]
	flat_load_b64 v[10:11], v[0:1]
	;; [unrolled: 1-line block ×4, first 2 shown]
	v_dual_mov_b32 v0, v2 :: v_dual_mov_b32 v1, v3
	s_wait_loadcnt_dscnt 0x303
	ds_store_b64 v165, v[8:9]
	s_wait_loadcnt_dscnt 0x203
	ds_store_b64 v165, v[10:11] offset:2112
	s_wait_loadcnt_dscnt 0x103
	ds_store_b64 v165, v[4:5] offset:4224
	;; [unrolled: 2-line block ×3, first 2 shown]
.LBB180_26:                             ;   in Loop: Header=BB180_4 Depth=1
	s_wait_dscnt 0x0
	s_barrier_signal -1
	s_barrier_wait -1
	global_inv scope:SCOPE_SE
	s_and_saveexec_b32 s18, s6
	s_cbranch_execnz .LBB180_132
; %bb.27:                               ;   in Loop: Header=BB180_4 Depth=1
	s_wait_alu 0xfffe
	s_or_b32 exec_lo, exec_lo, s18
	s_and_saveexec_b32 s18, s7
	s_cbranch_execnz .LBB180_133
.LBB180_28:                             ;   in Loop: Header=BB180_4 Depth=1
	s_wait_alu 0xfffe
	s_or_b32 exec_lo, exec_lo, s18
	s_and_saveexec_b32 s18, s8
	s_cbranch_execnz .LBB180_134
.LBB180_29:                             ;   in Loop: Header=BB180_4 Depth=1
	s_wait_alu 0xfffe
	s_or_b32 exec_lo, exec_lo, s18
	s_and_saveexec_b32 s18, s9
	s_cbranch_execz .LBB180_31
.LBB180_30:                             ;   in Loop: Header=BB180_4 Depth=1
	ds_load_b64 v[2:3], v168 offset:528
	s_wait_dscnt 0x0
	ds_store_b64 v103, v[2:3] offset:24
.LBB180_31:                             ;   in Loop: Header=BB180_4 Depth=1
	s_wait_alu 0xfffe
	s_or_b32 exec_lo, exec_lo, s18
	s_wait_loadcnt_dscnt 0x0
	s_barrier_signal -1
	s_barrier_wait -1
	global_inv scope:SCOPE_SE
	ds_load_b64 v[10:11], v167
	ds_load_b128 v[2:5], v105
	ds_load_2addr_b64 v[6:9], v168 offset1:33
	ds_load_b128 v[14:17], v105 offset:16
	ds_load_b64 v[18:19], v168 offset:528
	s_wait_loadcnt_dscnt 0x0
	s_barrier_signal -1
	s_barrier_wait -1
	global_inv scope:SCOPE_SE
	v_dual_mov_b32 v67, 0 :: v_dual_mul_f32 v20, v3, v11
	v_dual_mul_f32 v11, v2, v11 :: v_dual_mul_f32 v22, v15, v9
	v_mul_f32_e32 v9, v14, v9
	s_delay_alu instid0(VALU_DEP_3) | instskip(SKIP_1) | instid1(VALU_DEP_4)
	v_fma_f32 v2, v2, v10, -v20
	v_mul_f32_e32 v21, v5, v7
	v_fmac_f32_e32 v11, v3, v10
	s_delay_alu instid0(VALU_DEP_4) | instskip(SKIP_3) | instid1(VALU_DEP_1)
	v_fmac_f32_e32 v9, v15, v8
	v_fma_f32 v10, v14, v8, -v22
	v_dual_add_f32 v2, 0, v2 :: v_dual_mul_f32 v7, v4, v7
	v_fma_f32 v4, v4, v6, -v21
	v_dual_add_f32 v2, v2, v4 :: v_dual_fmac_f32 v7, v5, v6
	v_mul_f32_e32 v6, v16, v19
	v_add_f32_e32 v5, 0, v11
	s_delay_alu instid0(VALU_DEP_3) | instskip(NEXT) | instid1(VALU_DEP_3)
	v_dual_mul_f32 v3, v17, v19 :: v_dual_add_f32 v2, v2, v10
	v_fmac_f32_e32 v6, v17, v18
	s_delay_alu instid0(VALU_DEP_3) | instskip(NEXT) | instid1(VALU_DEP_3)
	v_add_f32_e32 v4, v5, v7
	v_fma_f32 v3, v16, v18, -v3
	s_delay_alu instid0(VALU_DEP_2) | instskip(SKIP_1) | instid1(VALU_DEP_2)
	v_add_f32_e32 v4, v4, v9
	v_mov_b32_e32 v66, 0
	v_dual_add_f32 v2, v2, v3 :: v_dual_add_f32 v3, v4, v6
	ds_store_b64 v106, v[2:3]
	s_wait_loadcnt_dscnt 0x0
	s_barrier_signal -1
	s_barrier_wait -1
	global_inv scope:SCOPE_SE
	s_and_saveexec_b32 s18, s10
	s_cbranch_execz .LBB180_33
; %bb.32:                               ;   in Loop: Header=BB180_4 Depth=1
	ds_load_2addr_b64 v[2:5], v104 offset1:7
	ds_load_2addr_b64 v[6:9], v104 offset0:1 offset1:2
	ds_load_2addr_b64 v[14:17], v104 offset0:3 offset1:4
	;; [unrolled: 1-line block ×3, first 2 shown]
	s_wait_dscnt 0x2
	v_dual_add_f32 v2, v6, v2 :: v_dual_add_f32 v3, v7, v3
	s_delay_alu instid0(VALU_DEP_1) | instskip(SKIP_1) | instid1(VALU_DEP_1)
	v_dual_add_f32 v2, v8, v2 :: v_dual_add_f32 v3, v9, v3
	s_wait_dscnt 0x1
	v_dual_add_f32 v2, v2, v14 :: v_dual_add_f32 v3, v3, v15
	s_delay_alu instid0(VALU_DEP_1) | instskip(SKIP_1) | instid1(VALU_DEP_1)
	v_dual_add_f32 v2, v2, v16 :: v_dual_add_f32 v3, v3, v17
	s_wait_dscnt 0x0
	v_dual_add_f32 v2, v2, v18 :: v_dual_add_f32 v3, v3, v19
	s_delay_alu instid0(VALU_DEP_1) | instskip(NEXT) | instid1(VALU_DEP_1)
	v_dual_add_f32 v2, v2, v20 :: v_dual_add_f32 v3, v3, v21
	v_dual_add_f32 v66, v2, v4 :: v_dual_add_f32 v67, v3, v5
.LBB180_33:                             ;   in Loop: Header=BB180_4 Depth=1
	s_wait_alu 0xfffe
	s_or_b32 exec_lo, exec_lo, s18
	v_add_co_u32 v4, vcc_lo, v0, s64
	s_wait_alu 0xfffd
	v_add_co_ci_u32_e64 v5, null, s65, v1, vcc_lo
	s_mov_b32 s18, -1
	v_add_co_u32 v2, vcc_lo, 0x100, v4
	s_wait_alu 0xfffd
	v_add_co_ci_u32_e64 v3, null, 0, v5, vcc_lo
	s_and_b32 vcc_lo, exec_lo, s73
	s_wait_loadcnt 0x0
	s_barrier_signal -1
	s_barrier_wait -1
	global_inv scope:SCOPE_SE
                                        ; implicit-def: $vgpr0_vgpr1
	s_wait_alu 0xfffe
	s_cbranch_vccz .LBB180_45
; %bb.34:                               ;   in Loop: Header=BB180_4 Depth=1
	s_and_saveexec_b32 s18, s12
	s_wait_alu 0xfffe
	s_xor_b32 s18, exec_lo, s18
; %bb.35:                               ;   in Loop: Header=BB180_4 Depth=1
	v_mov_b32_e32 v57, v56
	ds_store_b64 v165, v[56:57]
; %bb.36:                               ;   in Loop: Header=BB180_4 Depth=1
	s_wait_alu 0xfffe
	s_or_saveexec_b32 s18, s18
	v_add_co_u32 v0, vcc_lo, v4, v64
	s_wait_alu 0xfffd
	v_add_co_ci_u32_e64 v1, null, v5, v65, vcc_lo
	s_lshl_b64 s[68:69], s[44:45], 3
	s_wait_alu 0xfffe
	v_add_co_u32 v0, vcc_lo, v0, s68
	s_wait_alu 0xfffd
	v_add_co_ci_u32_e64 v1, null, s69, v1, vcc_lo
	s_delay_alu instid0(VALU_DEP_2) | instskip(SKIP_1) | instid1(VALU_DEP_2)
	v_add_co_u32 v0, vcc_lo, v0, -8
	s_wait_alu 0xfffd
	v_add_co_ci_u32_e64 v1, null, -1, v1, vcc_lo
	s_delay_alu instid0(VALU_DEP_2) | instskip(NEXT) | instid1(VALU_DEP_2)
	v_cndmask_b32_e64 v0, v0, v2, s11
	v_cndmask_b32_e64 v1, v1, v3, s11
	s_xor_b32 exec_lo, exec_lo, s18
	s_cbranch_execnz .LBB180_144
; %bb.37:                               ;   in Loop: Header=BB180_4 Depth=1
	s_or_b32 exec_lo, exec_lo, s18
	s_and_saveexec_b32 s18, s13
	s_wait_alu 0xfffe
	s_xor_b32 s18, exec_lo, s18
	s_cbranch_execnz .LBB180_145
.LBB180_38:                             ;   in Loop: Header=BB180_4 Depth=1
	s_wait_alu 0xfffe
	s_and_not1_saveexec_b32 s18, s18
	s_cbranch_execnz .LBB180_146
.LBB180_39:                             ;   in Loop: Header=BB180_4 Depth=1
	s_wait_alu 0xfffe
	s_or_b32 exec_lo, exec_lo, s18
	s_and_saveexec_b32 s18, s14
	s_wait_alu 0xfffe
	s_xor_b32 s18, exec_lo, s18
	s_cbranch_execnz .LBB180_147
.LBB180_40:                             ;   in Loop: Header=BB180_4 Depth=1
	s_wait_alu 0xfffe
	s_and_not1_saveexec_b32 s18, s18
	s_cbranch_execnz .LBB180_148
.LBB180_41:                             ;   in Loop: Header=BB180_4 Depth=1
	s_wait_alu 0xfffe
	s_or_b32 exec_lo, exec_lo, s18
	s_and_saveexec_b32 s18, s15
	s_wait_alu 0xfffe
	s_xor_b32 s18, exec_lo, s18
	s_cbranch_execnz .LBB180_149
.LBB180_42:                             ;   in Loop: Header=BB180_4 Depth=1
	s_wait_alu 0xfffe
	s_and_not1_saveexec_b32 s18, s18
	s_cbranch_execz .LBB180_44
.LBB180_43:                             ;   in Loop: Header=BB180_4 Depth=1
	v_add_co_u32 v6, vcc_lo, v0, s54
	s_wait_alu 0xfffd
	v_add_co_ci_u32_e64 v7, null, s55, v1, vcc_lo
	flat_load_b64 v[6:7], v[6:7]
	s_wait_loadcnt_dscnt 0x0
	ds_store_b64 v165, v[6:7] offset:6336
.LBB180_44:                             ;   in Loop: Header=BB180_4 Depth=1
	s_wait_alu 0xfffe
	s_or_b32 exec_lo, exec_lo, s18
	v_add_co_u32 v0, vcc_lo, v0, v166
	s_wait_alu 0xfffd
	v_add_co_ci_u32_e64 v1, null, 0, v1, vcc_lo
	s_lshl_b64 s[18:19], s[56:57], 3
	s_wait_alu 0xfffe
	v_add_co_u32 v0, vcc_lo, v0, s18
	s_wait_alu 0xfffd
	v_add_co_ci_u32_e64 v1, null, s19, v1, vcc_lo
	s_mov_b32 s18, 0
	v_add_co_u32 v0, vcc_lo, 0x108, v0
	s_wait_alu 0xfffd
	v_add_co_ci_u32_e64 v1, null, 0, v1, vcc_lo
	s_delay_alu instid0(VALU_DEP_2) | instskip(NEXT) | instid1(VALU_DEP_2)
	v_cndmask_b32_e64 v0, v0, v2, s11
	v_cndmask_b32_e64 v1, v1, v3, s11
.LBB180_45:                             ;   in Loop: Header=BB180_4 Depth=1
	s_wait_alu 0xfffe
	s_and_b32 vcc_lo, exec_lo, s18
	s_wait_alu 0xfffe
	s_cbranch_vccz .LBB180_47
; %bb.46:                               ;   in Loop: Header=BB180_4 Depth=1
	v_add_co_u32 v0, vcc_lo, v4, s50
	s_wait_alu 0xfffd
	v_add_co_ci_u32_e64 v1, null, s51, v5, vcc_lo
	s_delay_alu instid0(VALU_DEP_2) | instskip(SKIP_1) | instid1(VALU_DEP_2)
	v_add_co_u32 v6, vcc_lo, v0, s50
	s_wait_alu 0xfffd
	v_add_co_ci_u32_e64 v7, null, s51, v1, vcc_lo
	s_delay_alu instid0(VALU_DEP_2) | instskip(SKIP_1) | instid1(VALU_DEP_2)
	v_add_co_u32 v8, vcc_lo, v6, s50
	s_wait_alu 0xfffd
	v_add_co_ci_u32_e64 v9, null, s51, v7, vcc_lo
	s_clause 0x3
	flat_load_b64 v[4:5], v[4:5] offset:256
	flat_load_b64 v[10:11], v[0:1] offset:256
	flat_load_b64 v[6:7], v[6:7] offset:256
	flat_load_b64 v[8:9], v[8:9] offset:256
	v_dual_mov_b32 v0, v2 :: v_dual_mov_b32 v1, v3
	s_wait_loadcnt_dscnt 0x303
	ds_store_b64 v165, v[4:5]
	s_wait_loadcnt_dscnt 0x203
	ds_store_b64 v165, v[10:11] offset:2112
	s_wait_loadcnt_dscnt 0x103
	ds_store_b64 v165, v[6:7] offset:4224
	;; [unrolled: 2-line block ×3, first 2 shown]
.LBB180_47:                             ;   in Loop: Header=BB180_4 Depth=1
	s_wait_loadcnt_dscnt 0x0
	s_barrier_signal -1
	s_barrier_wait -1
	global_inv scope:SCOPE_SE
	s_and_saveexec_b32 s18, s6
	s_cbranch_execnz .LBB180_135
; %bb.48:                               ;   in Loop: Header=BB180_4 Depth=1
	s_wait_alu 0xfffe
	s_or_b32 exec_lo, exec_lo, s18
	s_and_saveexec_b32 s18, s7
	s_cbranch_execnz .LBB180_136
.LBB180_49:                             ;   in Loop: Header=BB180_4 Depth=1
	s_wait_alu 0xfffe
	s_or_b32 exec_lo, exec_lo, s18
	s_and_saveexec_b32 s18, s8
	s_cbranch_execnz .LBB180_137
.LBB180_50:                             ;   in Loop: Header=BB180_4 Depth=1
	s_wait_alu 0xfffe
	s_or_b32 exec_lo, exec_lo, s18
	s_and_saveexec_b32 s18, s9
	s_cbranch_execz .LBB180_52
.LBB180_51:                             ;   in Loop: Header=BB180_4 Depth=1
	ds_load_b64 v[2:3], v168 offset:528
	s_wait_dscnt 0x0
	ds_store_b64 v103, v[2:3] offset:24
.LBB180_52:                             ;   in Loop: Header=BB180_4 Depth=1
	s_wait_alu 0xfffe
	s_or_b32 exec_lo, exec_lo, s18
	s_wait_loadcnt_dscnt 0x0
	s_barrier_signal -1
	s_barrier_wait -1
	global_inv scope:SCOPE_SE
	ds_load_b64 v[10:11], v167
	ds_load_b128 v[2:5], v105 offset:256
	ds_load_2addr_b64 v[6:9], v168 offset1:33
	ds_load_b128 v[14:17], v105 offset:272
	ds_load_b64 v[18:19], v168 offset:528
	s_wait_loadcnt_dscnt 0x0
	s_barrier_signal -1
	s_barrier_wait -1
	global_inv scope:SCOPE_SE
	v_mul_f32_e32 v20, v3, v11
	v_dual_mul_f32 v11, v2, v11 :: v_dual_mul_f32 v22, v15, v9
	v_mul_f32_e32 v9, v14, v9
	s_delay_alu instid0(VALU_DEP_3) | instskip(SKIP_1) | instid1(VALU_DEP_4)
	v_fma_f32 v2, v2, v10, -v20
	v_mul_f32_e32 v21, v5, v7
	v_fmac_f32_e32 v11, v3, v10
	s_delay_alu instid0(VALU_DEP_4) | instskip(SKIP_3) | instid1(VALU_DEP_1)
	v_fmac_f32_e32 v9, v15, v8
	v_fma_f32 v10, v14, v8, -v22
	v_dual_add_f32 v2, 0, v2 :: v_dual_mul_f32 v7, v4, v7
	v_fma_f32 v4, v4, v6, -v21
	v_dual_add_f32 v2, v2, v4 :: v_dual_fmac_f32 v7, v5, v6
	v_mul_f32_e32 v6, v16, v19
	v_add_f32_e32 v5, 0, v11
	s_delay_alu instid0(VALU_DEP_3) | instskip(NEXT) | instid1(VALU_DEP_3)
	v_dual_mul_f32 v3, v17, v19 :: v_dual_add_f32 v2, v2, v10
	v_fmac_f32_e32 v6, v17, v18
	s_delay_alu instid0(VALU_DEP_3) | instskip(NEXT) | instid1(VALU_DEP_3)
	v_add_f32_e32 v4, v5, v7
	v_fma_f32 v3, v16, v18, -v3
	s_delay_alu instid0(VALU_DEP_2) | instskip(NEXT) | instid1(VALU_DEP_1)
	v_add_f32_e32 v4, v4, v9
	v_dual_add_f32 v2, v2, v3 :: v_dual_add_f32 v3, v4, v6
	ds_store_b64 v106, v[2:3]
	s_wait_loadcnt_dscnt 0x0
	s_barrier_signal -1
	s_barrier_wait -1
	global_inv scope:SCOPE_SE
	s_and_saveexec_b32 s18, s16
	s_cbranch_execz .LBB180_54
; %bb.53:                               ;   in Loop: Header=BB180_4 Depth=1
	ds_load_2addr_b64 v[2:5], v104 offset1:7
	ds_load_2addr_b64 v[6:9], v104 offset0:1 offset1:2
	ds_load_2addr_b64 v[14:17], v104 offset0:3 offset1:4
	;; [unrolled: 1-line block ×3, first 2 shown]
	s_wait_dscnt 0x2
	v_dual_add_f32 v2, v6, v2 :: v_dual_add_f32 v3, v7, v3
	s_delay_alu instid0(VALU_DEP_1) | instskip(SKIP_1) | instid1(VALU_DEP_1)
	v_dual_add_f32 v2, v8, v2 :: v_dual_add_f32 v3, v9, v3
	s_wait_dscnt 0x1
	v_dual_add_f32 v2, v2, v14 :: v_dual_add_f32 v3, v3, v15
	s_delay_alu instid0(VALU_DEP_1) | instskip(SKIP_1) | instid1(VALU_DEP_1)
	v_dual_add_f32 v2, v2, v16 :: v_dual_add_f32 v3, v3, v17
	s_wait_dscnt 0x0
	v_dual_add_f32 v2, v2, v18 :: v_dual_add_f32 v3, v3, v19
	s_delay_alu instid0(VALU_DEP_1) | instskip(NEXT) | instid1(VALU_DEP_1)
	v_dual_add_f32 v2, v2, v20 :: v_dual_add_f32 v3, v3, v21
	v_dual_add_f32 v66, v2, v4 :: v_dual_add_f32 v67, v3, v5
.LBB180_54:                             ;   in Loop: Header=BB180_4 Depth=1
	s_wait_alu 0xfffe
	s_or_b32 exec_lo, exec_lo, s18
	v_add_co_u32 v2, vcc_lo, 0xffffff00, v0
	s_wait_alu 0xfffd
	v_add_co_ci_u32_e64 v3, null, -1, v1, vcc_lo
	s_and_b32 vcc_lo, exec_lo, s73
	s_mov_b32 s18, -1
	s_wait_loadcnt 0x0
	s_barrier_signal -1
	s_barrier_wait -1
	global_inv scope:SCOPE_SE
                                        ; implicit-def: $vgpr14_vgpr15
	s_wait_alu 0xfffe
	s_cbranch_vccz .LBB180_66
; %bb.55:                               ;   in Loop: Header=BB180_4 Depth=1
	s_and_saveexec_b32 s18, s12
	s_wait_alu 0xfffe
	s_xor_b32 s18, exec_lo, s18
; %bb.56:                               ;   in Loop: Header=BB180_4 Depth=1
	v_mov_b32_e32 v57, v56
	ds_store_b64 v165, v[56:57]
; %bb.57:                               ;   in Loop: Header=BB180_4 Depth=1
	s_wait_alu 0xfffe
	s_or_saveexec_b32 s18, s18
	v_add_co_u32 v4, vcc_lo, v0, v64
	s_wait_alu 0xfffd
	v_add_co_ci_u32_e64 v5, null, v1, v65, vcc_lo
	s_lshl_b64 s[68:69], s[44:45], 3
	s_wait_alu 0xfffe
	v_add_co_u32 v4, vcc_lo, v4, s68
	s_wait_alu 0xfffd
	v_add_co_ci_u32_e64 v5, null, s69, v5, vcc_lo
	s_delay_alu instid0(VALU_DEP_2) | instskip(SKIP_1) | instid1(VALU_DEP_2)
	v_add_co_u32 v4, vcc_lo, 0xfffffef8, v4
	s_wait_alu 0xfffd
	v_add_co_ci_u32_e64 v5, null, -1, v5, vcc_lo
	s_delay_alu instid0(VALU_DEP_2) | instskip(NEXT) | instid1(VALU_DEP_2)
	v_cndmask_b32_e64 v4, v4, v2, s1
	v_cndmask_b32_e64 v5, v5, v3, s1
	s_xor_b32 exec_lo, exec_lo, s18
	s_cbranch_execnz .LBB180_150
; %bb.58:                               ;   in Loop: Header=BB180_4 Depth=1
	s_or_b32 exec_lo, exec_lo, s18
	s_and_saveexec_b32 s18, s13
	s_wait_alu 0xfffe
	s_xor_b32 s18, exec_lo, s18
	s_cbranch_execnz .LBB180_151
.LBB180_59:                             ;   in Loop: Header=BB180_4 Depth=1
	s_wait_alu 0xfffe
	s_and_not1_saveexec_b32 s18, s18
	s_cbranch_execnz .LBB180_152
.LBB180_60:                             ;   in Loop: Header=BB180_4 Depth=1
	s_wait_alu 0xfffe
	s_or_b32 exec_lo, exec_lo, s18
	s_and_saveexec_b32 s18, s14
	s_wait_alu 0xfffe
	s_xor_b32 s18, exec_lo, s18
	s_cbranch_execnz .LBB180_153
.LBB180_61:                             ;   in Loop: Header=BB180_4 Depth=1
	s_wait_alu 0xfffe
	s_and_not1_saveexec_b32 s18, s18
	s_cbranch_execnz .LBB180_154
.LBB180_62:                             ;   in Loop: Header=BB180_4 Depth=1
	s_wait_alu 0xfffe
	s_or_b32 exec_lo, exec_lo, s18
	s_and_saveexec_b32 s18, s15
	s_wait_alu 0xfffe
	s_xor_b32 s18, exec_lo, s18
	s_cbranch_execnz .LBB180_155
.LBB180_63:                             ;   in Loop: Header=BB180_4 Depth=1
	s_wait_alu 0xfffe
	s_and_not1_saveexec_b32 s18, s18
	s_cbranch_execz .LBB180_65
.LBB180_64:                             ;   in Loop: Header=BB180_4 Depth=1
	v_add_co_u32 v6, vcc_lo, v4, s54
	s_wait_alu 0xfffd
	v_add_co_ci_u32_e64 v7, null, s55, v5, vcc_lo
	flat_load_b64 v[6:7], v[6:7]
	s_wait_loadcnt_dscnt 0x0
	ds_store_b64 v165, v[6:7] offset:6336
.LBB180_65:                             ;   in Loop: Header=BB180_4 Depth=1
	s_wait_alu 0xfffe
	s_or_b32 exec_lo, exec_lo, s18
	v_add_co_u32 v4, vcc_lo, v4, v166
	s_wait_alu 0xfffd
	v_add_co_ci_u32_e64 v5, null, 0, v5, vcc_lo
	s_lshl_b64 s[18:19], s[56:57], 3
	s_wait_alu 0xfffe
	v_add_co_u32 v4, vcc_lo, v4, s18
	s_wait_alu 0xfffd
	v_add_co_ci_u32_e64 v5, null, s19, v5, vcc_lo
	s_mov_b32 s18, 0
	v_add_co_u32 v4, vcc_lo, v4, 8
	s_wait_alu 0xfffd
	v_add_co_ci_u32_e64 v5, null, 0, v5, vcc_lo
	s_delay_alu instid0(VALU_DEP_2) | instskip(NEXT) | instid1(VALU_DEP_2)
	v_cndmask_b32_e64 v14, v4, v2, s1
	v_cndmask_b32_e64 v15, v5, v3, s1
.LBB180_66:                             ;   in Loop: Header=BB180_4 Depth=1
	s_wait_alu 0xfffe
	s_and_b32 vcc_lo, exec_lo, s18
	s_wait_alu 0xfffe
	s_cbranch_vccz .LBB180_68
; %bb.67:                               ;   in Loop: Header=BB180_4 Depth=1
	v_add_co_u32 v4, vcc_lo, v0, s50
	s_wait_alu 0xfffd
	v_add_co_ci_u32_e64 v5, null, s51, v1, vcc_lo
	v_dual_mov_b32 v15, v3 :: v_dual_mov_b32 v14, v2
	s_delay_alu instid0(VALU_DEP_3) | instskip(SKIP_1) | instid1(VALU_DEP_3)
	v_add_co_u32 v6, vcc_lo, v4, s50
	s_wait_alu 0xfffd
	v_add_co_ci_u32_e64 v7, null, s51, v5, vcc_lo
	s_delay_alu instid0(VALU_DEP_2) | instskip(SKIP_1) | instid1(VALU_DEP_2)
	v_add_co_u32 v8, vcc_lo, v6, s50
	s_wait_alu 0xfffd
	v_add_co_ci_u32_e64 v9, null, s51, v7, vcc_lo
	s_clause 0x3
	flat_load_b64 v[0:1], v[0:1] offset:-256
	flat_load_b64 v[4:5], v[4:5] offset:-256
	;; [unrolled: 1-line block ×4, first 2 shown]
	s_wait_loadcnt_dscnt 0x303
	ds_store_b64 v165, v[0:1]
	s_wait_loadcnt_dscnt 0x203
	ds_store_b64 v165, v[4:5] offset:2112
	s_wait_loadcnt_dscnt 0x103
	ds_store_b64 v165, v[6:7] offset:4224
	s_wait_loadcnt_dscnt 0x3
	ds_store_b64 v165, v[8:9] offset:6336
.LBB180_68:                             ;   in Loop: Header=BB180_4 Depth=1
	v_add_nc_u32_e32 v0, v103, v107
	v_add_nc_u32_e32 v1, v105, v107
	s_wait_loadcnt_dscnt 0x0
	s_barrier_signal -1
	s_barrier_wait -1
	global_inv scope:SCOPE_SE
	ds_load_2addr_b64 v[20:23], v106 offset0:8 offset1:16
	ds_load_2addr_b64 v[24:27], v131 offset0:8 offset1:16
	ds_load_b64 v[28:29], v0
	ds_load_b64 v[30:31], v1
	ds_load_b64 v[32:33], v106 offset:192
	ds_load_b64 v[34:35], v131 offset:192
	ds_load_b128 v[8:11], v105 offset:256
	ds_load_b128 v[0:3], v105 offset:272
	ds_load_2addr_b64 v[4:7], v168 offset1:33
	ds_load_b64 v[18:19], v167
	ds_load_b64 v[16:17], v168 offset:528
	s_wait_loadcnt_dscnt 0x0
	s_barrier_signal -1
	s_barrier_wait -1
	global_inv scope:SCOPE_SE
	v_mul_f32_e32 v36, v25, v21
	v_dual_mul_f32 v38, v27, v23 :: v_dual_mul_f32 v21, v24, v21
	v_mul_f32_e32 v23, v26, v23
	s_delay_alu instid0(VALU_DEP_3) | instskip(SKIP_4) | instid1(VALU_DEP_4)
	v_fma_f32 v24, v24, v20, -v36
	v_mul_f32_e32 v37, v31, v29
	v_mul_f32_e32 v29, v30, v29
	v_fmac_f32_e32 v21, v25, v20
	v_fma_f32 v26, v26, v22, -v38
	v_fma_f32 v30, v30, v28, -v37
	s_delay_alu instid0(VALU_DEP_4) | instskip(SKIP_1) | instid1(VALU_DEP_3)
	v_fmac_f32_e32 v29, v31, v28
	v_mul_f32_e32 v28, v35, v33
	v_add_f32_e32 v20, 0, v30
	s_delay_alu instid0(VALU_DEP_1) | instskip(NEXT) | instid1(VALU_DEP_3)
	v_add_f32_e32 v20, v20, v24
	v_fma_f32 v24, v34, v32, -v28
	s_delay_alu instid0(VALU_DEP_2) | instskip(SKIP_1) | instid1(VALU_DEP_2)
	v_add_f32_e32 v20, v20, v26
	v_dual_fmac_f32 v23, v27, v22 :: v_dual_mul_f32 v22, v34, v33
	v_dual_add_f32 v25, 0, v29 :: v_dual_add_f32 v20, v20, v24
	s_delay_alu instid0(VALU_DEP_1) | instskip(NEXT) | instid1(VALU_DEP_1)
	v_dual_fmac_f32 v22, v35, v32 :: v_dual_add_f32 v21, v25, v21
	v_add_f32_e32 v21, v21, v23
	s_delay_alu instid0(VALU_DEP_1)
	v_add_f32_e32 v21, v21, v22
	ds_store_b64 v106, v[20:21]
	s_wait_loadcnt_dscnt 0x0
	s_barrier_signal -1
	s_barrier_wait -1
	global_inv scope:SCOPE_SE
	s_and_saveexec_b32 s18, s16
	s_cbranch_execz .LBB180_70
; %bb.69:                               ;   in Loop: Header=BB180_4 Depth=1
	ds_load_2addr_b64 v[20:23], v104 offset1:1
	ds_load_2addr_b64 v[24:27], v104 offset0:2 offset1:3
	ds_load_2addr_b64 v[28:31], v104 offset0:4 offset1:5
	s_wait_dscnt 0x2
	v_dual_add_f32 v20, v66, v20 :: v_dual_add_f32 v21, v67, v21
	s_delay_alu instid0(VALU_DEP_1) | instskip(SKIP_3) | instid1(VALU_DEP_1)
	v_dual_add_f32 v32, v20, v22 :: v_dual_add_f32 v33, v21, v23
	ds_load_2addr_b64 v[20:23], v104 offset0:6 offset1:7
	s_wait_dscnt 0x2
	v_dual_add_f32 v24, v32, v24 :: v_dual_add_f32 v25, v33, v25
	v_dual_add_f32 v24, v24, v26 :: v_dual_add_f32 v25, v25, v27
	s_wait_dscnt 0x1
	s_delay_alu instid0(VALU_DEP_1) | instskip(NEXT) | instid1(VALU_DEP_1)
	v_dual_add_f32 v24, v24, v28 :: v_dual_add_f32 v25, v25, v29
	v_dual_add_f32 v24, v24, v30 :: v_dual_add_f32 v25, v25, v31
	s_wait_dscnt 0x0
	s_delay_alu instid0(VALU_DEP_1) | instskip(NEXT) | instid1(VALU_DEP_1)
	v_dual_add_f32 v20, v24, v20 :: v_dual_add_f32 v21, v25, v21
	v_dual_add_f32 v66, v20, v22 :: v_dual_add_f32 v67, v21, v23
.LBB180_70:                             ;   in Loop: Header=BB180_4 Depth=1
	s_wait_alu 0xfffe
	s_or_b32 exec_lo, exec_lo, s18
	v_dual_mul_f32 v20, v9, v19 :: v_dual_mul_f32 v21, v11, v5
	v_mul_f32_e32 v19, v8, v19
	v_dual_mul_f32 v5, v10, v5 :: v_dual_mul_f32 v22, v1, v7
	s_delay_alu instid0(VALU_DEP_3) | instskip(NEXT) | instid1(VALU_DEP_4)
	v_fma_f32 v8, v8, v18, -v20
	v_fma_f32 v10, v10, v4, -v21
	v_mul_f32_e32 v7, v0, v7
	s_wait_loadcnt 0x0
	v_fma_f32 v0, v0, v6, -v22
	v_add_f32_e32 v8, 0, v8
	v_fmac_f32_e32 v5, v11, v4
	v_fmac_f32_e32 v7, v1, v6
	s_barrier_signal -1
	s_barrier_wait -1
	v_add_f32_e32 v8, v8, v10
	v_fmac_f32_e32 v19, v9, v18
	global_inv scope:SCOPE_SE
	v_dual_add_f32 v0, v8, v0 :: v_dual_mul_f32 v9, v3, v17
	v_dual_add_f32 v4, 0, v19 :: v_dual_mul_f32 v11, v2, v17
	s_delay_alu instid0(VALU_DEP_2) | instskip(NEXT) | instid1(VALU_DEP_2)
	v_fma_f32 v2, v2, v16, -v9
	v_add_f32_e32 v1, v4, v5
	s_delay_alu instid0(VALU_DEP_2) | instskip(NEXT) | instid1(VALU_DEP_2)
	v_dual_add_f32 v0, v0, v2 :: v_dual_fmac_f32 v11, v3, v16
	v_add_f32_e32 v1, v1, v7
	s_delay_alu instid0(VALU_DEP_1)
	v_add_f32_e32 v1, v1, v11
	ds_store_b64 v106, v[0:1]
	s_wait_loadcnt_dscnt 0x0
	s_barrier_signal -1
	s_barrier_wait -1
	global_inv scope:SCOPE_SE
	s_and_saveexec_b32 s18, s10
	s_cbranch_execz .LBB180_72
; %bb.71:                               ;   in Loop: Header=BB180_4 Depth=1
	ds_load_2addr_b64 v[0:3], v104 offset1:1
	ds_load_2addr_b64 v[4:7], v104 offset0:2 offset1:3
	ds_load_2addr_b64 v[8:11], v104 offset0:4 offset1:5
	s_wait_dscnt 0x2
	v_dual_add_f32 v0, v66, v0 :: v_dual_add_f32 v1, v67, v1
	s_delay_alu instid0(VALU_DEP_1) | instskip(SKIP_3) | instid1(VALU_DEP_1)
	v_dual_add_f32 v16, v0, v2 :: v_dual_add_f32 v17, v1, v3
	ds_load_2addr_b64 v[0:3], v104 offset0:6 offset1:7
	s_wait_dscnt 0x2
	v_dual_add_f32 v4, v16, v4 :: v_dual_add_f32 v5, v17, v5
	v_dual_add_f32 v4, v4, v6 :: v_dual_add_f32 v5, v5, v7
	s_wait_dscnt 0x1
	s_delay_alu instid0(VALU_DEP_1) | instskip(NEXT) | instid1(VALU_DEP_1)
	v_dual_add_f32 v4, v4, v8 :: v_dual_add_f32 v5, v5, v9
	v_dual_add_f32 v4, v4, v10 :: v_dual_add_f32 v5, v5, v11
	s_wait_dscnt 0x0
	s_delay_alu instid0(VALU_DEP_1) | instskip(NEXT) | instid1(VALU_DEP_1)
	v_dual_add_f32 v0, v4, v0 :: v_dual_add_f32 v1, v5, v1
	v_dual_add_f32 v66, v0, v2 :: v_dual_add_f32 v67, v1, v3
.LBB180_72:                             ;   in Loop: Header=BB180_4 Depth=1
	s_wait_alu 0xfffe
	s_or_b32 exec_lo, exec_lo, s18
	s_mul_u64 s[18:19], s[46:47], s[34:35]
	s_and_not1_b32 vcc_lo, exec_lo, s43
	s_wait_alu 0xfffe
	s_lshl_b64 s[18:19], s[18:19], 3
	s_wait_loadcnt 0x0
	s_wait_alu 0xfffe
	s_add_nc_u64 s[68:69], s[48:49], s[18:19]
	s_barrier_signal -1
	s_barrier_wait -1
	global_inv scope:SCOPE_SE
	s_cbranch_vccnz .LBB180_130
; %bb.73:                               ;   in Loop: Header=BB180_4 Depth=1
	v_add_co_u32 v169, vcc_lo, v12, s66
	s_wait_alu 0xfffd
	v_add_co_ci_u32_e64 v170, null, s67, v13, vcc_lo
	v_add_co_u32 v171, vcc_lo, v14, v132
	s_wait_alu 0xfffd
	v_add_co_ci_u32_e64 v172, null, v15, v133, vcc_lo
	;; [unrolled: 3-line block ×17, first 2 shown]
	s_mov_b32 s19, ttmp9
	s_mov_b32 s70, s77
	s_wait_alu 0xfffe
	s_cmp_eq_u32 s75, s19
	s_cselect_b32 s78, s72, 0
	s_and_saveexec_b32 s18, s0
	s_cbranch_execz .LBB180_78
.LBB180_74:                             ;   in Loop: Header=BB180_4 Depth=1
	s_wait_alu 0xfffe
	v_cmp_le_i32_e32 vcc_lo, s78, v100
	s_cmp_lg_u32 s78, 0
	s_cselect_b32 s71, -1, 0
	s_wait_alu 0xfffe
	s_and_b32 s71, s71, vcc_lo
	s_wait_alu 0xfffe
	s_and_saveexec_b32 s79, s71
	s_wait_alu 0xfffe
	s_xor_b32 s71, exec_lo, s79
; %bb.75:                               ;   in Loop: Header=BB180_4 Depth=1
	v_mov_b32_e32 v57, v56
	ds_store_b64 v109, v[56:57]
; %bb.76:                               ;   in Loop: Header=BB180_4 Depth=1
	s_wait_alu 0xfffe
	s_and_not1_saveexec_b32 s71, s71
	s_cbranch_execz .LBB180_78
; %bb.77:                               ;   in Loop: Header=BB180_4 Depth=1
	s_ashr_i32 s71, s70, 31
	s_wait_alu 0xfffe
	s_mul_u64 s[80:81], s[40:41], s[70:71]
	s_wait_alu 0xfffe
	s_lshl_b64 s[80:81], s[80:81], 3
	s_wait_alu 0xfffe
	v_add_co_u32 v0, vcc_lo, v169, s80
	s_wait_alu 0xfffd
	v_add_co_ci_u32_e64 v1, null, s81, v170, vcc_lo
	flat_load_b64 v[0:1], v[0:1]
	s_wait_loadcnt_dscnt 0x0
	ds_store_b64 v109, v[0:1]
.LBB180_78:                             ;   Parent Loop BB180_4 Depth=1
                                        ; =>  This Inner Loop Header: Depth=2
	s_wait_alu 0xfffe
	s_or_b32 exec_lo, exec_lo, s18
	s_cmp_eq_u32 s78, 0
	v_add_co_u32 v0, vcc_lo, v175, v101
	s_cselect_b32 s71, -1, 0
	s_cmp_lg_u32 s78, 0
	s_wait_alu 0xfffd
	v_add_co_ci_u32_e64 v1, null, 0, v176, vcc_lo
	s_cselect_b32 s18, -1, 0
	s_wait_loadcnt_dscnt 0x0
	s_wait_alu 0xfffe
	s_and_b32 vcc_lo, exec_lo, s18
	s_barrier_signal -1
	s_barrier_wait -1
	global_inv scope:SCOPE_SE
	s_wait_alu 0xfffe
	s_cbranch_vccz .LBB180_86
; %bb.79:                               ;   in Loop: Header=BB180_78 Depth=2
	v_mov_b32_e32 v68, 0
	v_dual_mov_b32 v69, 0 :: v_dual_mov_b32 v70, 0
	v_mov_b32_e32 v71, 0
	s_mov_b32 s79, exec_lo
	v_cmpx_gt_i32_e64 s78, v108
	s_cbranch_execz .LBB180_81
; %bb.80:                               ;   in Loop: Header=BB180_78 Depth=2
	flat_load_b64 v[70:71], v[0:1]
.LBB180_81:                             ;   in Loop: Header=BB180_78 Depth=2
	s_wait_alu 0xfffe
	s_or_b32 exec_lo, exec_lo, s79
	s_delay_alu instid0(SALU_CYCLE_1)
	s_mov_b32 s79, exec_lo
	v_cmpx_gt_i32_e64 s78, v115
	s_cbranch_execz .LBB180_83
; %bb.82:                               ;   in Loop: Header=BB180_78 Depth=2
	v_add_co_u32 v2, vcc_lo, v173, v101
	s_wait_alu 0xfffd
	v_add_co_ci_u32_e64 v3, null, 0, v174, vcc_lo
	flat_load_b64 v[68:69], v[2:3]
.LBB180_83:                             ;   in Loop: Header=BB180_78 Depth=2
	s_wait_alu 0xfffe
	s_or_b32 exec_lo, exec_lo, s79
	v_mov_b32_e32 v72, 0
	v_mov_b32_e32 v73, 0
	s_mov_b32 s79, exec_lo
	v_cmpx_gt_i32_e64 s78, v116
	s_cbranch_execz .LBB180_85
; %bb.84:                               ;   in Loop: Header=BB180_78 Depth=2
	v_add_co_u32 v2, vcc_lo, v171, v101
	s_wait_alu 0xfffd
	v_add_co_ci_u32_e64 v3, null, 0, v172, vcc_lo
	flat_load_b64 v[72:73], v[2:3]
.LBB180_85:                             ;   in Loop: Header=BB180_78 Depth=2
	s_wait_alu 0xfffe
	s_or_b32 exec_lo, exec_lo, s79
	v_cmp_gt_i32_e64 s79, s78, v117
	s_branch .LBB180_88
.LBB180_86:                             ;   in Loop: Header=BB180_78 Depth=2
	s_mov_b32 s79, 0
                                        ; implicit-def: $vgpr72_vgpr73
                                        ; implicit-def: $vgpr68_vgpr69
                                        ; implicit-def: $vgpr70_vgpr71
	s_cbranch_execz .LBB180_88
; %bb.87:                               ;   in Loop: Header=BB180_78 Depth=2
	v_add_co_u32 v2, vcc_lo, v173, v101
	s_wait_alu 0xfffd
	v_add_co_ci_u32_e64 v3, null, 0, v174, vcc_lo
	v_add_co_u32 v4, vcc_lo, v171, v101
	s_wait_alu 0xfffd
	v_add_co_ci_u32_e64 v5, null, 0, v172, vcc_lo
	s_wait_loadcnt_dscnt 0x0
	flat_load_b64 v[70:71], v[0:1]
	flat_load_b64 v[68:69], v[2:3]
	;; [unrolled: 1-line block ×3, first 2 shown]
	s_wait_alu 0xfffe
	s_or_b32 s79, s79, exec_lo
.LBB180_88:                             ;   in Loop: Header=BB180_78 Depth=2
	v_mov_b32_e32 v74, 0
	v_mov_b32_e32 v75, 0
	s_wait_alu 0xfffe
	s_and_saveexec_b32 s80, s79
	s_cbranch_execz .LBB180_90
; %bb.89:                               ;   in Loop: Header=BB180_78 Depth=2
	v_add_co_u32 v0, vcc_lo, v177, v101
	s_wait_alu 0xfffd
	v_add_co_ci_u32_e64 v1, null, 0, v178, vcc_lo
	flat_load_b64 v[74:75], v[0:1]
.LBB180_90:                             ;   in Loop: Header=BB180_78 Depth=2
	s_wait_alu 0xfffe
	s_or_b32 exec_lo, exec_lo, s80
	ds_load_b64 v[4:5], v102
	ds_load_b128 v[0:3], v110
	v_cndmask_b32_e64 v40, 0, 1, s18
	s_wait_loadcnt_dscnt 0x1
	v_mul_f32_e32 v9, v5, v70
	v_mul_f32_e32 v7, v5, v69
	;; [unrolled: 1-line block ×4, first 2 shown]
	v_dual_mul_f32 v12, v5, v73 :: v_dual_mul_f32 v15, v4, v75
	v_mul_f32_e32 v13, v5, v72
	v_mul_f32_e32 v14, v5, v75
	v_fmac_f32_e32 v9, v4, v71
	v_fma_f32 v10, v4, v68, -v7
	v_fmac_f32_e32 v11, v4, v69
	v_fma_f32 v8, v4, v70, -v6
	v_fma_f32 v12, v4, v72, -v12
	v_fmac_f32_e32 v13, v4, v73
	v_fma_f32 v14, v4, v74, -v14
	v_fmac_f32_e32 v15, v5, v74
	ds_load_b128 v[4:7], v110 offset:16
	ds_store_2addr_b64 v111, v[8:9], v[10:11] offset1:67
	ds_store_2addr_b64 v111, v[12:13], v[14:15] offset0:134 offset1:201
	s_wait_dscnt 0x0
	s_barrier_signal -1
	s_barrier_wait -1
	global_inv scope:SCOPE_SE
	ds_load_2addr_b64 v[20:23], v112 offset1:1
	ds_load_2addr_b64 v[16:19], v112 offset0:2 offset1:3
	v_add_co_u32 v8, vcc_lo, v183, v101
	s_wait_alu 0xfffd
	v_add_co_ci_u32_e64 v9, null, 0, v184, vcc_lo
	s_and_not1_b32 vcc_lo, exec_lo, s18
	s_wait_loadcnt_dscnt 0x0
	s_barrier_signal -1
	s_barrier_wait -1
	global_inv scope:SCOPE_SE
	s_wait_alu 0xfffe
	s_cbranch_vccnz .LBB180_98
; %bb.91:                               ;   in Loop: Header=BB180_78 Depth=2
	v_mov_b32_e32 v76, 0
	v_dual_mov_b32 v77, 0 :: v_dual_mov_b32 v78, 0
	v_mov_b32_e32 v79, 0
	s_mov_b32 s18, exec_lo
	v_cmpx_gt_i32_e64 s78, v118
	s_cbranch_execz .LBB180_93
; %bb.92:                               ;   in Loop: Header=BB180_78 Depth=2
	flat_load_b64 v[78:79], v[8:9]
.LBB180_93:                             ;   in Loop: Header=BB180_78 Depth=2
	s_wait_alu 0xfffe
	s_or_b32 exec_lo, exec_lo, s18
	s_delay_alu instid0(SALU_CYCLE_1)
	s_mov_b32 s18, exec_lo
	v_cmpx_gt_i32_e64 s78, v119
	s_cbranch_execz .LBB180_95
; %bb.94:                               ;   in Loop: Header=BB180_78 Depth=2
	v_add_co_u32 v10, vcc_lo, v181, v101
	s_wait_alu 0xfffd
	v_add_co_ci_u32_e64 v11, null, 0, v182, vcc_lo
	flat_load_b64 v[76:77], v[10:11]
.LBB180_95:                             ;   in Loop: Header=BB180_78 Depth=2
	s_wait_alu 0xfffe
	s_or_b32 exec_lo, exec_lo, s18
	v_mov_b32_e32 v80, 0
	v_mov_b32_e32 v81, 0
	s_mov_b32 s18, exec_lo
	v_cmpx_gt_i32_e64 s78, v120
	s_cbranch_execz .LBB180_97
; %bb.96:                               ;   in Loop: Header=BB180_78 Depth=2
	v_add_co_u32 v10, vcc_lo, v179, v101
	s_wait_alu 0xfffd
	v_add_co_ci_u32_e64 v11, null, 0, v180, vcc_lo
	flat_load_b64 v[80:81], v[10:11]
.LBB180_97:                             ;   in Loop: Header=BB180_78 Depth=2
	s_wait_alu 0xfffe
	s_or_b32 exec_lo, exec_lo, s18
	v_cmp_gt_i32_e64 s18, s78, v121
	s_branch .LBB180_100
.LBB180_98:                             ;   in Loop: Header=BB180_78 Depth=2
	s_mov_b32 s18, 0
                                        ; implicit-def: $vgpr80_vgpr81
                                        ; implicit-def: $vgpr76_vgpr77
                                        ; implicit-def: $vgpr78_vgpr79
	s_cbranch_execz .LBB180_100
; %bb.99:                               ;   in Loop: Header=BB180_78 Depth=2
	v_add_co_u32 v10, vcc_lo, v181, v101
	s_wait_alu 0xfffd
	v_add_co_ci_u32_e64 v11, null, 0, v182, vcc_lo
	v_add_co_u32 v12, vcc_lo, v179, v101
	s_wait_alu 0xfffd
	v_add_co_ci_u32_e64 v13, null, 0, v180, vcc_lo
	s_wait_loadcnt_dscnt 0x0
	flat_load_b64 v[78:79], v[8:9]
	flat_load_b64 v[76:77], v[10:11]
	;; [unrolled: 1-line block ×3, first 2 shown]
	s_wait_alu 0xfffe
	s_or_b32 s18, s18, exec_lo
.LBB180_100:                            ;   in Loop: Header=BB180_78 Depth=2
	v_mov_b32_e32 v82, 0
	v_mov_b32_e32 v83, 0
	s_wait_alu 0xfffe
	s_and_saveexec_b32 s79, s18
	s_cbranch_execz .LBB180_102
; %bb.101:                              ;   in Loop: Header=BB180_78 Depth=2
	v_add_co_u32 v8, vcc_lo, v185, v101
	s_wait_alu 0xfffd
	v_add_co_ci_u32_e64 v9, null, 0, v186, vcc_lo
	flat_load_b64 v[82:83], v[8:9]
.LBB180_102:                            ;   in Loop: Header=BB180_78 Depth=2
	s_wait_alu 0xfffe
	s_or_b32 exec_lo, exec_lo, s79
	ds_load_b64 v[12:13], v102
	ds_load_b128 v[8:11], v110 offset:128
	v_cmp_ne_u32_e32 vcc_lo, 1, v40
	s_and_b32 vcc_lo, exec_lo, vcc_lo
	s_wait_loadcnt_dscnt 0x1
	v_mul_f32_e32 v25, v13, v78
	v_mul_f32_e32 v15, v13, v77
	;; [unrolled: 1-line block ×4, first 2 shown]
	v_dual_mul_f32 v28, v13, v81 :: v_dual_mul_f32 v31, v12, v83
	v_mul_f32_e32 v29, v13, v80
	v_mul_f32_e32 v30, v13, v83
	v_fmac_f32_e32 v25, v12, v79
	v_fma_f32 v26, v12, v76, -v15
	v_fmac_f32_e32 v27, v12, v77
	v_fma_f32 v24, v12, v78, -v14
	v_fma_f32 v28, v12, v80, -v28
	v_fmac_f32_e32 v29, v12, v81
	v_fma_f32 v30, v12, v82, -v30
	v_fmac_f32_e32 v31, v13, v82
	ds_load_b128 v[12:15], v110 offset:144
	ds_store_2addr_b64 v111, v[24:25], v[26:27] offset1:67
	ds_store_2addr_b64 v111, v[28:29], v[30:31] offset0:134 offset1:201
	s_wait_dscnt 0x0
	s_barrier_signal -1
	s_barrier_wait -1
	global_inv scope:SCOPE_SE
	ds_load_2addr_b64 v[36:39], v112 offset1:1
	ds_load_2addr_b64 v[32:35], v112 offset0:2 offset1:3
	v_add_co_u32 v24, s18, v191, v101
	s_wait_alu 0xf1ff
	v_add_co_ci_u32_e64 v25, null, 0, v192, s18
	s_wait_loadcnt_dscnt 0x0
	s_barrier_signal -1
	s_barrier_wait -1
	global_inv scope:SCOPE_SE
	s_wait_alu 0xfffe
	s_cbranch_vccnz .LBB180_110
; %bb.103:                              ;   in Loop: Header=BB180_78 Depth=2
	v_mov_b32_e32 v84, 0
	v_dual_mov_b32 v85, 0 :: v_dual_mov_b32 v86, 0
	v_mov_b32_e32 v87, 0
	s_mov_b32 s18, exec_lo
	v_cmpx_gt_i32_e64 s78, v122
	s_cbranch_execz .LBB180_105
; %bb.104:                              ;   in Loop: Header=BB180_78 Depth=2
	flat_load_b64 v[86:87], v[24:25]
.LBB180_105:                            ;   in Loop: Header=BB180_78 Depth=2
	s_wait_alu 0xfffe
	s_or_b32 exec_lo, exec_lo, s18
	s_delay_alu instid0(SALU_CYCLE_1)
	s_mov_b32 s18, exec_lo
	v_cmpx_gt_i32_e64 s78, v123
	s_cbranch_execz .LBB180_107
; %bb.106:                              ;   in Loop: Header=BB180_78 Depth=2
	v_add_co_u32 v26, vcc_lo, v189, v101
	s_wait_alu 0xfffd
	v_add_co_ci_u32_e64 v27, null, 0, v190, vcc_lo
	flat_load_b64 v[84:85], v[26:27]
.LBB180_107:                            ;   in Loop: Header=BB180_78 Depth=2
	s_wait_alu 0xfffe
	s_or_b32 exec_lo, exec_lo, s18
	v_mov_b32_e32 v88, 0
	v_mov_b32_e32 v89, 0
	s_mov_b32 s18, exec_lo
	v_cmpx_gt_i32_e64 s78, v124
	s_cbranch_execz .LBB180_109
; %bb.108:                              ;   in Loop: Header=BB180_78 Depth=2
	v_add_co_u32 v26, vcc_lo, v187, v101
	s_wait_alu 0xfffd
	v_add_co_ci_u32_e64 v27, null, 0, v188, vcc_lo
	flat_load_b64 v[88:89], v[26:27]
.LBB180_109:                            ;   in Loop: Header=BB180_78 Depth=2
	s_wait_alu 0xfffe
	s_or_b32 exec_lo, exec_lo, s18
	v_cmp_gt_i32_e64 s18, s78, v125
	s_branch .LBB180_112
.LBB180_110:                            ;   in Loop: Header=BB180_78 Depth=2
	s_mov_b32 s18, 0
                                        ; implicit-def: $vgpr88_vgpr89
                                        ; implicit-def: $vgpr84_vgpr85
                                        ; implicit-def: $vgpr86_vgpr87
	s_cbranch_execz .LBB180_112
; %bb.111:                              ;   in Loop: Header=BB180_78 Depth=2
	v_add_co_u32 v26, vcc_lo, v189, v101
	s_wait_alu 0xfffd
	v_add_co_ci_u32_e64 v27, null, 0, v190, vcc_lo
	v_add_co_u32 v28, vcc_lo, v187, v101
	s_wait_alu 0xfffd
	v_add_co_ci_u32_e64 v29, null, 0, v188, vcc_lo
	s_wait_loadcnt_dscnt 0x0
	flat_load_b64 v[86:87], v[24:25]
	flat_load_b64 v[84:85], v[26:27]
	;; [unrolled: 1-line block ×3, first 2 shown]
	s_wait_alu 0xfffe
	s_or_b32 s18, s18, exec_lo
.LBB180_112:                            ;   in Loop: Header=BB180_78 Depth=2
	v_mov_b32_e32 v90, 0
	v_mov_b32_e32 v91, 0
	s_wait_alu 0xfffe
	s_and_saveexec_b32 s79, s18
	s_cbranch_execz .LBB180_114
; %bb.113:                              ;   in Loop: Header=BB180_78 Depth=2
	v_add_co_u32 v24, vcc_lo, v193, v101
	s_wait_alu 0xfffd
	v_add_co_ci_u32_e64 v25, null, 0, v194, vcc_lo
	flat_load_b64 v[90:91], v[24:25]
.LBB180_114:                            ;   in Loop: Header=BB180_78 Depth=2
	s_wait_alu 0xfffe
	s_or_b32 exec_lo, exec_lo, s79
	ds_load_b64 v[28:29], v102
	ds_load_b128 v[24:27], v110 offset:256
	v_cmp_ne_u32_e32 vcc_lo, 1, v40
	v_add_co_u32 v40, s18, v199, v101
	s_and_b32 vcc_lo, exec_lo, vcc_lo
	s_wait_loadcnt_dscnt 0x1
	v_mul_f32_e32 v30, v29, v87
	v_mul_f32_e32 v42, v29, v86
	v_dual_mul_f32 v31, v29, v85 :: v_dual_mul_f32 v48, v28, v91
	v_mul_f32_e32 v44, v29, v84
	s_delay_alu instid0(VALU_DEP_3) | instskip(SKIP_1) | instid1(VALU_DEP_3)
	v_dual_mul_f32 v45, v29, v89 :: v_dual_fmac_f32 v42, v28, v87
	v_mul_f32_e32 v46, v29, v88
	v_dual_mul_f32 v47, v29, v91 :: v_dual_fmac_f32 v44, v28, v85
	v_fma_f32 v41, v28, v86, -v30
	v_fma_f32 v43, v28, v84, -v31
	;; [unrolled: 1-line block ×3, first 2 shown]
	v_fmac_f32_e32 v46, v28, v89
	v_fma_f32 v47, v28, v90, -v47
	v_fmac_f32_e32 v48, v29, v90
	ds_load_b128 v[28:31], v110 offset:272
	ds_store_2addr_b64 v111, v[41:42], v[43:44] offset1:67
	ds_store_2addr_b64 v111, v[45:46], v[47:48] offset0:134 offset1:201
	s_wait_dscnt 0x0
	s_barrier_signal -1
	s_barrier_wait -1
	global_inv scope:SCOPE_SE
	ds_load_2addr_b64 v[52:55], v112 offset1:1
	ds_load_2addr_b64 v[48:51], v112 offset0:2 offset1:3
	s_wait_alu 0xf1ff
	v_add_co_ci_u32_e64 v41, null, 0, v200, s18
	s_wait_loadcnt_dscnt 0x0
	s_barrier_signal -1
	s_barrier_wait -1
	global_inv scope:SCOPE_SE
	s_wait_alu 0xfffe
	s_cbranch_vccnz .LBB180_122
; %bb.115:                              ;   in Loop: Header=BB180_78 Depth=2
	v_mov_b32_e32 v92, 0
	v_dual_mov_b32 v93, 0 :: v_dual_mov_b32 v94, 0
	v_mov_b32_e32 v95, 0
	s_mov_b32 s18, exec_lo
	v_cmpx_gt_i32_e64 s78, v126
	s_cbranch_execz .LBB180_117
; %bb.116:                              ;   in Loop: Header=BB180_78 Depth=2
	flat_load_b64 v[94:95], v[40:41]
.LBB180_117:                            ;   in Loop: Header=BB180_78 Depth=2
	s_wait_alu 0xfffe
	s_or_b32 exec_lo, exec_lo, s18
	s_delay_alu instid0(SALU_CYCLE_1)
	s_mov_b32 s18, exec_lo
	v_cmpx_gt_i32_e64 s78, v127
	s_cbranch_execz .LBB180_119
; %bb.118:                              ;   in Loop: Header=BB180_78 Depth=2
	v_add_co_u32 v42, vcc_lo, v197, v101
	s_wait_alu 0xfffd
	v_add_co_ci_u32_e64 v43, null, 0, v198, vcc_lo
	flat_load_b64 v[92:93], v[42:43]
.LBB180_119:                            ;   in Loop: Header=BB180_78 Depth=2
	s_wait_alu 0xfffe
	s_or_b32 exec_lo, exec_lo, s18
	v_mov_b32_e32 v96, 0
	v_mov_b32_e32 v97, 0
	s_mov_b32 s18, exec_lo
	v_cmpx_gt_i32_e64 s78, v128
	s_cbranch_execz .LBB180_121
; %bb.120:                              ;   in Loop: Header=BB180_78 Depth=2
	v_add_co_u32 v42, vcc_lo, v195, v101
	s_wait_alu 0xfffd
	v_add_co_ci_u32_e64 v43, null, 0, v196, vcc_lo
	flat_load_b64 v[96:97], v[42:43]
.LBB180_121:                            ;   in Loop: Header=BB180_78 Depth=2
	s_wait_alu 0xfffe
	s_or_b32 exec_lo, exec_lo, s18
	v_cmp_gt_i32_e64 s18, s78, v129
	s_branch .LBB180_124
.LBB180_122:                            ;   in Loop: Header=BB180_78 Depth=2
	s_mov_b32 s18, 0
                                        ; implicit-def: $vgpr96_vgpr97
                                        ; implicit-def: $vgpr92_vgpr93
                                        ; implicit-def: $vgpr94_vgpr95
	s_cbranch_execz .LBB180_124
; %bb.123:                              ;   in Loop: Header=BB180_78 Depth=2
	v_add_co_u32 v42, vcc_lo, v197, v101
	s_wait_alu 0xfffd
	v_add_co_ci_u32_e64 v43, null, 0, v198, vcc_lo
	v_add_co_u32 v44, vcc_lo, v195, v101
	s_wait_alu 0xfffd
	v_add_co_ci_u32_e64 v45, null, 0, v196, vcc_lo
	s_wait_loadcnt_dscnt 0x0
	flat_load_b64 v[94:95], v[40:41]
	flat_load_b64 v[92:93], v[42:43]
	;; [unrolled: 1-line block ×3, first 2 shown]
	s_wait_alu 0xfffe
	s_or_b32 s18, s18, exec_lo
.LBB180_124:                            ;   in Loop: Header=BB180_78 Depth=2
	v_mov_b32_e32 v98, 0
	v_mov_b32_e32 v99, 0
	s_wait_alu 0xfffe
	s_and_saveexec_b32 s79, s18
	s_cbranch_execz .LBB180_126
; %bb.125:                              ;   in Loop: Header=BB180_78 Depth=2
	v_add_co_u32 v40, vcc_lo, v201, v101
	s_wait_alu 0xfffd
	v_add_co_ci_u32_e64 v41, null, 0, v202, vcc_lo
	flat_load_b64 v[98:99], v[40:41]
.LBB180_126:                            ;   in Loop: Header=BB180_78 Depth=2
	s_wait_alu 0xfffe
	s_or_b32 exec_lo, exec_lo, s79
	ds_load_b64 v[44:45], v102
	ds_load_b128 v[40:43], v110 offset:384
	v_cmp_gt_i32_e32 vcc_lo, s78, v100
	v_dual_add_f32 v37, 0, v37 :: v_dual_add_f32 v52, 0, v52
	v_add_f32_e32 v21, 0, v21
	v_dual_add_f32 v53, 0, v53 :: v_dual_add_f32 v36, 0, v36
	s_or_b32 s18, s71, vcc_lo
	s_delay_alu instid0(VALU_DEP_3) | instskip(NEXT) | instid1(VALU_DEP_3)
	v_dual_add_f32 v37, v37, v39 :: v_dual_add_f32 v20, 0, v20
	v_add_f32_e32 v21, v21, v23
	s_wait_alu 0xfffe
	s_and_b32 s71, s17, s18
	s_delay_alu instid0(VALU_DEP_2) | instskip(NEXT) | instid1(VALU_DEP_2)
	v_dual_add_f32 v33, v37, v33 :: v_dual_add_f32 v20, v20, v22
	v_add_f32_e32 v39, v21, v17
	s_delay_alu instid0(VALU_DEP_2)
	v_add_f32_e32 v21, v33, v35
	s_wait_loadcnt_dscnt 0x1
	v_mul_f32_e32 v204, v45, v94
	v_mul_f32_e32 v46, v45, v95
	v_dual_mul_f32 v47, v45, v93 :: v_dual_mul_f32 v210, v44, v99
	v_mul_f32_e32 v206, v45, v92
	s_delay_alu instid0(VALU_DEP_4) | instskip(SKIP_1) | instid1(VALU_DEP_3)
	v_dual_mul_f32 v57, v45, v97 :: v_dual_fmac_f32 v204, v44, v95
	v_mul_f32_e32 v208, v45, v96
	v_dual_mul_f32 v209, v45, v99 :: v_dual_fmac_f32 v206, v44, v93
	v_fma_f32 v203, v44, v94, -v46
	v_fma_f32 v205, v44, v92, -v47
	;; [unrolled: 1-line block ×3, first 2 shown]
	s_delay_alu instid0(VALU_DEP_4)
	v_fma_f32 v209, v44, v98, -v209
	v_fmac_f32_e32 v210, v45, v98
	v_add_f32_e32 v57, v52, v54
	v_fmac_f32_e32 v208, v44, v97
	ds_load_b128 v[44:47], v110 offset:400
	ds_store_2addr_b64 v111, v[203:204], v[205:206] offset1:67
	ds_store_2addr_b64 v111, v[207:208], v[209:210] offset0:134 offset1:201
	s_wait_dscnt 0x0
	s_barrier_signal -1
	s_barrier_wait -1
	global_inv scope:SCOPE_SE
	ds_load_2addr_b64 v[203:206], v112 offset1:1
	v_add_f32_e32 v207, v53, v55
	ds_load_2addr_b64 v[52:55], v112 offset0:2 offset1:3
	v_add_f32_e32 v36, v36, v38
	v_dual_add_f32 v38, v20, v16 :: v_dual_add_f32 v19, v39, v19
	v_dual_add_f32 v23, v207, v49 :: v_dual_add_f32 v22, v57, v48
	s_wait_loadcnt_dscnt 0x0
	s_delay_alu instid0(VALU_DEP_2) | instskip(SKIP_1) | instid1(VALU_DEP_2)
	v_add_f32_e32 v18, v38, v18
	s_barrier_signal -1
	v_dual_add_f32 v17, v23, v51 :: v_dual_add_f32 v16, v22, v50
	s_barrier_wait -1
	global_inv scope:SCOPE_SE
	v_add_f32_e32 v37, 0, v204
	v_add_f32_e32 v32, v36, v32
	;; [unrolled: 1-line block ×3, first 2 shown]
	s_delay_alu instid0(VALU_DEP_2) | instskip(NEXT) | instid1(VALU_DEP_2)
	v_add_f32_e32 v20, v32, v34
	v_add_f32_e32 v22, v36, v205
	;; [unrolled: 1-line block ×3, first 2 shown]
	s_delay_alu instid0(VALU_DEP_1) | instskip(NEXT) | instid1(VALU_DEP_1)
	v_add_f32_e32 v23, v36, v53
	v_dual_add_f32 v23, v23, v55 :: v_dual_add_f32 v22, v22, v52
	s_delay_alu instid0(VALU_DEP_1)
	v_add_f32_e32 v22, v22, v54
	ds_store_2addr_b64 v164, v[18:19], v[20:21] offset1:16
	ds_store_2addr_b64 v164, v[16:17], v[22:23] offset0:32 offset1:48
	s_wait_loadcnt_dscnt 0x0
	s_barrier_signal -1
	s_barrier_wait -1
	global_inv scope:SCOPE_SE
	s_wait_alu 0xfffe
	s_and_saveexec_b32 s18, s71
	s_cbranch_execz .LBB180_128
; %bb.127:                              ;   in Loop: Header=BB180_78 Depth=2
	ds_load_b64 v[36:37], v113
	ds_load_2addr_b64 v[16:19], v113 offset0:1 offset1:2
	ds_load_2addr_b64 v[20:23], v113 offset0:3 offset1:4
	;; [unrolled: 1-line block ×3, first 2 shown]
	s_wait_dscnt 0x2
	v_dual_add_f32 v16, v16, v36 :: v_dual_add_f32 v17, v17, v37
	s_delay_alu instid0(VALU_DEP_1) | instskip(SKIP_3) | instid1(VALU_DEP_1)
	v_dual_add_f32 v36, v18, v16 :: v_dual_add_f32 v37, v19, v17
	ds_load_2addr_b64 v[16:19], v113 offset0:7 offset1:8
	s_wait_dscnt 0x2
	v_dual_add_f32 v20, v36, v20 :: v_dual_add_f32 v21, v37, v21
	v_dual_add_f32 v36, v20, v22 :: v_dual_add_f32 v37, v21, v23
	ds_load_2addr_b64 v[20:23], v113 offset0:9 offset1:10
	s_wait_dscnt 0x2
	v_dual_add_f32 v32, v36, v32 :: v_dual_add_f32 v33, v37, v33
	s_delay_alu instid0(VALU_DEP_1) | instskip(SKIP_3) | instid1(VALU_DEP_1)
	v_dual_add_f32 v36, v32, v34 :: v_dual_add_f32 v37, v33, v35
	ds_load_2addr_b64 v[32:35], v113 offset0:11 offset1:12
	s_wait_dscnt 0x2
	v_dual_add_f32 v16, v36, v16 :: v_dual_add_f32 v17, v37, v17
	v_dual_add_f32 v36, v16, v18 :: v_dual_add_f32 v37, v17, v19
	ds_load_2addr_b64 v[16:19], v113 offset0:13 offset1:14
	s_wait_dscnt 0x2
	v_dual_add_f32 v20, v36, v20 :: v_dual_add_f32 v21, v37, v21
	s_delay_alu instid0(VALU_DEP_1) | instskip(SKIP_3) | instid1(VALU_DEP_1)
	v_dual_add_f32 v22, v20, v22 :: v_dual_add_f32 v23, v21, v23
	ds_load_b64 v[20:21], v114
	s_wait_dscnt 0x2
	v_dual_add_f32 v22, v22, v32 :: v_dual_add_f32 v23, v23, v33
	v_dual_add_f32 v32, v22, v34 :: v_dual_add_f32 v23, v23, v35
	s_wait_dscnt 0x1
	s_delay_alu instid0(VALU_DEP_1) | instskip(NEXT) | instid1(VALU_DEP_2)
	v_dual_add_f32 v17, v23, v17 :: v_dual_add_nc_u32 v22, s70, v100
	v_add_f32_e32 v16, v32, v16
	s_delay_alu instid0(VALU_DEP_2) | instskip(NEXT) | instid1(VALU_DEP_2)
	v_ashrrev_i32_e32 v23, 31, v22
	v_dual_add_f32 v19, v17, v19 :: v_dual_add_f32 v18, v16, v18
	s_delay_alu instid0(VALU_DEP_2) | instskip(SKIP_1) | instid1(VALU_DEP_2)
	v_lshlrev_b64_e32 v[16:17], 3, v[22:23]
	s_wait_dscnt 0x0
	v_dual_add_f32 v19, v19, v21 :: v_dual_add_f32 v18, v18, v20
	s_delay_alu instid0(VALU_DEP_2) | instskip(SKIP_1) | instid1(VALU_DEP_3)
	v_add_co_u32 v16, vcc_lo, s68, v16
	s_wait_alu 0xfffd
	v_add_co_ci_u32_e64 v17, null, s69, v17, vcc_lo
	global_store_b64 v[16:17], v[18:19], off
.LBB180_128:                            ;   in Loop: Header=BB180_78 Depth=2
	s_wait_alu 0xfffe
	s_or_b32 exec_lo, exec_lo, s18
	v_dual_mul_f32 v16, v1, v71 :: v_dual_mul_f32 v17, v3, v69
	v_dual_mul_f32 v3, v3, v68 :: v_dual_mul_f32 v18, v5, v73
	v_add_co_u32 v171, vcc_lo, v171, s58
	s_delay_alu instid0(VALU_DEP_3)
	v_fma_f32 v16, v0, v70, -v16
	v_mul_f32_e32 v1, v1, v70
	v_fma_f32 v17, v2, v68, -v17
	v_fmac_f32_e32 v3, v2, v69
	s_wait_alu 0xfffd
	v_add_co_ci_u32_e64 v172, null, s59, v172, vcc_lo
	v_add_f32_e32 v16, v66, v16
	v_mul_f32_e32 v5, v5, v72
	v_fmac_f32_e32 v1, v0, v71
	v_fma_f32 v0, v4, v72, -v18
	v_mul_f32_e32 v20, v9, v79
	v_dual_add_f32 v16, v16, v17 :: v_dual_mul_f32 v19, v7, v75
	v_mul_f32_e32 v7, v7, v74
	v_fmac_f32_e32 v5, v4, v73
	v_add_co_u32 v173, vcc_lo, v173, s58
	s_delay_alu instid0(VALU_DEP_4)
	v_add_f32_e32 v0, v16, v0
	v_fma_f32 v2, v6, v74, -v19
	v_mul_f32_e32 v17, v11, v77
	v_fmac_f32_e32 v7, v6, v75
	s_wait_alu 0xfffd
	v_add_co_ci_u32_e64 v174, null, s59, v174, vcc_lo
	v_add_f32_e32 v0, v0, v2
	v_mul_f32_e32 v2, v13, v81
	v_add_f32_e32 v1, v67, v1
	v_fma_f32 v4, v10, v76, -v17
	v_add_co_u32 v175, vcc_lo, v175, s58
	s_delay_alu instid0(VALU_DEP_4) | instskip(NEXT) | instid1(VALU_DEP_4)
	v_fma_f32 v2, v12, v80, -v2
	v_add_f32_e32 v1, v1, v3
	v_fma_f32 v3, v8, v78, -v20
	v_mul_f32_e32 v9, v9, v78
	s_wait_alu 0xfffd
	v_add_co_ci_u32_e64 v176, null, s59, v176, vcc_lo
	v_add_co_u32 v177, vcc_lo, v177, s58
	v_add_f32_e32 v0, v0, v3
	v_fmac_f32_e32 v9, v8, v79
	s_wait_alu 0xfffd
	v_add_co_ci_u32_e64 v178, null, s59, v178, vcc_lo
	v_add_co_u32 v179, vcc_lo, v179, s58
	v_add_f32_e32 v0, v0, v4
	v_mul_f32_e32 v11, v11, v76
	v_mul_f32_e32 v4, v13, v80
	s_wait_alu 0xfffd
	v_add_co_ci_u32_e64 v180, null, s59, v180, vcc_lo
	v_add_f32_e32 v0, v0, v2
	v_mul_f32_e32 v2, v25, v87
	v_fmac_f32_e32 v4, v12, v81
	v_fmac_f32_e32 v11, v10, v77
	v_add_co_u32 v181, vcc_lo, v181, s58
	s_delay_alu instid0(VALU_DEP_4) | instskip(SKIP_4) | instid1(VALU_DEP_3)
	v_fma_f32 v2, v24, v86, -v2
	v_mul_f32_e32 v3, v15, v83
	s_wait_alu 0xfffd
	v_add_co_ci_u32_e64 v182, null, s59, v182, vcc_lo
	v_add_co_u32 v183, vcc_lo, v183, s58
	v_fma_f32 v3, v14, v82, -v3
	v_add_f32_e32 v1, v1, v5
	v_mul_f32_e32 v5, v15, v82
	s_wait_alu 0xfffd
	v_add_co_ci_u32_e64 v184, null, s59, v184, vcc_lo
	v_dual_add_f32 v0, v0, v3 :: v_dual_mul_f32 v3, v27, v85
	s_delay_alu instid0(VALU_DEP_3) | instskip(SKIP_1) | instid1(VALU_DEP_3)
	v_fmac_f32_e32 v5, v14, v83
	v_add_co_u32 v185, vcc_lo, v185, s58
	v_add_f32_e32 v0, v0, v2
	s_delay_alu instid0(VALU_DEP_4)
	v_fma_f32 v2, v26, v84, -v3
	v_mul_f32_e32 v3, v29, v89
	v_add_f32_e32 v1, v1, v7
	s_wait_alu 0xfffd
	v_add_co_ci_u32_e64 v186, null, s59, v186, vcc_lo
	v_add_f32_e32 v0, v0, v2
	v_fma_f32 v2, v28, v88, -v3
	v_mul_f32_e32 v3, v31, v91
	v_dual_add_f32 v1, v1, v9 :: v_dual_mul_f32 v6, v47, v98
	v_add_co_u32 v187, vcc_lo, v187, s58
	s_delay_alu instid0(VALU_DEP_4) | instskip(NEXT) | instid1(VALU_DEP_4)
	v_add_f32_e32 v0, v0, v2
	v_fma_f32 v2, v30, v90, -v3
	v_mul_f32_e32 v3, v41, v95
	v_add_f32_e32 v1, v1, v11
	v_fmac_f32_e32 v6, v46, v99
	s_wait_alu 0xfffd
	v_add_co_ci_u32_e64 v188, null, s59, v188, vcc_lo
	v_add_f32_e32 v0, v0, v2
	v_fma_f32 v2, v40, v94, -v3
	v_mul_f32_e32 v3, v43, v93
	v_add_f32_e32 v1, v1, v4
	v_mul_f32_e32 v4, v25, v86
	v_add_co_u32 v189, vcc_lo, v189, s58
	v_add_f32_e32 v0, v0, v2
	v_fma_f32 v2, v42, v92, -v3
	s_delay_alu instid0(VALU_DEP_4)
	v_dual_add_f32 v1, v1, v5 :: v_dual_fmac_f32 v4, v24, v87
	v_mul_f32_e32 v3, v43, v92
	s_wait_alu 0xfffd
	v_add_co_ci_u32_e64 v190, null, s59, v190, vcc_lo
	v_add_f32_e32 v0, v0, v2
	v_mul_f32_e32 v2, v45, v96
	v_mul_f32_e32 v5, v27, v84
	v_add_f32_e32 v1, v1, v4
	v_dual_mul_f32 v4, v29, v88 :: v_dual_fmac_f32 v3, v42, v93
	s_delay_alu instid0(VALU_DEP_4) | instskip(NEXT) | instid1(VALU_DEP_4)
	v_fmac_f32_e32 v2, v44, v97
	v_fmac_f32_e32 v5, v26, v85
	v_add_co_u32 v191, vcc_lo, v191, s58
	s_delay_alu instid0(VALU_DEP_4)
	v_fmac_f32_e32 v4, v28, v89
	s_wait_alu 0xfffd
	v_add_co_ci_u32_e64 v192, null, s59, v192, vcc_lo
	v_add_f32_e32 v1, v1, v5
	v_mul_f32_e32 v5, v31, v90
	v_add_co_u32 v193, vcc_lo, v193, s58
	s_wait_alu 0xfffd
	v_add_co_ci_u32_e64 v194, null, s59, v194, vcc_lo
	v_add_f32_e32 v1, v1, v4
	v_dual_fmac_f32 v5, v30, v91 :: v_dual_mul_f32 v4, v41, v94
	v_add_co_u32 v195, vcc_lo, v195, s58
	s_wait_alu 0xfffd
	v_add_co_ci_u32_e64 v196, null, s59, v196, vcc_lo
	s_delay_alu instid0(VALU_DEP_3)
	v_dual_add_f32 v1, v1, v5 :: v_dual_fmac_f32 v4, v40, v95
	v_mul_f32_e32 v5, v45, v97
	v_add_co_u32 v197, vcc_lo, v197, s58
	s_wait_alu 0xfffd
	v_add_co_ci_u32_e64 v198, null, s59, v198, vcc_lo
	v_add_f32_e32 v1, v1, v4
	v_fma_f32 v4, v44, v96, -v5
	v_mul_f32_e32 v5, v47, v99
	v_add_co_u32 v199, vcc_lo, v199, s58
	s_delay_alu instid0(VALU_DEP_3) | instskip(NEXT) | instid1(VALU_DEP_3)
	v_dual_add_f32 v1, v1, v3 :: v_dual_add_f32 v0, v0, v4
	v_fma_f32 v3, v46, v98, -v5
	s_wait_alu 0xfffd
	v_add_co_ci_u32_e64 v200, null, s59, v200, vcc_lo
	s_delay_alu instid0(VALU_DEP_3)
	v_add_f32_e32 v1, v1, v2
	v_add_co_u32 v201, vcc_lo, v201, s58
	v_add_f32_e32 v66, v0, v3
	s_wait_alu 0xfffd
	v_add_co_ci_u32_e64 v202, null, s59, v202, vcc_lo
	v_add_f32_e32 v67, v1, v6
	s_add_co_i32 s18, s19, 1
	s_add_co_i32 s19, s19, 2
	s_add_co_i32 s70, s70, 64
	s_wait_alu 0xfffe
	s_cmp_ge_u32 s19, s42
	s_wait_loadcnt 0x0
	s_wait_storecnt 0x0
	s_barrier_signal -1
	s_barrier_wait -1
	global_inv scope:SCOPE_SE
	s_cbranch_scc1 .LBB180_130
; %bb.129:                              ;   in Loop: Header=BB180_78 Depth=2
	s_mov_b32 s19, s18
	s_wait_alu 0xfffe
	s_cmp_eq_u32 s75, s19
	s_cselect_b32 s78, s72, 0
	s_and_saveexec_b32 s18, s0
	s_cbranch_execnz .LBB180_74
	s_branch .LBB180_78
.LBB180_130:                            ;   in Loop: Header=BB180_4 Depth=1
	ds_store_b64 v130, v[66:67]
	s_wait_loadcnt_dscnt 0x0
	s_barrier_signal -1
	s_barrier_wait -1
	global_inv scope:SCOPE_SE
	s_and_saveexec_b32 s18, s76
	s_cbranch_execz .LBB180_2
; %bb.131:                              ;   in Loop: Header=BB180_4 Depth=1
	ds_load_2addr_b64 v[0:3], v101 offset1:67
	ds_load_2addr_b64 v[4:7], v101 offset0:134 offset1:201
	s_wait_dscnt 0x1
	v_dual_add_f32 v0, v2, v0 :: v_dual_add_f32 v1, v3, v1
	s_wait_alu 0xfffe
	v_add_co_u32 v2, vcc_lo, s68, v62
	s_wait_alu 0xfffd
	v_add_co_ci_u32_e64 v3, null, s69, v63, vcc_lo
	s_wait_dscnt 0x0
	v_dual_add_f32 v0, v4, v0 :: v_dual_add_f32 v1, v5, v1
	s_delay_alu instid0(VALU_DEP_1)
	v_dual_add_f32 v0, v0, v6 :: v_dual_add_f32 v1, v1, v7
	global_store_b64 v[2:3], v[0:1], off
	s_branch .LBB180_2
.LBB180_132:                            ;   in Loop: Header=BB180_4 Depth=1
	ds_load_b64 v[2:3], v167
	s_wait_dscnt 0x0
	ds_store_b64 v103, v[2:3]
	s_wait_alu 0xfffe
	s_or_b32 exec_lo, exec_lo, s18
	s_and_saveexec_b32 s18, s7
	s_cbranch_execz .LBB180_28
.LBB180_133:                            ;   in Loop: Header=BB180_4 Depth=1
	ds_load_b64 v[2:3], v168
	s_wait_dscnt 0x0
	ds_store_b64 v103, v[2:3] offset:8
	s_wait_alu 0xfffe
	s_or_b32 exec_lo, exec_lo, s18
	s_and_saveexec_b32 s18, s8
	s_cbranch_execz .LBB180_29
.LBB180_134:                            ;   in Loop: Header=BB180_4 Depth=1
	ds_load_b64 v[2:3], v168 offset:264
	s_wait_dscnt 0x0
	ds_store_b64 v103, v[2:3] offset:16
	s_wait_alu 0xfffe
	s_or_b32 exec_lo, exec_lo, s18
	s_and_saveexec_b32 s18, s9
	s_cbranch_execnz .LBB180_30
	s_branch .LBB180_31
.LBB180_135:                            ;   in Loop: Header=BB180_4 Depth=1
	ds_load_b64 v[2:3], v167
	s_wait_dscnt 0x0
	ds_store_b64 v103, v[2:3]
	s_wait_alu 0xfffe
	s_or_b32 exec_lo, exec_lo, s18
	s_and_saveexec_b32 s18, s7
	s_cbranch_execz .LBB180_49
.LBB180_136:                            ;   in Loop: Header=BB180_4 Depth=1
	ds_load_b64 v[2:3], v168
	s_wait_dscnt 0x0
	ds_store_b64 v103, v[2:3] offset:8
	s_wait_alu 0xfffe
	s_or_b32 exec_lo, exec_lo, s18
	s_and_saveexec_b32 s18, s8
	s_cbranch_execz .LBB180_50
.LBB180_137:                            ;   in Loop: Header=BB180_4 Depth=1
	ds_load_b64 v[2:3], v168 offset:264
	s_wait_dscnt 0x0
	ds_store_b64 v103, v[2:3] offset:16
	s_wait_alu 0xfffe
	s_or_b32 exec_lo, exec_lo, s18
	s_and_saveexec_b32 s18, s9
	s_cbranch_execnz .LBB180_51
	s_branch .LBB180_52
.LBB180_138:                            ;   in Loop: Header=BB180_4 Depth=1
	flat_load_b64 v[4:5], v[0:1]
	s_wait_loadcnt_dscnt 0x0
	ds_store_b64 v165, v[4:5]
	s_or_b32 exec_lo, exec_lo, s18
	s_and_saveexec_b32 s18, s3
	s_wait_alu 0xfffe
	s_xor_b32 s18, exec_lo, s18
	s_cbranch_execz .LBB180_17
.LBB180_139:                            ;   in Loop: Header=BB180_4 Depth=1
	v_mov_b32_e32 v57, v56
	ds_store_b64 v165, v[56:57] offset:2112
	s_wait_alu 0xfffe
	s_and_not1_saveexec_b32 s18, s18
	s_cbranch_execz .LBB180_18
.LBB180_140:                            ;   in Loop: Header=BB180_4 Depth=1
	v_add_co_u32 v4, vcc_lo, v0, s50
	s_wait_alu 0xfffd
	v_add_co_ci_u32_e64 v5, null, s51, v1, vcc_lo
	flat_load_b64 v[4:5], v[4:5]
	s_wait_loadcnt_dscnt 0x0
	ds_store_b64 v165, v[4:5] offset:2112
	s_wait_alu 0xfffe
	s_or_b32 exec_lo, exec_lo, s18
	s_and_saveexec_b32 s18, s4
	s_wait_alu 0xfffe
	s_xor_b32 s18, exec_lo, s18
	s_cbranch_execz .LBB180_19
.LBB180_141:                            ;   in Loop: Header=BB180_4 Depth=1
	v_mov_b32_e32 v57, v56
	ds_store_b64 v165, v[56:57] offset:4224
	s_wait_alu 0xfffe
	s_and_not1_saveexec_b32 s18, s18
	s_cbranch_execz .LBB180_20
.LBB180_142:                            ;   in Loop: Header=BB180_4 Depth=1
	v_add_co_u32 v4, vcc_lo, v0, s52
	s_wait_alu 0xfffd
	v_add_co_ci_u32_e64 v5, null, s53, v1, vcc_lo
	flat_load_b64 v[4:5], v[4:5]
	s_wait_loadcnt_dscnt 0x0
	ds_store_b64 v165, v[4:5] offset:4224
	s_wait_alu 0xfffe
	s_or_b32 exec_lo, exec_lo, s18
	s_and_saveexec_b32 s18, s5
	s_wait_alu 0xfffe
	s_xor_b32 s18, exec_lo, s18
	s_cbranch_execz .LBB180_21
.LBB180_143:                            ;   in Loop: Header=BB180_4 Depth=1
	v_mov_b32_e32 v57, v56
	ds_store_b64 v165, v[56:57] offset:6336
	s_wait_alu 0xfffe
	s_and_not1_saveexec_b32 s18, s18
	s_cbranch_execnz .LBB180_22
	s_branch .LBB180_23
.LBB180_144:                            ;   in Loop: Header=BB180_4 Depth=1
	flat_load_b64 v[6:7], v[0:1]
	s_wait_loadcnt_dscnt 0x0
	ds_store_b64 v165, v[6:7]
	s_or_b32 exec_lo, exec_lo, s18
	s_and_saveexec_b32 s18, s13
	s_wait_alu 0xfffe
	s_xor_b32 s18, exec_lo, s18
	s_cbranch_execz .LBB180_38
.LBB180_145:                            ;   in Loop: Header=BB180_4 Depth=1
	v_mov_b32_e32 v57, v56
	ds_store_b64 v165, v[56:57] offset:2112
	s_wait_alu 0xfffe
	s_and_not1_saveexec_b32 s18, s18
	s_cbranch_execz .LBB180_39
.LBB180_146:                            ;   in Loop: Header=BB180_4 Depth=1
	v_add_co_u32 v6, vcc_lo, v0, s50
	s_wait_alu 0xfffd
	v_add_co_ci_u32_e64 v7, null, s51, v1, vcc_lo
	flat_load_b64 v[6:7], v[6:7]
	s_wait_loadcnt_dscnt 0x0
	ds_store_b64 v165, v[6:7] offset:2112
	s_wait_alu 0xfffe
	s_or_b32 exec_lo, exec_lo, s18
	s_and_saveexec_b32 s18, s14
	s_wait_alu 0xfffe
	s_xor_b32 s18, exec_lo, s18
	s_cbranch_execz .LBB180_40
.LBB180_147:                            ;   in Loop: Header=BB180_4 Depth=1
	v_mov_b32_e32 v57, v56
	ds_store_b64 v165, v[56:57] offset:4224
	s_wait_alu 0xfffe
	s_and_not1_saveexec_b32 s18, s18
	s_cbranch_execz .LBB180_41
.LBB180_148:                            ;   in Loop: Header=BB180_4 Depth=1
	v_add_co_u32 v6, vcc_lo, v0, s52
	s_wait_alu 0xfffd
	v_add_co_ci_u32_e64 v7, null, s53, v1, vcc_lo
	flat_load_b64 v[6:7], v[6:7]
	s_wait_loadcnt_dscnt 0x0
	ds_store_b64 v165, v[6:7] offset:4224
	s_wait_alu 0xfffe
	s_or_b32 exec_lo, exec_lo, s18
	s_and_saveexec_b32 s18, s15
	s_wait_alu 0xfffe
	s_xor_b32 s18, exec_lo, s18
	s_cbranch_execz .LBB180_42
.LBB180_149:                            ;   in Loop: Header=BB180_4 Depth=1
	v_mov_b32_e32 v57, v56
	ds_store_b64 v165, v[56:57] offset:6336
	s_wait_alu 0xfffe
	s_and_not1_saveexec_b32 s18, s18
	s_cbranch_execnz .LBB180_43
	s_branch .LBB180_44
.LBB180_150:                            ;   in Loop: Header=BB180_4 Depth=1
	flat_load_b64 v[6:7], v[4:5]
	s_wait_loadcnt_dscnt 0x0
	ds_store_b64 v165, v[6:7]
	s_or_b32 exec_lo, exec_lo, s18
	s_and_saveexec_b32 s18, s13
	s_wait_alu 0xfffe
	s_xor_b32 s18, exec_lo, s18
	s_cbranch_execz .LBB180_59
.LBB180_151:                            ;   in Loop: Header=BB180_4 Depth=1
	v_mov_b32_e32 v57, v56
	ds_store_b64 v165, v[56:57] offset:2112
	s_wait_alu 0xfffe
	s_and_not1_saveexec_b32 s18, s18
	s_cbranch_execz .LBB180_60
.LBB180_152:                            ;   in Loop: Header=BB180_4 Depth=1
	v_add_co_u32 v6, vcc_lo, v4, s50
	s_wait_alu 0xfffd
	v_add_co_ci_u32_e64 v7, null, s51, v5, vcc_lo
	flat_load_b64 v[6:7], v[6:7]
	s_wait_loadcnt_dscnt 0x0
	ds_store_b64 v165, v[6:7] offset:2112
	s_wait_alu 0xfffe
	s_or_b32 exec_lo, exec_lo, s18
	s_and_saveexec_b32 s18, s14
	s_wait_alu 0xfffe
	s_xor_b32 s18, exec_lo, s18
	s_cbranch_execz .LBB180_61
.LBB180_153:                            ;   in Loop: Header=BB180_4 Depth=1
	v_mov_b32_e32 v57, v56
	ds_store_b64 v165, v[56:57] offset:4224
	s_wait_alu 0xfffe
	s_and_not1_saveexec_b32 s18, s18
	s_cbranch_execz .LBB180_62
.LBB180_154:                            ;   in Loop: Header=BB180_4 Depth=1
	v_add_co_u32 v6, vcc_lo, v4, s52
	s_wait_alu 0xfffd
	v_add_co_ci_u32_e64 v7, null, s53, v5, vcc_lo
	flat_load_b64 v[6:7], v[6:7]
	s_wait_loadcnt_dscnt 0x0
	ds_store_b64 v165, v[6:7] offset:4224
	s_wait_alu 0xfffe
	s_or_b32 exec_lo, exec_lo, s18
	s_and_saveexec_b32 s18, s15
	s_wait_alu 0xfffe
	s_xor_b32 s18, exec_lo, s18
	s_cbranch_execz .LBB180_63
.LBB180_155:                            ;   in Loop: Header=BB180_4 Depth=1
	v_mov_b32_e32 v57, v56
	ds_store_b64 v165, v[56:57] offset:6336
	s_wait_alu 0xfffe
	s_and_not1_saveexec_b32 s18, s18
	s_cbranch_execnz .LBB180_64
	s_branch .LBB180_65
.LBB180_156:
	s_nop 0
	s_sendmsg sendmsg(MSG_DEALLOC_VGPRS)
	s_endpgm
	.section	.rodata,"a",@progbits
	.p2align	6, 0x0
	.amdhsa_kernel _ZL26rocblas_hemvn_kernel_upperILb0ELi64ELi4ELi33ELi32ELi16ElPK19rocblas_complex_numIfEPKS3_PS1_EviT6_lT7_lT5_lS8_lS9_lS7_lT8_i
		.amdhsa_group_segment_fixed_size 9600
		.amdhsa_private_segment_fixed_size 0
		.amdhsa_kernarg_size 376
		.amdhsa_user_sgpr_count 2
		.amdhsa_user_sgpr_dispatch_ptr 0
		.amdhsa_user_sgpr_queue_ptr 0
		.amdhsa_user_sgpr_kernarg_segment_ptr 1
		.amdhsa_user_sgpr_dispatch_id 0
		.amdhsa_user_sgpr_private_segment_size 0
		.amdhsa_wavefront_size32 1
		.amdhsa_uses_dynamic_stack 0
		.amdhsa_enable_private_segment 0
		.amdhsa_system_sgpr_workgroup_id_x 1
		.amdhsa_system_sgpr_workgroup_id_y 0
		.amdhsa_system_sgpr_workgroup_id_z 1
		.amdhsa_system_sgpr_workgroup_info 0
		.amdhsa_system_vgpr_workitem_id 1
		.amdhsa_next_free_vgpr 211
		.amdhsa_next_free_sgpr 82
		.amdhsa_reserve_vcc 1
		.amdhsa_float_round_mode_32 0
		.amdhsa_float_round_mode_16_64 0
		.amdhsa_float_denorm_mode_32 3
		.amdhsa_float_denorm_mode_16_64 3
		.amdhsa_fp16_overflow 0
		.amdhsa_workgroup_processor_mode 1
		.amdhsa_memory_ordered 1
		.amdhsa_forward_progress 1
		.amdhsa_inst_pref_size 89
		.amdhsa_round_robin_scheduling 0
		.amdhsa_exception_fp_ieee_invalid_op 0
		.amdhsa_exception_fp_denorm_src 0
		.amdhsa_exception_fp_ieee_div_zero 0
		.amdhsa_exception_fp_ieee_overflow 0
		.amdhsa_exception_fp_ieee_underflow 0
		.amdhsa_exception_fp_ieee_inexact 0
		.amdhsa_exception_int_div_zero 0
	.end_amdhsa_kernel
	.section	.text._ZL26rocblas_hemvn_kernel_upperILb0ELi64ELi4ELi33ELi32ELi16ElPK19rocblas_complex_numIfEPKS3_PS1_EviT6_lT7_lT5_lS8_lS9_lS7_lT8_i,"axG",@progbits,_ZL26rocblas_hemvn_kernel_upperILb0ELi64ELi4ELi33ELi32ELi16ElPK19rocblas_complex_numIfEPKS3_PS1_EviT6_lT7_lT5_lS8_lS9_lS7_lT8_i,comdat
.Lfunc_end180:
	.size	_ZL26rocblas_hemvn_kernel_upperILb0ELi64ELi4ELi33ELi32ELi16ElPK19rocblas_complex_numIfEPKS3_PS1_EviT6_lT7_lT5_lS8_lS9_lS7_lT8_i, .Lfunc_end180-_ZL26rocblas_hemvn_kernel_upperILb0ELi64ELi4ELi33ELi32ELi16ElPK19rocblas_complex_numIfEPKS3_PS1_EviT6_lT7_lT5_lS8_lS9_lS7_lT8_i
                                        ; -- End function
	.set _ZL26rocblas_hemvn_kernel_upperILb0ELi64ELi4ELi33ELi32ELi16ElPK19rocblas_complex_numIfEPKS3_PS1_EviT6_lT7_lT5_lS8_lS9_lS7_lT8_i.num_vgpr, 211
	.set _ZL26rocblas_hemvn_kernel_upperILb0ELi64ELi4ELi33ELi32ELi16ElPK19rocblas_complex_numIfEPKS3_PS1_EviT6_lT7_lT5_lS8_lS9_lS7_lT8_i.num_agpr, 0
	.set _ZL26rocblas_hemvn_kernel_upperILb0ELi64ELi4ELi33ELi32ELi16ElPK19rocblas_complex_numIfEPKS3_PS1_EviT6_lT7_lT5_lS8_lS9_lS7_lT8_i.numbered_sgpr, 82
	.set _ZL26rocblas_hemvn_kernel_upperILb0ELi64ELi4ELi33ELi32ELi16ElPK19rocblas_complex_numIfEPKS3_PS1_EviT6_lT7_lT5_lS8_lS9_lS7_lT8_i.num_named_barrier, 0
	.set _ZL26rocblas_hemvn_kernel_upperILb0ELi64ELi4ELi33ELi32ELi16ElPK19rocblas_complex_numIfEPKS3_PS1_EviT6_lT7_lT5_lS8_lS9_lS7_lT8_i.private_seg_size, 0
	.set _ZL26rocblas_hemvn_kernel_upperILb0ELi64ELi4ELi33ELi32ELi16ElPK19rocblas_complex_numIfEPKS3_PS1_EviT6_lT7_lT5_lS8_lS9_lS7_lT8_i.uses_vcc, 1
	.set _ZL26rocblas_hemvn_kernel_upperILb0ELi64ELi4ELi33ELi32ELi16ElPK19rocblas_complex_numIfEPKS3_PS1_EviT6_lT7_lT5_lS8_lS9_lS7_lT8_i.uses_flat_scratch, 1
	.set _ZL26rocblas_hemvn_kernel_upperILb0ELi64ELi4ELi33ELi32ELi16ElPK19rocblas_complex_numIfEPKS3_PS1_EviT6_lT7_lT5_lS8_lS9_lS7_lT8_i.has_dyn_sized_stack, 0
	.set _ZL26rocblas_hemvn_kernel_upperILb0ELi64ELi4ELi33ELi32ELi16ElPK19rocblas_complex_numIfEPKS3_PS1_EviT6_lT7_lT5_lS8_lS9_lS7_lT8_i.has_recursion, 0
	.set _ZL26rocblas_hemvn_kernel_upperILb0ELi64ELi4ELi33ELi32ELi16ElPK19rocblas_complex_numIfEPKS3_PS1_EviT6_lT7_lT5_lS8_lS9_lS7_lT8_i.has_indirect_call, 0
	.section	.AMDGPU.csdata,"",@progbits
; Kernel info:
; codeLenInByte = 11340
; TotalNumSgprs: 84
; NumVgprs: 211
; ScratchSize: 0
; MemoryBound: 1
; FloatMode: 240
; IeeeMode: 1
; LDSByteSize: 9600 bytes/workgroup (compile time only)
; SGPRBlocks: 0
; VGPRBlocks: 26
; NumSGPRsForWavesPerEU: 84
; NumVGPRsForWavesPerEU: 211
; Occupancy: 7
; WaveLimiterHint : 1
; COMPUTE_PGM_RSRC2:SCRATCH_EN: 0
; COMPUTE_PGM_RSRC2:USER_SGPR: 2
; COMPUTE_PGM_RSRC2:TRAP_HANDLER: 0
; COMPUTE_PGM_RSRC2:TGID_X_EN: 1
; COMPUTE_PGM_RSRC2:TGID_Y_EN: 0
; COMPUTE_PGM_RSRC2:TGID_Z_EN: 1
; COMPUTE_PGM_RSRC2:TIDIG_COMP_CNT: 1
	.section	.text._ZL26rocblas_hemvn_kernel_upperILb0ELi64ELi4ELi33ELi32ELi16EiPK19rocblas_complex_numIfEPKS3_PS1_EviT6_lT7_lT5_lS8_lS9_lS7_lT8_i,"axG",@progbits,_ZL26rocblas_hemvn_kernel_upperILb0ELi64ELi4ELi33ELi32ELi16EiPK19rocblas_complex_numIfEPKS3_PS1_EviT6_lT7_lT5_lS8_lS9_lS7_lT8_i,comdat
	.globl	_ZL26rocblas_hemvn_kernel_upperILb0ELi64ELi4ELi33ELi32ELi16EiPK19rocblas_complex_numIfEPKS3_PS1_EviT6_lT7_lT5_lS8_lS9_lS7_lT8_i ; -- Begin function _ZL26rocblas_hemvn_kernel_upperILb0ELi64ELi4ELi33ELi32ELi16EiPK19rocblas_complex_numIfEPKS3_PS1_EviT6_lT7_lT5_lS8_lS9_lS7_lT8_i
	.p2align	8
	.type	_ZL26rocblas_hemvn_kernel_upperILb0ELi64ELi4ELi33ELi32ELi16EiPK19rocblas_complex_numIfEPKS3_PS1_EviT6_lT7_lT5_lS8_lS9_lS7_lT8_i,@function
_ZL26rocblas_hemvn_kernel_upperILb0ELi64ELi4ELi33ELi32ELi16EiPK19rocblas_complex_numIfEPKS3_PS1_EviT6_lT7_lT5_lS8_lS9_lS7_lT8_i: ; @_ZL26rocblas_hemvn_kernel_upperILb0ELi64ELi4ELi33ELi32ELi16EiPK19rocblas_complex_numIfEPKS3_PS1_EviT6_lT7_lT5_lS8_lS9_lS7_lT8_i
; %bb.0:
	s_clause 0x1
	s_load_b64 s[2:3], s[0:1], 0x84
	s_load_b32 s33, s[0:1], 0x70
	s_lshr_b32 s34, ttmp7, 16
	s_wait_kmcnt 0x0
	s_lshr_b32 s4, s2, 16
	s_and_b32 s2, s2, 0xffff
	s_and_b32 s3, s3, 0xffff
	s_mul_i32 s2, s4, s2
	s_delay_alu instid0(SALU_CYCLE_1) | instskip(NEXT) | instid1(SALU_CYCLE_1)
	s_mul_i32 s2, s2, s3
	s_cmp_lg_u32 s2, 0x100
	s_cselect_b32 s2, -1, 0
	s_cmp_ge_u32 s34, s33
	s_cselect_b32 s3, -1, 0
	s_delay_alu instid0(SALU_CYCLE_1) | instskip(NEXT) | instid1(SALU_CYCLE_1)
	s_or_b32 s2, s2, s3
	s_and_b32 vcc_lo, exec_lo, s2
	s_cbranch_vccnz .LBB181_156
; %bb.1:
	s_load_b32 s2, s[0:1], 0x0
	s_add_nc_u64 s[6:7], s[0:1], 0x78
	s_load_b32 s56, s[0:1], 0x28
	s_load_b32 s40, s[6:7], 0x0
	s_clause 0x4
	s_load_b256 s[20:27], s[0:1], 0x8
	s_load_b128 s[28:31], s[0:1], 0x38
	s_load_b32 s58, s[0:1], 0x48
	s_load_b64 s[6:7], s[0:1], 0x68
	s_load_b128 s[36:39], s[0:1], 0x58
	v_dual_mov_b32 v57, 0 :: v_dual_and_b32 v56, 0x3ff, v0
	v_bfe_u32 v3, v0, 10, 10
	s_lshl_b32 s18, ttmp9, 6
	v_and_b32_e32 v1, 31, v0
	s_mov_b32 s4, ttmp9
	s_mov_b32 s35, 0
	v_lshl_add_u32 v12, v3, 6, v56
	v_add_nc_u32_e32 v2, s18, v56
	v_lshlrev_b32_e32 v13, 3, v1
	s_mov_b32 s41, s35
	v_lshlrev_b32_e32 v111, 2, v3
	v_lshrrev_b32_e32 v10, 5, v12
	s_wait_kmcnt 0x0
	s_ashr_i32 s57, s56, 31
	s_add_co_i32 s1, s40, -1
	v_lshl_or_b32 v18, v1, 8, v13
	v_and_b32_e32 v19, 0x7fe0, v12
	s_ashr_i32 s3, s2, 31
	v_add_nc_u32_e32 v11, 8, v10
	s_lshr_b32 s0, s3, 26
	s_mul_u64 s[44:45], s[40:41], s[2:3]
	s_add_co_i32 s0, s2, s0
	v_mad_co_u64_u32 v[6:7], null, s56, v10, v[1:2]
	s_and_not1_b32 s0, s0, 63
	v_mul_u32_u24_e32 v14, 0x108, v10
	s_sub_co_i32 s72, s2, s0
	s_cmp_eq_u32 ttmp9, s1
	v_add_nc_u32_e32 v15, 16, v10
	s_cselect_b32 s42, s72, 0
	v_add_nc_u32_e32 v16, 24, v10
	s_cmp_lg_u32 s42, 0
	v_lshlrev_b32_e32 v17, 2, v10
	s_cselect_b32 s73, -1, 0
	s_cmp_eq_u32 s42, 0
	v_add_nc_u32_e32 v107, v18, v19
	s_cselect_b32 s1, -1, 0
	s_ashr_i32 s5, ttmp9, 31
	s_sub_co_i32 s15, s42, 32
	s_mul_u64 s[4:5], s[2:3], s[4:5]
	v_mul_u32_u24_e32 v18, 0x420, v10
	s_lshl_b64 s[2:3], s[4:5], 3
	v_lshlrev_b32_e32 v23, 3, v10
	s_add_nc_u64 s[46:47], s[6:7], s[2:3]
	v_sub_co_u32 v8, s2, 0, v1
	s_delay_alu instid0(VALU_DEP_1)
	v_sub_co_ci_u32_e64 v9, null, 0, 0, s2
	v_cmp_le_i32_e64 s2, s42, v10
	v_cmp_le_i32_e64 s3, s42, v11
	;; [unrolled: 1-line block ×4, first 2 shown]
	v_cmp_eq_u32_e64 s16, 1, v10
	v_mul_i32_i24_e32 v112, 0xffffffe8, v10
	v_mad_co_u64_u32 v[10:11], null, s56, v111, v[56:57]
	v_cmp_gt_i32_e32 vcc_lo, s42, v56
	v_ashrrev_i32_e32 v7, 31, v6
	v_cmp_eq_u32_e64 s0, 0, v3
	s_mul_i32 s64, s56, s18
	s_lshl_b32 s48, s56, 3
	s_or_b32 s54, s1, vcc_lo
	v_ashrrev_i32_e32 v11, 31, v10
	s_lshl_b32 s62, s56, 4
	s_mul_i32 s50, s56, 24
	s_lshl_b32 s68, s56, 5
	s_mul_i32 s52, s58, s18
	s_add_co_i32 s59, ttmp9, 1
	v_lshlrev_b64_e32 v[59:60], 3, v[6:7]
	s_xor_b32 s41, s54, -1
	s_ashr_i32 s19, s18, 31
	s_ashr_i32 s65, s64, 31
	;; [unrolled: 1-line block ×8, first 2 shown]
	s_cmp_lt_u32 s59, s40
	v_lshlrev_b64_e32 v[6:7], 3, v[10:11]
	s_cselect_b32 s74, -1, 0
	s_lshl_b32 s60, s56, 1
	s_mul_i32 s70, s56, 3
	s_and_b32 s77, s0, s54
	s_lshl_b64 s[54:55], s[56:57], 6
	s_lshl_b64 s[80:81], s[56:57], 3
	;; [unrolled: 1-line block ×4, first 2 shown]
	v_sub_co_u32 v123, vcc_lo, 0, v59
	s_wait_alu 0xfffe
	s_add_nc_u64 s[84:85], s[82:83], s[56:57]
	s_ashr_i32 s61, s60, 31
	v_sub_co_ci_u32_e64 v124, null, 0, v60, vcc_lo
	v_add_co_u32 v125, vcc_lo, s84, v6
	s_add_nc_u64 s[86:87], s[80:81], s[56:57]
	s_ashr_i32 s71, s70, 31
	s_wait_alu 0xfffd
	v_add_co_ci_u32_e64 v126, null, s85, v7, vcc_lo
	v_add_co_u32 v127, vcc_lo, s86, v6
	s_lshl_b64 s[88:89], s[60:61], 3
	s_wait_alu 0xfffd
	v_add_co_ci_u32_e64 v128, null, s87, v7, vcc_lo
	v_add_co_u32 v129, vcc_lo, s56, v6
	s_add_nc_u64 s[60:61], s[56:57], s[88:89]
	s_lshl_b64 s[70:71], s[70:71], 3
	s_wait_alu 0xfffd
	v_add_co_ci_u32_e64 v130, null, s57, v7, vcc_lo
	v_add_co_u32 v131, vcc_lo, s60, v6
	s_add_nc_u64 s[90:91], s[56:57], s[70:71]
	s_wait_alu 0xfffd
	v_add_co_ci_u32_e64 v132, null, s61, v7, vcc_lo
	s_lshl_b64 s[60:61], s[62:63], 3
	v_add_co_u32 v133, vcc_lo, s90, v6
	s_wait_alu 0xfffd
	v_add_co_ci_u32_e64 v134, null, s91, v7, vcc_lo
	s_wait_alu 0xfffe
	s_add_nc_u64 s[90:91], s[84:85], s[60:61]
	s_add_nc_u64 s[86:87], s[86:87], s[60:61]
	s_wait_alu 0xfffe
	v_add_co_u32 v135, vcc_lo, s90, v6
	s_wait_alu 0xfffd
	v_add_co_ci_u32_e64 v136, null, s91, v7, vcc_lo
	v_add_co_u32 v137, vcc_lo, s86, v6
	s_wait_alu 0xfffd
	v_add_co_ci_u32_e64 v138, null, s87, v7, vcc_lo
	s_add_nc_u64 s[86:87], s[56:57], s[60:61]
	v_cmp_gt_u32_e64 s6, v17, v1
	s_wait_alu 0xfffe
	v_add_co_u32 v139, vcc_lo, s86, v6
	s_add_nc_u64 s[90:91], s[86:87], s[88:89]
	s_wait_alu 0xfffd
	v_add_co_ci_u32_e64 v140, null, s87, v7, vcc_lo
	s_wait_alu 0xfffe
	v_add_co_u32 v141, vcc_lo, s90, v6
	s_wait_alu 0xfffd
	v_add_co_ci_u32_e64 v142, null, s91, v7, vcc_lo
	s_add_nc_u64 s[86:87], s[86:87], s[70:71]
	s_lshl_b64 s[90:91], s[62:63], 4
	s_wait_alu 0xfffe
	v_add_co_u32 v143, vcc_lo, s86, v6
	s_add_nc_u64 s[84:85], s[84:85], s[90:91]
	s_wait_alu 0xfffd
	v_add_co_ci_u32_e64 v144, null, s87, v7, vcc_lo
	s_add_nc_u64 s[86:87], s[90:91], s[56:57]
	s_wait_alu 0xfffe
	v_add_co_u32 v145, vcc_lo, s84, v6
	s_wait_alu 0xfffd
	v_add_co_ci_u32_e64 v146, null, s85, v7, vcc_lo
	s_add_nc_u64 s[84:85], s[86:87], s[80:81]
	v_or_b32_e32 v20, 1, v17
	s_wait_alu 0xfffe
	v_add_co_u32 v147, vcc_lo, s84, v6
	s_wait_alu 0xfffd
	v_add_co_ci_u32_e64 v148, null, s85, v7, vcc_lo
	v_add_co_u32 v10, vcc_lo, s68, v10
	s_wait_alu 0xfffd
	v_add_co_ci_u32_e64 v11, null, s69, v11, vcc_lo
	v_cmp_ge_u32_e64 s7, v17, v1
	v_or_b32_e32 v22, 2, v17
	v_or_b32_e32 v17, 3, v17
	s_delay_alu instid0(VALU_DEP_4)
	v_lshlrev_b64_e32 v[10:11], 3, v[10:11]
	v_add_co_u32 v149, vcc_lo, s86, v6
	s_add_nc_u64 s[68:69], s[86:87], s[88:89]
	v_cmp_le_i32_e64 s4, s42, v15
	v_cmp_gt_u32_e64 s9, v17, v1
	v_or_b32_e32 v17, 32, v1
	v_cmp_le_i32_e64 s14, s15, v15
	v_lshrrev_b32_e32 v15, 4, v12
	v_mul_lo_u32 v4, s58, v2
	s_wait_alu 0xfffd
	v_add_co_ci_u32_e64 v150, null, s87, v7, vcc_lo
	s_wait_alu 0xfffe
	v_add_co_u32 v151, vcc_lo, s68, v6
	v_mad_co_i64_i32 v[61:62], null, s62, 24, v[10:11]
	s_lshl_b32 s76, s58, 6
	s_mul_i32 s58, s58, s59
	s_wait_alu 0xfffd
	v_add_co_ci_u32_e64 v152, null, s69, v7, vcc_lo
	s_add_nc_u64 s[68:69], s[86:87], s[70:71]
	s_mul_u64 s[84:85], s[62:63], 24
	v_lshlrev_b32_e32 v105, 3, v56
	v_cmp_le_i32_e64 s5, s42, v16
	v_mul_u32_u24_e32 v21, 33, v1
	v_cmp_gt_i32_e64 s11, s42, v17
	v_cmp_le_i32_e64 s15, s15, v16
	v_and_b32_e32 v16, 15, v0
	v_and_b32_e32 v0, 48, v0
	v_lshlrev_b32_e32 v17, 5, v15
	s_wait_alu 0xfffe
	s_lshl_b32 s78, s58, 6
	s_lshl_b64 s[58:59], s[62:63], 5
	v_add_co_u32 v153, vcc_lo, s68, v6
	s_add_nc_u64 s[62:63], s[84:85], s[82:83]
	s_wait_alu 0xfffd
	v_add_co_ci_u32_e64 v154, null, s69, v7, vcc_lo
	s_wait_alu 0xfffe
	v_add_co_u32 v155, vcc_lo, s62, v10
	v_ashrrev_i32_e32 v5, 31, v4
	v_lshl_add_u32 v114, v3, 5, 0x2180
	v_mad_u32_u24 v115, 0x860, v3, v105
	v_mad_u32_u24 v120, 0x218, v3, v105
	v_ashrrev_i32_e32 v3, 31, v2
	s_wait_alu 0xfffd
	v_add_co_ci_u32_e64 v156, null, s63, v11, vcc_lo
	v_add_co_u32 v157, vcc_lo, v61, s80
	v_lshlrev_b32_e32 v108, 3, v21
	v_mul_u32_u24_e32 v20, 0x108, v20
	v_add_nc_u32_e32 v109, 0x2380, v19
	v_lshlrev_b32_e32 v0, 3, v0
	v_or_b32_e32 v19, 0x78, v105
	v_mad_u32_u24 v116, 0x218, v16, v17
	v_mul_i32_i24_e32 v15, 0xffffffe8, v15
	s_wait_alu 0xfffd
	v_add_co_ci_u32_e64 v158, null, s81, v62, vcc_lo
	v_add_co_u32 v159, vcc_lo, v61, s88
	s_wait_alu 0xfffd
	v_add_co_ci_u32_e64 v160, null, s89, v62, vcc_lo
	v_add_co_u32 v164, vcc_lo, v61, s70
	v_lshlrev_b64_e32 v[63:64], 3, v[4:5]
	v_lshlrev_b64_e32 v[65:66], 3, v[8:9]
	;; [unrolled: 1-line block ×3, first 2 shown]
	v_add_nc_u32_e32 v106, 0x2380, v105
	v_cmp_gt_i32_e64 s1, s42, v1
	v_cmp_gt_u32_e64 s8, v22, v1
	v_add_nc_u32_e32 v110, v108, v23
	v_cmp_gt_u32_e64 s10, 32, v12
	v_add_nc_u32_e32 v113, 0x2180, v105
	v_cmp_gt_u32_e64 s17, 64, v12
	v_mad_u32_u24 v117, 0x218, v16, v0
	v_mad_u32_u24 v118, 0x218, v16, v19
	v_add_nc_u32_e32 v119, 51, v111
	v_add_nc_u32_e32 v121, 0x2380, v23
	;; [unrolled: 1-line block ×6, first 2 shown]
	s_wait_alu 0xfffd
	v_add_co_ci_u32_e64 v165, null, s71, v62, vcc_lo
	v_add_nc_u32_e32 v166, v116, v15
	v_lshlrev_b32_e32 v167, 3, v1
	s_sub_nc_u64 s[66:67], 0, s[52:53]
	s_add_co_i32 s75, s40, -2
	s_sub_nc_u64 s[52:53], 0, s[42:43]
	s_lshl_b64 s[30:31], s[30:31], 3
	s_lshl_b64 s[26:27], s[26:27], 3
	;; [unrolled: 1-line block ×5, first 2 shown]
	s_branch .LBB181_4
.LBB181_2:                              ;   in Loop: Header=BB181_4 Depth=1
	s_wait_alu 0xfffe
	s_or_b32 exec_lo, exec_lo, s18
.LBB181_3:                              ;   in Loop: Header=BB181_4 Depth=1
	s_add_co_i32 s34, s34, 0x10000
	s_delay_alu instid0(SALU_CYCLE_1)
	s_cmp_lt_u32 s34, s33
	s_cbranch_scc0 .LBB181_156
.LBB181_4:                              ; =>This Loop Header: Depth=1
                                        ;     Child Loop BB181_78 Depth 2
	s_mul_u64 s[18:19], s[22:23], s[34:35]
	s_wait_alu 0xfffe
	s_lshl_b64 s[18:19], s[18:19], 3
	s_wait_alu 0xfffe
	s_add_nc_u64 s[18:19], s[20:21], s[18:19]
	global_load_b64 v[0:1], v57, s[18:19]
	s_mov_b32 s18, -1
	s_wait_loadcnt 0x0
	v_or_b32_e32 v0, v0, v1
	s_delay_alu instid0(VALU_DEP_1) | instskip(NEXT) | instid1(VALU_DEP_1)
	v_and_b32_e32 v0, 0x7fffffff, v0
	v_cmp_ne_u32_e32 vcc_lo, 0, v0
	s_cbranch_vccz .LBB181_6
; %bb.5:                                ;   in Loop: Header=BB181_4 Depth=1
	s_wait_alu 0xfffe
	s_and_not1_b32 vcc_lo, exec_lo, s18
	s_wait_alu 0xfffe
	s_cbranch_vccnz .LBB181_3
	s_branch .LBB181_7
.LBB181_6:                              ;   in Loop: Header=BB181_4 Depth=1
	s_mul_u64 s[18:19], s[38:39], s[34:35]
	s_wait_alu 0xfffe
	s_lshl_b64 s[18:19], s[18:19], 3
	s_wait_alu 0xfffe
	s_add_nc_u64 s[18:19], s[36:37], s[18:19]
	global_load_b64 v[0:1], v57, s[18:19]
	s_wait_loadcnt 0x0
	v_cmp_eq_f32_e32 vcc_lo, 1.0, v0
	v_cmp_eq_f32_e64 s18, 0, v1
	s_wait_alu 0xfffe
	s_and_b32 s18, vcc_lo, s18
	s_wait_alu 0xfffe
	s_and_not1_b32 vcc_lo, exec_lo, s18
	s_cbranch_execnz .LBB181_3
.LBB181_7:                              ;   in Loop: Header=BB181_4 Depth=1
	s_lshl_b64 s[18:19], s[34:35], 3
	s_wait_alu 0xfffe
	s_add_nc_u64 s[68:69], s[28:29], s[18:19]
	s_add_nc_u64 s[18:19], s[24:25], s[18:19]
	s_clause 0x1
	global_load_b64 v[2:3], v57, s[68:69]
	global_load_b64 v[0:1], v57, s[18:19]
	s_wait_loadcnt 0x1
	v_add_co_u32 v2, vcc_lo, v2, s30
	s_wait_alu 0xfffd
	v_add_co_ci_u32_e64 v3, null, s31, v3, vcc_lo
	s_delay_alu instid0(VALU_DEP_2) | instskip(SKIP_1) | instid1(VALU_DEP_2)
	v_add_co_u32 v12, vcc_lo, v2, v63
	s_wait_alu 0xfffd
	v_add_co_ci_u32_e64 v13, null, v3, v64, vcc_lo
	s_and_saveexec_b32 s18, s0
	s_cbranch_execz .LBB181_12
; %bb.8:                                ;   in Loop: Header=BB181_4 Depth=1
	s_and_saveexec_b32 s19, s41
	s_wait_alu 0xfffe
	s_xor_b32 s19, exec_lo, s19
; %bb.9:                                ;   in Loop: Header=BB181_4 Depth=1
	v_mov_b32_e32 v58, v57
	ds_store_b64 v106, v[57:58]
; %bb.10:                               ;   in Loop: Header=BB181_4 Depth=1
	s_wait_alu 0xfffe
	s_and_not1_saveexec_b32 s19, s19
	s_cbranch_execz .LBB181_12
; %bb.11:                               ;   in Loop: Header=BB181_4 Depth=1
	flat_load_b64 v[2:3], v[12:13]
	s_wait_loadcnt_dscnt 0x0
	ds_store_b64 v106, v[2:3]
.LBB181_12:                             ;   in Loop: Header=BB181_4 Depth=1
	s_wait_alu 0xfffe
	s_or_b32 exec_lo, exec_lo, s18
	s_wait_loadcnt 0x0
	v_add_co_u32 v0, vcc_lo, v0, s26
	s_wait_alu 0xfffd
	v_add_co_ci_u32_e64 v1, null, s27, v1, vcc_lo
	s_mov_b32 s18, -1
	v_add_co_u32 v0, vcc_lo, v0, s62
	s_wait_alu 0xfffd
	v_add_co_ci_u32_e64 v1, null, s63, v1, vcc_lo
	s_delay_alu instid0(VALU_DEP_2) | instskip(SKIP_1) | instid1(VALU_DEP_2)
	v_add_co_u32 v0, vcc_lo, v0, v59
	s_wait_alu 0xfffd
	v_add_co_ci_u32_e64 v1, null, v1, v60, vcc_lo
	s_delay_alu instid0(VALU_DEP_2) | instskip(SKIP_1) | instid1(VALU_DEP_2)
	v_add_co_u32 v2, vcc_lo, v0, s64
	s_wait_alu 0xfffd
	v_add_co_ci_u32_e64 v3, null, s65, v1, vcc_lo
	s_and_b32 vcc_lo, exec_lo, s73
                                        ; implicit-def: $vgpr0_vgpr1
	s_wait_alu 0xfffe
	s_cbranch_vccz .LBB181_24
; %bb.13:                               ;   in Loop: Header=BB181_4 Depth=1
	s_and_saveexec_b32 s18, s2
	s_wait_alu 0xfffe
	s_xor_b32 s18, exec_lo, s18
; %bb.14:                               ;   in Loop: Header=BB181_4 Depth=1
	v_mov_b32_e32 v58, v57
	ds_store_b64 v161, v[57:58]
; %bb.15:                               ;   in Loop: Header=BB181_4 Depth=1
	s_wait_alu 0xfffe
	s_or_saveexec_b32 s18, s18
	v_add_co_u32 v0, vcc_lo, v2, v65
	s_wait_alu 0xfffd
	v_add_co_ci_u32_e64 v1, null, v3, v66, vcc_lo
	s_lshl_b64 s[68:69], s[42:43], 3
	s_wait_alu 0xfffe
	v_add_co_u32 v0, vcc_lo, v0, s68
	s_wait_alu 0xfffd
	v_add_co_ci_u32_e64 v1, null, s69, v1, vcc_lo
	s_delay_alu instid0(VALU_DEP_2) | instskip(SKIP_1) | instid1(VALU_DEP_2)
	v_add_co_u32 v0, vcc_lo, v0, -8
	s_wait_alu 0xfffd
	v_add_co_ci_u32_e64 v1, null, -1, v1, vcc_lo
	s_delay_alu instid0(VALU_DEP_2) | instskip(NEXT) | instid1(VALU_DEP_2)
	v_cndmask_b32_e64 v0, v0, v2, s1
	v_cndmask_b32_e64 v1, v1, v3, s1
	s_xor_b32 exec_lo, exec_lo, s18
	s_cbranch_execnz .LBB181_138
; %bb.16:                               ;   in Loop: Header=BB181_4 Depth=1
	s_or_b32 exec_lo, exec_lo, s18
	s_and_saveexec_b32 s18, s3
	s_wait_alu 0xfffe
	s_xor_b32 s18, exec_lo, s18
	s_cbranch_execnz .LBB181_139
.LBB181_17:                             ;   in Loop: Header=BB181_4 Depth=1
	s_wait_alu 0xfffe
	s_and_not1_saveexec_b32 s18, s18
	s_cbranch_execnz .LBB181_140
.LBB181_18:                             ;   in Loop: Header=BB181_4 Depth=1
	s_wait_alu 0xfffe
	s_or_b32 exec_lo, exec_lo, s18
	s_and_saveexec_b32 s18, s4
	s_wait_alu 0xfffe
	s_xor_b32 s18, exec_lo, s18
	s_cbranch_execnz .LBB181_141
.LBB181_19:                             ;   in Loop: Header=BB181_4 Depth=1
	s_wait_alu 0xfffe
	s_and_not1_saveexec_b32 s18, s18
	s_cbranch_execnz .LBB181_142
.LBB181_20:                             ;   in Loop: Header=BB181_4 Depth=1
	s_wait_alu 0xfffe
	s_or_b32 exec_lo, exec_lo, s18
	s_and_saveexec_b32 s18, s5
	s_wait_alu 0xfffe
	s_xor_b32 s18, exec_lo, s18
	s_cbranch_execnz .LBB181_143
.LBB181_21:                             ;   in Loop: Header=BB181_4 Depth=1
	s_wait_alu 0xfffe
	s_and_not1_saveexec_b32 s18, s18
	s_cbranch_execz .LBB181_23
.LBB181_22:                             ;   in Loop: Header=BB181_4 Depth=1
	s_lshl_b64 s[68:69], s[50:51], 3
	s_wait_alu 0xfffe
	v_add_co_u32 v4, vcc_lo, v0, s68
	s_wait_alu 0xfffd
	v_add_co_ci_u32_e64 v5, null, s69, v1, vcc_lo
	flat_load_b64 v[4:5], v[4:5]
	s_wait_loadcnt_dscnt 0x0
	ds_store_b64 v161, v[4:5] offset:6336
.LBB181_23:                             ;   in Loop: Header=BB181_4 Depth=1
	s_wait_alu 0xfffe
	s_or_b32 exec_lo, exec_lo, s18
	v_add_co_u32 v0, vcc_lo, v0, v167
	s_wait_alu 0xfffd
	v_add_co_ci_u32_e64 v1, null, 0, v1, vcc_lo
	s_lshl_b64 s[18:19], s[52:53], 3
	s_wait_alu 0xfffe
	v_add_co_u32 v0, vcc_lo, v0, s18
	s_wait_alu 0xfffd
	v_add_co_ci_u32_e64 v1, null, s19, v1, vcc_lo
	s_mov_b32 s18, 0
	v_add_co_u32 v0, vcc_lo, v0, 8
	s_wait_alu 0xfffd
	v_add_co_ci_u32_e64 v1, null, 0, v1, vcc_lo
	s_delay_alu instid0(VALU_DEP_2) | instskip(NEXT) | instid1(VALU_DEP_2)
	v_cndmask_b32_e64 v0, v0, v2, s1
	v_cndmask_b32_e64 v1, v1, v3, s1
.LBB181_24:                             ;   in Loop: Header=BB181_4 Depth=1
	s_wait_alu 0xfffe
	s_and_b32 vcc_lo, exec_lo, s18
	s_wait_alu 0xfffe
	s_cbranch_vccz .LBB181_26
; %bb.25:                               ;   in Loop: Header=BB181_4 Depth=1
	s_lshl_b64 s[18:19], s[48:49], 3
	s_wait_alu 0xfffe
	v_add_co_u32 v0, vcc_lo, v2, s18
	s_wait_alu 0xfffd
	v_add_co_ci_u32_e64 v1, null, s19, v3, vcc_lo
	s_delay_alu instid0(VALU_DEP_2) | instskip(SKIP_1) | instid1(VALU_DEP_2)
	v_add_co_u32 v4, vcc_lo, v0, s54
	s_wait_alu 0xfffd
	v_add_co_ci_u32_e64 v5, null, s55, v1, vcc_lo
	s_delay_alu instid0(VALU_DEP_2) | instskip(SKIP_1) | instid1(VALU_DEP_2)
	v_add_co_u32 v6, vcc_lo, v4, s54
	s_wait_alu 0xfffd
	v_add_co_ci_u32_e64 v7, null, s55, v5, vcc_lo
	s_clause 0x3
	flat_load_b64 v[8:9], v[2:3]
	flat_load_b64 v[10:11], v[0:1]
	;; [unrolled: 1-line block ×4, first 2 shown]
	v_dual_mov_b32 v0, v2 :: v_dual_mov_b32 v1, v3
	s_wait_loadcnt_dscnt 0x303
	ds_store_b64 v161, v[8:9]
	s_wait_loadcnt_dscnt 0x203
	ds_store_b64 v161, v[10:11] offset:2112
	s_wait_loadcnt_dscnt 0x103
	ds_store_b64 v161, v[4:5] offset:4224
	;; [unrolled: 2-line block ×3, first 2 shown]
.LBB181_26:                             ;   in Loop: Header=BB181_4 Depth=1
	s_wait_dscnt 0x0
	s_barrier_signal -1
	s_barrier_wait -1
	global_inv scope:SCOPE_SE
	s_and_saveexec_b32 s18, s6
	s_cbranch_execnz .LBB181_132
; %bb.27:                               ;   in Loop: Header=BB181_4 Depth=1
	s_wait_alu 0xfffe
	s_or_b32 exec_lo, exec_lo, s18
	s_and_saveexec_b32 s18, s7
	s_cbranch_execnz .LBB181_133
.LBB181_28:                             ;   in Loop: Header=BB181_4 Depth=1
	s_wait_alu 0xfffe
	s_or_b32 exec_lo, exec_lo, s18
	s_and_saveexec_b32 s18, s8
	s_cbranch_execnz .LBB181_134
.LBB181_29:                             ;   in Loop: Header=BB181_4 Depth=1
	s_wait_alu 0xfffe
	s_or_b32 exec_lo, exec_lo, s18
	s_and_saveexec_b32 s18, s9
	s_cbranch_execz .LBB181_31
.LBB181_30:                             ;   in Loop: Header=BB181_4 Depth=1
	ds_load_b64 v[2:3], v163 offset:528
	s_wait_dscnt 0x0
	ds_store_b64 v107, v[2:3] offset:24
.LBB181_31:                             ;   in Loop: Header=BB181_4 Depth=1
	s_wait_alu 0xfffe
	s_or_b32 exec_lo, exec_lo, s18
	s_wait_loadcnt_dscnt 0x0
	s_barrier_signal -1
	s_barrier_wait -1
	global_inv scope:SCOPE_SE
	ds_load_b64 v[10:11], v162
	ds_load_b128 v[2:5], v109
	ds_load_2addr_b64 v[6:9], v163 offset1:33
	ds_load_b128 v[14:17], v109 offset:16
	ds_load_b64 v[18:19], v163 offset:528
	s_wait_loadcnt_dscnt 0x0
	s_barrier_signal -1
	s_barrier_wait -1
	global_inv scope:SCOPE_SE
	v_mov_b32_e32 v70, 0
	v_mul_f32_e32 v20, v3, v11
	v_dual_mul_f32 v11, v2, v11 :: v_dual_mul_f32 v22, v15, v9
	v_mul_f32_e32 v9, v14, v9
	s_delay_alu instid0(VALU_DEP_3) | instskip(SKIP_1) | instid1(VALU_DEP_4)
	v_fma_f32 v2, v2, v10, -v20
	v_mul_f32_e32 v21, v5, v7
	v_fmac_f32_e32 v11, v3, v10
	s_delay_alu instid0(VALU_DEP_4) | instskip(SKIP_3) | instid1(VALU_DEP_1)
	v_fmac_f32_e32 v9, v15, v8
	v_fma_f32 v10, v14, v8, -v22
	v_dual_add_f32 v2, 0, v2 :: v_dual_mul_f32 v7, v4, v7
	v_fma_f32 v4, v4, v6, -v21
	v_dual_add_f32 v2, v2, v4 :: v_dual_fmac_f32 v7, v5, v6
	v_mul_f32_e32 v6, v16, v19
	v_add_f32_e32 v5, 0, v11
	s_delay_alu instid0(VALU_DEP_3) | instskip(NEXT) | instid1(VALU_DEP_3)
	v_dual_mul_f32 v3, v17, v19 :: v_dual_add_f32 v2, v2, v10
	v_fmac_f32_e32 v6, v17, v18
	s_delay_alu instid0(VALU_DEP_3) | instskip(NEXT) | instid1(VALU_DEP_3)
	v_add_f32_e32 v4, v5, v7
	v_fma_f32 v3, v16, v18, -v3
	s_delay_alu instid0(VALU_DEP_2) | instskip(NEXT) | instid1(VALU_DEP_1)
	v_dual_mov_b32 v69, 0 :: v_dual_add_f32 v4, v4, v9
	v_dual_add_f32 v2, v2, v3 :: v_dual_add_f32 v3, v4, v6
	ds_store_b64 v110, v[2:3]
	s_wait_loadcnt_dscnt 0x0
	s_barrier_signal -1
	s_barrier_wait -1
	global_inv scope:SCOPE_SE
	s_and_saveexec_b32 s18, s10
	s_cbranch_execz .LBB181_33
; %bb.32:                               ;   in Loop: Header=BB181_4 Depth=1
	ds_load_2addr_b64 v[2:5], v108 offset1:7
	ds_load_2addr_b64 v[6:9], v108 offset0:1 offset1:2
	ds_load_2addr_b64 v[14:17], v108 offset0:3 offset1:4
	;; [unrolled: 1-line block ×3, first 2 shown]
	s_wait_dscnt 0x2
	v_dual_add_f32 v2, v6, v2 :: v_dual_add_f32 v3, v7, v3
	s_delay_alu instid0(VALU_DEP_1) | instskip(SKIP_1) | instid1(VALU_DEP_1)
	v_dual_add_f32 v2, v8, v2 :: v_dual_add_f32 v3, v9, v3
	s_wait_dscnt 0x1
	v_dual_add_f32 v2, v2, v14 :: v_dual_add_f32 v3, v3, v15
	s_delay_alu instid0(VALU_DEP_1) | instskip(SKIP_1) | instid1(VALU_DEP_1)
	v_dual_add_f32 v2, v2, v16 :: v_dual_add_f32 v3, v3, v17
	s_wait_dscnt 0x0
	v_dual_add_f32 v2, v2, v18 :: v_dual_add_f32 v3, v3, v19
	s_delay_alu instid0(VALU_DEP_1) | instskip(NEXT) | instid1(VALU_DEP_1)
	v_dual_add_f32 v2, v2, v20 :: v_dual_add_f32 v3, v3, v21
	v_dual_add_f32 v69, v2, v4 :: v_dual_add_f32 v70, v3, v5
.LBB181_33:                             ;   in Loop: Header=BB181_4 Depth=1
	s_wait_alu 0xfffe
	s_or_b32 exec_lo, exec_lo, s18
	v_add_co_u32 v4, vcc_lo, v0, s56
	s_wait_alu 0xfffd
	v_add_co_ci_u32_e64 v5, null, s57, v1, vcc_lo
	s_mov_b32 s18, -1
	v_add_co_u32 v2, vcc_lo, 0x100, v4
	s_wait_alu 0xfffd
	v_add_co_ci_u32_e64 v3, null, 0, v5, vcc_lo
	s_and_b32 vcc_lo, exec_lo, s73
	s_wait_loadcnt 0x0
	s_barrier_signal -1
	s_barrier_wait -1
	global_inv scope:SCOPE_SE
                                        ; implicit-def: $vgpr0_vgpr1
	s_wait_alu 0xfffe
	s_cbranch_vccz .LBB181_45
; %bb.34:                               ;   in Loop: Header=BB181_4 Depth=1
	s_and_saveexec_b32 s18, s12
	s_wait_alu 0xfffe
	s_xor_b32 s18, exec_lo, s18
; %bb.35:                               ;   in Loop: Header=BB181_4 Depth=1
	v_mov_b32_e32 v58, v57
	ds_store_b64 v161, v[57:58]
; %bb.36:                               ;   in Loop: Header=BB181_4 Depth=1
	s_wait_alu 0xfffe
	s_or_saveexec_b32 s18, s18
	v_add_co_u32 v0, vcc_lo, v4, v65
	s_wait_alu 0xfffd
	v_add_co_ci_u32_e64 v1, null, v5, v66, vcc_lo
	s_lshl_b64 s[68:69], s[42:43], 3
	s_wait_alu 0xfffe
	v_add_co_u32 v0, vcc_lo, v0, s68
	s_wait_alu 0xfffd
	v_add_co_ci_u32_e64 v1, null, s69, v1, vcc_lo
	s_delay_alu instid0(VALU_DEP_2) | instskip(SKIP_1) | instid1(VALU_DEP_2)
	v_add_co_u32 v0, vcc_lo, v0, -8
	s_wait_alu 0xfffd
	v_add_co_ci_u32_e64 v1, null, -1, v1, vcc_lo
	s_delay_alu instid0(VALU_DEP_2) | instskip(NEXT) | instid1(VALU_DEP_2)
	v_cndmask_b32_e64 v0, v0, v2, s11
	v_cndmask_b32_e64 v1, v1, v3, s11
	s_xor_b32 exec_lo, exec_lo, s18
	s_cbranch_execnz .LBB181_144
; %bb.37:                               ;   in Loop: Header=BB181_4 Depth=1
	s_or_b32 exec_lo, exec_lo, s18
	s_and_saveexec_b32 s18, s13
	s_wait_alu 0xfffe
	s_xor_b32 s18, exec_lo, s18
	s_cbranch_execnz .LBB181_145
.LBB181_38:                             ;   in Loop: Header=BB181_4 Depth=1
	s_wait_alu 0xfffe
	s_and_not1_saveexec_b32 s18, s18
	s_cbranch_execnz .LBB181_146
.LBB181_39:                             ;   in Loop: Header=BB181_4 Depth=1
	s_wait_alu 0xfffe
	s_or_b32 exec_lo, exec_lo, s18
	s_and_saveexec_b32 s18, s14
	s_wait_alu 0xfffe
	s_xor_b32 s18, exec_lo, s18
	s_cbranch_execnz .LBB181_147
.LBB181_40:                             ;   in Loop: Header=BB181_4 Depth=1
	s_wait_alu 0xfffe
	s_and_not1_saveexec_b32 s18, s18
	s_cbranch_execnz .LBB181_148
.LBB181_41:                             ;   in Loop: Header=BB181_4 Depth=1
	s_wait_alu 0xfffe
	s_or_b32 exec_lo, exec_lo, s18
	s_and_saveexec_b32 s18, s15
	s_wait_alu 0xfffe
	s_xor_b32 s18, exec_lo, s18
	s_cbranch_execnz .LBB181_149
.LBB181_42:                             ;   in Loop: Header=BB181_4 Depth=1
	s_wait_alu 0xfffe
	s_and_not1_saveexec_b32 s18, s18
	s_cbranch_execz .LBB181_44
.LBB181_43:                             ;   in Loop: Header=BB181_4 Depth=1
	s_lshl_b64 s[68:69], s[50:51], 3
	s_wait_alu 0xfffe
	v_add_co_u32 v6, vcc_lo, v0, s68
	s_wait_alu 0xfffd
	v_add_co_ci_u32_e64 v7, null, s69, v1, vcc_lo
	flat_load_b64 v[6:7], v[6:7]
	s_wait_loadcnt_dscnt 0x0
	ds_store_b64 v161, v[6:7] offset:6336
.LBB181_44:                             ;   in Loop: Header=BB181_4 Depth=1
	s_wait_alu 0xfffe
	s_or_b32 exec_lo, exec_lo, s18
	v_add_co_u32 v0, vcc_lo, v0, v167
	s_wait_alu 0xfffd
	v_add_co_ci_u32_e64 v1, null, 0, v1, vcc_lo
	s_lshl_b64 s[18:19], s[52:53], 3
	s_wait_alu 0xfffe
	v_add_co_u32 v0, vcc_lo, v0, s18
	s_wait_alu 0xfffd
	v_add_co_ci_u32_e64 v1, null, s19, v1, vcc_lo
	s_mov_b32 s18, 0
	v_add_co_u32 v0, vcc_lo, 0x108, v0
	s_wait_alu 0xfffd
	v_add_co_ci_u32_e64 v1, null, 0, v1, vcc_lo
	s_delay_alu instid0(VALU_DEP_2) | instskip(NEXT) | instid1(VALU_DEP_2)
	v_cndmask_b32_e64 v0, v0, v2, s11
	v_cndmask_b32_e64 v1, v1, v3, s11
.LBB181_45:                             ;   in Loop: Header=BB181_4 Depth=1
	s_wait_alu 0xfffe
	s_and_b32 vcc_lo, exec_lo, s18
	s_wait_alu 0xfffe
	s_cbranch_vccz .LBB181_47
; %bb.46:                               ;   in Loop: Header=BB181_4 Depth=1
	s_lshl_b64 s[18:19], s[48:49], 3
	s_wait_alu 0xfffe
	v_add_co_u32 v0, vcc_lo, v4, s18
	s_wait_alu 0xfffd
	v_add_co_ci_u32_e64 v1, null, s19, v5, vcc_lo
	s_delay_alu instid0(VALU_DEP_2) | instskip(SKIP_1) | instid1(VALU_DEP_2)
	v_add_co_u32 v6, vcc_lo, v0, s54
	s_wait_alu 0xfffd
	v_add_co_ci_u32_e64 v7, null, s55, v1, vcc_lo
	s_delay_alu instid0(VALU_DEP_2) | instskip(SKIP_1) | instid1(VALU_DEP_2)
	v_add_co_u32 v8, vcc_lo, v6, s54
	s_wait_alu 0xfffd
	v_add_co_ci_u32_e64 v9, null, s55, v7, vcc_lo
	s_clause 0x3
	flat_load_b64 v[4:5], v[4:5] offset:256
	flat_load_b64 v[10:11], v[0:1] offset:256
	;; [unrolled: 1-line block ×4, first 2 shown]
	v_dual_mov_b32 v0, v2 :: v_dual_mov_b32 v1, v3
	s_wait_loadcnt_dscnt 0x303
	ds_store_b64 v161, v[4:5]
	s_wait_loadcnt_dscnt 0x203
	ds_store_b64 v161, v[10:11] offset:2112
	s_wait_loadcnt_dscnt 0x103
	ds_store_b64 v161, v[6:7] offset:4224
	;; [unrolled: 2-line block ×3, first 2 shown]
.LBB181_47:                             ;   in Loop: Header=BB181_4 Depth=1
	s_wait_loadcnt_dscnt 0x0
	s_barrier_signal -1
	s_barrier_wait -1
	global_inv scope:SCOPE_SE
	s_and_saveexec_b32 s18, s6
	s_cbranch_execnz .LBB181_135
; %bb.48:                               ;   in Loop: Header=BB181_4 Depth=1
	s_wait_alu 0xfffe
	s_or_b32 exec_lo, exec_lo, s18
	s_and_saveexec_b32 s18, s7
	s_cbranch_execnz .LBB181_136
.LBB181_49:                             ;   in Loop: Header=BB181_4 Depth=1
	s_wait_alu 0xfffe
	s_or_b32 exec_lo, exec_lo, s18
	s_and_saveexec_b32 s18, s8
	s_cbranch_execnz .LBB181_137
.LBB181_50:                             ;   in Loop: Header=BB181_4 Depth=1
	s_wait_alu 0xfffe
	s_or_b32 exec_lo, exec_lo, s18
	s_and_saveexec_b32 s18, s9
	s_cbranch_execz .LBB181_52
.LBB181_51:                             ;   in Loop: Header=BB181_4 Depth=1
	ds_load_b64 v[2:3], v163 offset:528
	s_wait_dscnt 0x0
	ds_store_b64 v107, v[2:3] offset:24
.LBB181_52:                             ;   in Loop: Header=BB181_4 Depth=1
	s_wait_alu 0xfffe
	s_or_b32 exec_lo, exec_lo, s18
	s_wait_loadcnt_dscnt 0x0
	s_barrier_signal -1
	s_barrier_wait -1
	global_inv scope:SCOPE_SE
	ds_load_b64 v[10:11], v162
	ds_load_b128 v[2:5], v109 offset:256
	ds_load_2addr_b64 v[6:9], v163 offset1:33
	ds_load_b128 v[14:17], v109 offset:272
	ds_load_b64 v[18:19], v163 offset:528
	s_wait_loadcnt_dscnt 0x0
	s_barrier_signal -1
	s_barrier_wait -1
	global_inv scope:SCOPE_SE
	v_mul_f32_e32 v20, v3, v11
	v_dual_mul_f32 v11, v2, v11 :: v_dual_mul_f32 v22, v15, v9
	v_mul_f32_e32 v9, v14, v9
	s_delay_alu instid0(VALU_DEP_3) | instskip(SKIP_1) | instid1(VALU_DEP_4)
	v_fma_f32 v2, v2, v10, -v20
	v_mul_f32_e32 v21, v5, v7
	v_fmac_f32_e32 v11, v3, v10
	s_delay_alu instid0(VALU_DEP_4) | instskip(SKIP_3) | instid1(VALU_DEP_1)
	v_fmac_f32_e32 v9, v15, v8
	v_fma_f32 v10, v14, v8, -v22
	v_dual_add_f32 v2, 0, v2 :: v_dual_mul_f32 v7, v4, v7
	v_fma_f32 v4, v4, v6, -v21
	v_dual_add_f32 v2, v2, v4 :: v_dual_fmac_f32 v7, v5, v6
	v_mul_f32_e32 v6, v16, v19
	v_add_f32_e32 v5, 0, v11
	s_delay_alu instid0(VALU_DEP_3) | instskip(NEXT) | instid1(VALU_DEP_3)
	v_dual_mul_f32 v3, v17, v19 :: v_dual_add_f32 v2, v2, v10
	v_fmac_f32_e32 v6, v17, v18
	s_delay_alu instid0(VALU_DEP_3) | instskip(NEXT) | instid1(VALU_DEP_3)
	v_add_f32_e32 v4, v5, v7
	v_fma_f32 v3, v16, v18, -v3
	s_delay_alu instid0(VALU_DEP_2) | instskip(NEXT) | instid1(VALU_DEP_1)
	v_add_f32_e32 v4, v4, v9
	v_dual_add_f32 v2, v2, v3 :: v_dual_add_f32 v3, v4, v6
	ds_store_b64 v110, v[2:3]
	s_wait_loadcnt_dscnt 0x0
	s_barrier_signal -1
	s_barrier_wait -1
	global_inv scope:SCOPE_SE
	s_and_saveexec_b32 s18, s16
	s_cbranch_execz .LBB181_54
; %bb.53:                               ;   in Loop: Header=BB181_4 Depth=1
	ds_load_2addr_b64 v[2:5], v108 offset1:7
	ds_load_2addr_b64 v[6:9], v108 offset0:1 offset1:2
	ds_load_2addr_b64 v[14:17], v108 offset0:3 offset1:4
	;; [unrolled: 1-line block ×3, first 2 shown]
	s_wait_dscnt 0x2
	v_dual_add_f32 v2, v6, v2 :: v_dual_add_f32 v3, v7, v3
	s_delay_alu instid0(VALU_DEP_1) | instskip(SKIP_1) | instid1(VALU_DEP_1)
	v_dual_add_f32 v2, v8, v2 :: v_dual_add_f32 v3, v9, v3
	s_wait_dscnt 0x1
	v_dual_add_f32 v2, v2, v14 :: v_dual_add_f32 v3, v3, v15
	s_delay_alu instid0(VALU_DEP_1) | instskip(SKIP_1) | instid1(VALU_DEP_1)
	v_dual_add_f32 v2, v2, v16 :: v_dual_add_f32 v3, v3, v17
	s_wait_dscnt 0x0
	v_dual_add_f32 v2, v2, v18 :: v_dual_add_f32 v3, v3, v19
	s_delay_alu instid0(VALU_DEP_1) | instskip(NEXT) | instid1(VALU_DEP_1)
	v_dual_add_f32 v2, v2, v20 :: v_dual_add_f32 v3, v3, v21
	v_dual_add_f32 v69, v2, v4 :: v_dual_add_f32 v70, v3, v5
.LBB181_54:                             ;   in Loop: Header=BB181_4 Depth=1
	s_wait_alu 0xfffe
	s_or_b32 exec_lo, exec_lo, s18
	v_add_co_u32 v2, vcc_lo, 0xffffff00, v0
	s_wait_alu 0xfffd
	v_add_co_ci_u32_e64 v3, null, -1, v1, vcc_lo
	s_and_b32 vcc_lo, exec_lo, s73
	s_mov_b32 s18, -1
	s_wait_loadcnt 0x0
	s_barrier_signal -1
	s_barrier_wait -1
	global_inv scope:SCOPE_SE
                                        ; implicit-def: $vgpr14_vgpr15
	s_wait_alu 0xfffe
	s_cbranch_vccz .LBB181_66
; %bb.55:                               ;   in Loop: Header=BB181_4 Depth=1
	s_and_saveexec_b32 s18, s12
	s_wait_alu 0xfffe
	s_xor_b32 s18, exec_lo, s18
; %bb.56:                               ;   in Loop: Header=BB181_4 Depth=1
	v_mov_b32_e32 v58, v57
	ds_store_b64 v161, v[57:58]
; %bb.57:                               ;   in Loop: Header=BB181_4 Depth=1
	s_wait_alu 0xfffe
	s_or_saveexec_b32 s18, s18
	v_add_co_u32 v4, vcc_lo, v0, v65
	s_wait_alu 0xfffd
	v_add_co_ci_u32_e64 v5, null, v1, v66, vcc_lo
	s_lshl_b64 s[68:69], s[42:43], 3
	s_wait_alu 0xfffe
	v_add_co_u32 v4, vcc_lo, v4, s68
	s_wait_alu 0xfffd
	v_add_co_ci_u32_e64 v5, null, s69, v5, vcc_lo
	s_delay_alu instid0(VALU_DEP_2) | instskip(SKIP_1) | instid1(VALU_DEP_2)
	v_add_co_u32 v4, vcc_lo, 0xfffffef8, v4
	s_wait_alu 0xfffd
	v_add_co_ci_u32_e64 v5, null, -1, v5, vcc_lo
	s_delay_alu instid0(VALU_DEP_2) | instskip(NEXT) | instid1(VALU_DEP_2)
	v_cndmask_b32_e64 v4, v4, v2, s1
	v_cndmask_b32_e64 v5, v5, v3, s1
	s_xor_b32 exec_lo, exec_lo, s18
	s_cbranch_execnz .LBB181_150
; %bb.58:                               ;   in Loop: Header=BB181_4 Depth=1
	s_or_b32 exec_lo, exec_lo, s18
	s_and_saveexec_b32 s18, s13
	s_wait_alu 0xfffe
	s_xor_b32 s18, exec_lo, s18
	s_cbranch_execnz .LBB181_151
.LBB181_59:                             ;   in Loop: Header=BB181_4 Depth=1
	s_wait_alu 0xfffe
	s_and_not1_saveexec_b32 s18, s18
	s_cbranch_execnz .LBB181_152
.LBB181_60:                             ;   in Loop: Header=BB181_4 Depth=1
	s_wait_alu 0xfffe
	s_or_b32 exec_lo, exec_lo, s18
	s_and_saveexec_b32 s18, s14
	s_wait_alu 0xfffe
	s_xor_b32 s18, exec_lo, s18
	s_cbranch_execnz .LBB181_153
.LBB181_61:                             ;   in Loop: Header=BB181_4 Depth=1
	s_wait_alu 0xfffe
	s_and_not1_saveexec_b32 s18, s18
	s_cbranch_execnz .LBB181_154
.LBB181_62:                             ;   in Loop: Header=BB181_4 Depth=1
	s_wait_alu 0xfffe
	s_or_b32 exec_lo, exec_lo, s18
	s_and_saveexec_b32 s18, s15
	s_wait_alu 0xfffe
	s_xor_b32 s18, exec_lo, s18
	s_cbranch_execnz .LBB181_155
.LBB181_63:                             ;   in Loop: Header=BB181_4 Depth=1
	s_wait_alu 0xfffe
	s_and_not1_saveexec_b32 s18, s18
	s_cbranch_execz .LBB181_65
.LBB181_64:                             ;   in Loop: Header=BB181_4 Depth=1
	s_lshl_b64 s[68:69], s[50:51], 3
	s_wait_alu 0xfffe
	v_add_co_u32 v6, vcc_lo, v4, s68
	s_wait_alu 0xfffd
	v_add_co_ci_u32_e64 v7, null, s69, v5, vcc_lo
	flat_load_b64 v[6:7], v[6:7]
	s_wait_loadcnt_dscnt 0x0
	ds_store_b64 v161, v[6:7] offset:6336
.LBB181_65:                             ;   in Loop: Header=BB181_4 Depth=1
	s_wait_alu 0xfffe
	s_or_b32 exec_lo, exec_lo, s18
	v_add_co_u32 v4, vcc_lo, v4, v167
	s_wait_alu 0xfffd
	v_add_co_ci_u32_e64 v5, null, 0, v5, vcc_lo
	s_lshl_b64 s[18:19], s[52:53], 3
	s_wait_alu 0xfffe
	v_add_co_u32 v4, vcc_lo, v4, s18
	s_wait_alu 0xfffd
	v_add_co_ci_u32_e64 v5, null, s19, v5, vcc_lo
	s_mov_b32 s18, 0
	v_add_co_u32 v4, vcc_lo, v4, 8
	s_wait_alu 0xfffd
	v_add_co_ci_u32_e64 v5, null, 0, v5, vcc_lo
	s_delay_alu instid0(VALU_DEP_2) | instskip(NEXT) | instid1(VALU_DEP_2)
	v_cndmask_b32_e64 v14, v4, v2, s1
	v_cndmask_b32_e64 v15, v5, v3, s1
.LBB181_66:                             ;   in Loop: Header=BB181_4 Depth=1
	s_wait_alu 0xfffe
	s_and_b32 vcc_lo, exec_lo, s18
	s_wait_alu 0xfffe
	s_cbranch_vccz .LBB181_68
; %bb.67:                               ;   in Loop: Header=BB181_4 Depth=1
	s_lshl_b64 s[18:19], s[48:49], 3
	v_dual_mov_b32 v15, v3 :: v_dual_mov_b32 v14, v2
	s_wait_alu 0xfffe
	v_add_co_u32 v4, vcc_lo, v0, s18
	s_wait_alu 0xfffd
	v_add_co_ci_u32_e64 v5, null, s19, v1, vcc_lo
	s_delay_alu instid0(VALU_DEP_2) | instskip(SKIP_1) | instid1(VALU_DEP_2)
	v_add_co_u32 v6, vcc_lo, v4, s54
	s_wait_alu 0xfffd
	v_add_co_ci_u32_e64 v7, null, s55, v5, vcc_lo
	s_delay_alu instid0(VALU_DEP_2) | instskip(SKIP_1) | instid1(VALU_DEP_2)
	v_add_co_u32 v8, vcc_lo, v6, s54
	s_wait_alu 0xfffd
	v_add_co_ci_u32_e64 v9, null, s55, v7, vcc_lo
	s_clause 0x3
	flat_load_b64 v[0:1], v[0:1] offset:-256
	flat_load_b64 v[4:5], v[4:5] offset:-256
	;; [unrolled: 1-line block ×4, first 2 shown]
	s_wait_loadcnt_dscnt 0x303
	ds_store_b64 v161, v[0:1]
	s_wait_loadcnt_dscnt 0x203
	ds_store_b64 v161, v[4:5] offset:2112
	s_wait_loadcnt_dscnt 0x103
	ds_store_b64 v161, v[6:7] offset:4224
	s_wait_loadcnt_dscnt 0x3
	ds_store_b64 v161, v[8:9] offset:6336
.LBB181_68:                             ;   in Loop: Header=BB181_4 Depth=1
	v_add_nc_u32_e32 v0, v107, v112
	v_add_nc_u32_e32 v1, v109, v112
	s_wait_loadcnt_dscnt 0x0
	s_barrier_signal -1
	s_barrier_wait -1
	global_inv scope:SCOPE_SE
	ds_load_2addr_b64 v[20:23], v110 offset0:8 offset1:16
	ds_load_2addr_b64 v[24:27], v121 offset0:8 offset1:16
	ds_load_b64 v[28:29], v0
	ds_load_b64 v[30:31], v1
	ds_load_b64 v[32:33], v110 offset:192
	ds_load_b64 v[34:35], v121 offset:192
	ds_load_b128 v[8:11], v109 offset:256
	ds_load_b128 v[0:3], v109 offset:272
	ds_load_2addr_b64 v[4:7], v163 offset1:33
	ds_load_b64 v[18:19], v162
	ds_load_b64 v[16:17], v163 offset:528
	s_wait_loadcnt_dscnt 0x0
	s_barrier_signal -1
	s_barrier_wait -1
	global_inv scope:SCOPE_SE
	v_mul_f32_e32 v38, v27, v23
	v_mul_f32_e32 v37, v31, v29
	;; [unrolled: 1-line block ×4, first 2 shown]
	s_delay_alu instid0(VALU_DEP_3) | instskip(NEXT) | instid1(VALU_DEP_3)
	v_fma_f32 v30, v30, v28, -v37
	v_dual_fmac_f32 v29, v31, v28 :: v_dual_mul_f32 v28, v34, v33
	v_mul_f32_e32 v21, v24, v21
	s_delay_alu instid0(VALU_DEP_4) | instskip(NEXT) | instid1(VALU_DEP_3)
	v_fma_f32 v24, v24, v20, -v36
	v_fmac_f32_e32 v28, v35, v32
	s_delay_alu instid0(VALU_DEP_3) | instskip(SKIP_1) | instid1(VALU_DEP_2)
	v_dual_fmac_f32 v21, v25, v20 :: v_dual_add_f32 v20, 0, v30
	v_mul_f32_e32 v39, v35, v33
	v_dual_add_f32 v25, 0, v29 :: v_dual_add_f32 v20, v20, v24
	v_mul_f32_e32 v23, v26, v23
	v_fma_f32 v26, v26, v22, -v38
	s_delay_alu instid0(VALU_DEP_1) | instskip(NEXT) | instid1(VALU_DEP_3)
	v_add_f32_e32 v20, v20, v26
	v_fmac_f32_e32 v23, v27, v22
	v_fma_f32 v22, v34, v32, -v39
	s_delay_alu instid0(VALU_DEP_1) | instskip(NEXT) | instid1(VALU_DEP_1)
	v_dual_add_f32 v20, v20, v22 :: v_dual_add_f32 v21, v25, v21
	v_add_f32_e32 v21, v21, v23
	s_delay_alu instid0(VALU_DEP_1)
	v_add_f32_e32 v21, v21, v28
	ds_store_b64 v110, v[20:21]
	s_wait_loadcnt_dscnt 0x0
	s_barrier_signal -1
	s_barrier_wait -1
	global_inv scope:SCOPE_SE
	s_and_saveexec_b32 s18, s16
	s_cbranch_execz .LBB181_70
; %bb.69:                               ;   in Loop: Header=BB181_4 Depth=1
	ds_load_2addr_b64 v[20:23], v108 offset1:1
	ds_load_2addr_b64 v[24:27], v108 offset0:2 offset1:3
	ds_load_2addr_b64 v[28:31], v108 offset0:4 offset1:5
	s_wait_dscnt 0x2
	v_dual_add_f32 v20, v69, v20 :: v_dual_add_f32 v21, v70, v21
	s_delay_alu instid0(VALU_DEP_1) | instskip(SKIP_3) | instid1(VALU_DEP_1)
	v_dual_add_f32 v32, v20, v22 :: v_dual_add_f32 v33, v21, v23
	ds_load_2addr_b64 v[20:23], v108 offset0:6 offset1:7
	s_wait_dscnt 0x2
	v_dual_add_f32 v24, v32, v24 :: v_dual_add_f32 v25, v33, v25
	v_dual_add_f32 v24, v24, v26 :: v_dual_add_f32 v25, v25, v27
	s_wait_dscnt 0x1
	s_delay_alu instid0(VALU_DEP_1) | instskip(NEXT) | instid1(VALU_DEP_1)
	v_dual_add_f32 v24, v24, v28 :: v_dual_add_f32 v25, v25, v29
	v_dual_add_f32 v24, v24, v30 :: v_dual_add_f32 v25, v25, v31
	s_wait_dscnt 0x0
	s_delay_alu instid0(VALU_DEP_1) | instskip(NEXT) | instid1(VALU_DEP_1)
	v_dual_add_f32 v20, v24, v20 :: v_dual_add_f32 v21, v25, v21
	v_dual_add_f32 v69, v20, v22 :: v_dual_add_f32 v70, v21, v23
.LBB181_70:                             ;   in Loop: Header=BB181_4 Depth=1
	s_wait_alu 0xfffe
	s_or_b32 exec_lo, exec_lo, s18
	v_dual_mul_f32 v20, v9, v19 :: v_dual_mul_f32 v21, v11, v5
	v_mul_f32_e32 v19, v8, v19
	v_dual_mul_f32 v5, v10, v5 :: v_dual_mul_f32 v22, v1, v7
	s_delay_alu instid0(VALU_DEP_3) | instskip(NEXT) | instid1(VALU_DEP_4)
	v_fma_f32 v8, v8, v18, -v20
	v_fma_f32 v10, v10, v4, -v21
	v_mul_f32_e32 v7, v0, v7
	s_wait_loadcnt 0x0
	v_fma_f32 v0, v0, v6, -v22
	v_add_f32_e32 v8, 0, v8
	v_fmac_f32_e32 v5, v11, v4
	v_fmac_f32_e32 v7, v1, v6
	s_barrier_signal -1
	s_barrier_wait -1
	v_add_f32_e32 v8, v8, v10
	v_fmac_f32_e32 v19, v9, v18
	global_inv scope:SCOPE_SE
	v_dual_add_f32 v0, v8, v0 :: v_dual_mul_f32 v9, v3, v17
	v_dual_add_f32 v4, 0, v19 :: v_dual_mul_f32 v11, v2, v17
	s_delay_alu instid0(VALU_DEP_2) | instskip(NEXT) | instid1(VALU_DEP_2)
	v_fma_f32 v2, v2, v16, -v9
	v_add_f32_e32 v1, v4, v5
	s_delay_alu instid0(VALU_DEP_2) | instskip(NEXT) | instid1(VALU_DEP_2)
	v_dual_add_f32 v0, v0, v2 :: v_dual_fmac_f32 v11, v3, v16
	v_add_f32_e32 v1, v1, v7
	s_delay_alu instid0(VALU_DEP_1)
	v_add_f32_e32 v1, v1, v11
	ds_store_b64 v110, v[0:1]
	s_wait_loadcnt_dscnt 0x0
	s_barrier_signal -1
	s_barrier_wait -1
	global_inv scope:SCOPE_SE
	s_and_saveexec_b32 s18, s10
	s_cbranch_execz .LBB181_72
; %bb.71:                               ;   in Loop: Header=BB181_4 Depth=1
	ds_load_2addr_b64 v[0:3], v108 offset1:1
	ds_load_2addr_b64 v[4:7], v108 offset0:2 offset1:3
	ds_load_2addr_b64 v[8:11], v108 offset0:4 offset1:5
	s_wait_dscnt 0x2
	v_dual_add_f32 v0, v69, v0 :: v_dual_add_f32 v1, v70, v1
	s_delay_alu instid0(VALU_DEP_1) | instskip(SKIP_3) | instid1(VALU_DEP_1)
	v_dual_add_f32 v16, v0, v2 :: v_dual_add_f32 v17, v1, v3
	ds_load_2addr_b64 v[0:3], v108 offset0:6 offset1:7
	s_wait_dscnt 0x2
	v_dual_add_f32 v4, v16, v4 :: v_dual_add_f32 v5, v17, v5
	v_dual_add_f32 v4, v4, v6 :: v_dual_add_f32 v5, v5, v7
	s_wait_dscnt 0x1
	s_delay_alu instid0(VALU_DEP_1) | instskip(NEXT) | instid1(VALU_DEP_1)
	v_dual_add_f32 v4, v4, v8 :: v_dual_add_f32 v5, v5, v9
	v_dual_add_f32 v4, v4, v10 :: v_dual_add_f32 v5, v5, v11
	s_wait_dscnt 0x0
	s_delay_alu instid0(VALU_DEP_1) | instskip(NEXT) | instid1(VALU_DEP_1)
	v_dual_add_f32 v0, v4, v0 :: v_dual_add_f32 v1, v5, v1
	v_dual_add_f32 v69, v0, v2 :: v_dual_add_f32 v70, v1, v3
.LBB181_72:                             ;   in Loop: Header=BB181_4 Depth=1
	s_wait_alu 0xfffe
	s_or_b32 exec_lo, exec_lo, s18
	s_mul_u64 s[18:19], s[44:45], s[34:35]
	s_and_not1_b32 vcc_lo, exec_lo, s74
	s_wait_alu 0xfffe
	s_lshl_b64 s[18:19], s[18:19], 3
	s_wait_loadcnt 0x0
	s_wait_alu 0xfffe
	s_add_nc_u64 s[68:69], s[46:47], s[18:19]
	s_barrier_signal -1
	s_barrier_wait -1
	global_inv scope:SCOPE_SE
	s_cbranch_vccnz .LBB181_130
; %bb.73:                               ;   in Loop: Header=BB181_4 Depth=1
	v_add_co_u32 v168, vcc_lo, v12, s66
	s_wait_alu 0xfffd
	v_add_co_ci_u32_e64 v169, null, s67, v13, vcc_lo
	v_add_co_u32 v170, vcc_lo, v14, v125
	s_wait_alu 0xfffd
	v_add_co_ci_u32_e64 v171, null, v15, v126, vcc_lo
	;; [unrolled: 3-line block ×21, first 2 shown]
	v_mov_b32_e32 v71, v122
	s_mov_b32 s19, ttmp9
	s_mov_b32 s70, s78
	s_wait_alu 0xfffe
	s_cmp_eq_u32 s75, s19
	s_cselect_b32 s79, s72, 0
	s_and_saveexec_b32 s18, s0
	s_cbranch_execz .LBB181_78
.LBB181_74:                             ;   in Loop: Header=BB181_4 Depth=1
	s_wait_alu 0xfffe
	v_cmp_le_i32_e32 vcc_lo, s79, v56
	s_cmp_lg_u32 s79, 0
	s_cselect_b32 s71, -1, 0
	s_wait_alu 0xfffe
	s_and_b32 s71, s71, vcc_lo
	s_wait_alu 0xfffe
	s_and_saveexec_b32 s80, s71
	s_wait_alu 0xfffe
	s_xor_b32 s71, exec_lo, s80
; %bb.75:                               ;   in Loop: Header=BB181_4 Depth=1
	v_mov_b32_e32 v58, v57
	ds_store_b64 v113, v[57:58]
; %bb.76:                               ;   in Loop: Header=BB181_4 Depth=1
	s_wait_alu 0xfffe
	s_and_not1_saveexec_b32 s71, s71
	s_cbranch_execz .LBB181_78
; %bb.77:                               ;   in Loop: Header=BB181_4 Depth=1
	s_ashr_i32 s71, s70, 31
	s_wait_alu 0xfffe
	s_lshl_b64 s[80:81], s[70:71], 3
	s_wait_alu 0xfffe
	v_add_co_u32 v0, vcc_lo, v168, s80
	s_wait_alu 0xfffd
	v_add_co_ci_u32_e64 v1, null, s81, v169, vcc_lo
	flat_load_b64 v[0:1], v[0:1]
	s_wait_loadcnt_dscnt 0x0
	ds_store_b64 v113, v[0:1]
.LBB181_78:                             ;   Parent Loop BB181_4 Depth=1
                                        ; =>  This Inner Loop Header: Depth=2
	s_wait_alu 0xfffe
	s_or_b32 exec_lo, exec_lo, s18
	s_cmp_eq_u32 s79, 0
	v_add_co_u32 v0, vcc_lo, v174, v123
	s_cselect_b32 s71, -1, 0
	s_cmp_lg_u32 s79, 0
	s_wait_alu 0xfffd
	v_add_co_ci_u32_e64 v1, null, v175, v124, vcc_lo
	s_cselect_b32 s18, -1, 0
	s_wait_loadcnt_dscnt 0x0
	s_wait_alu 0xfffe
	s_and_b32 vcc_lo, exec_lo, s18
	s_barrier_signal -1
	s_barrier_wait -1
	global_inv scope:SCOPE_SE
	s_wait_alu 0xfffe
	s_cbranch_vccz .LBB181_86
; %bb.79:                               ;   in Loop: Header=BB181_78 Depth=2
	v_mov_b32_e32 v73, 0
	v_dual_mov_b32 v74, 0 :: v_dual_mov_b32 v75, 0
	v_mov_b32_e32 v76, 0
	s_mov_b32 s80, exec_lo
	v_cmpx_gt_i32_e64 s79, v111
	s_cbranch_execz .LBB181_81
; %bb.80:                               ;   in Loop: Header=BB181_78 Depth=2
	flat_load_b64 v[75:76], v[0:1]
.LBB181_81:                             ;   in Loop: Header=BB181_78 Depth=2
	s_wait_alu 0xfffe
	s_or_b32 exec_lo, exec_lo, s80
	v_or_b32_e32 v2, 1, v111
	s_mov_b32 s80, exec_lo
	s_delay_alu instid0(VALU_DEP_1)
	v_cmpx_gt_i32_e64 s79, v2
	s_cbranch_execz .LBB181_83
; %bb.82:                               ;   in Loop: Header=BB181_78 Depth=2
	v_add_co_u32 v2, vcc_lo, v172, v123
	s_wait_alu 0xfffd
	v_add_co_ci_u32_e64 v3, null, v173, v124, vcc_lo
	flat_load_b64 v[73:74], v[2:3]
.LBB181_83:                             ;   in Loop: Header=BB181_78 Depth=2
	s_wait_alu 0xfffe
	s_or_b32 exec_lo, exec_lo, s80
	v_mov_b32_e32 v77, 0
	v_or_b32_e32 v2, 2, v111
	v_mov_b32_e32 v78, 0
	s_mov_b32 s80, exec_lo
	s_delay_alu instid0(VALU_DEP_2)
	v_cmpx_gt_i32_e64 s79, v2
	s_cbranch_execz .LBB181_85
; %bb.84:                               ;   in Loop: Header=BB181_78 Depth=2
	v_add_co_u32 v2, vcc_lo, v176, v123
	s_wait_alu 0xfffd
	v_add_co_ci_u32_e64 v3, null, v177, v124, vcc_lo
	flat_load_b64 v[77:78], v[2:3]
.LBB181_85:                             ;   in Loop: Header=BB181_78 Depth=2
	s_wait_alu 0xfffe
	s_or_b32 exec_lo, exec_lo, s80
	v_or_b32_e32 v2, 3, v111
	s_delay_alu instid0(VALU_DEP_1)
	v_cmp_gt_i32_e64 s80, s79, v2
	s_branch .LBB181_88
.LBB181_86:                             ;   in Loop: Header=BB181_78 Depth=2
	s_mov_b32 s80, 0
                                        ; implicit-def: $vgpr77_vgpr78
                                        ; implicit-def: $vgpr73_vgpr74
                                        ; implicit-def: $vgpr75_vgpr76
	s_cbranch_execz .LBB181_88
; %bb.87:                               ;   in Loop: Header=BB181_78 Depth=2
	v_add_co_u32 v2, vcc_lo, v172, v123
	s_wait_alu 0xfffd
	v_add_co_ci_u32_e64 v3, null, v173, v124, vcc_lo
	v_add_co_u32 v4, vcc_lo, v170, v123
	s_wait_alu 0xfffd
	v_add_co_ci_u32_e64 v5, null, v171, v124, vcc_lo
	s_wait_loadcnt_dscnt 0x0
	flat_load_b64 v[75:76], v[0:1]
	flat_load_b64 v[73:74], v[2:3]
	;; [unrolled: 1-line block ×3, first 2 shown]
	s_wait_alu 0xfffe
	s_or_b32 s80, s80, exec_lo
.LBB181_88:                             ;   in Loop: Header=BB181_78 Depth=2
	v_mov_b32_e32 v79, 0
	v_mov_b32_e32 v80, 0
	s_wait_alu 0xfffe
	s_and_saveexec_b32 s81, s80
	s_cbranch_execz .LBB181_90
; %bb.89:                               ;   in Loop: Header=BB181_78 Depth=2
	v_add_co_u32 v0, vcc_lo, v178, v123
	s_wait_alu 0xfffd
	v_add_co_ci_u32_e64 v1, null, v179, v124, vcc_lo
	flat_load_b64 v[79:80], v[0:1]
.LBB181_90:                             ;   in Loop: Header=BB181_78 Depth=2
	s_wait_alu 0xfffe
	s_or_b32 exec_lo, exec_lo, s81
	ds_load_b64 v[4:5], v106
	ds_load_b128 v[0:3], v114
	v_cndmask_b32_e64 v40, 0, 1, s18
	s_wait_loadcnt_dscnt 0x1
	v_mul_f32_e32 v9, v5, v75
	v_mul_f32_e32 v7, v5, v74
	v_mul_f32_e32 v11, v5, v73
	v_mul_f32_e32 v6, v5, v76
	v_dual_mul_f32 v12, v5, v78 :: v_dual_mul_f32 v15, v4, v80
	v_mul_f32_e32 v13, v5, v77
	v_mul_f32_e32 v14, v5, v80
	v_fmac_f32_e32 v9, v4, v76
	v_fma_f32 v10, v4, v73, -v7
	v_fmac_f32_e32 v11, v4, v74
	v_fma_f32 v8, v4, v75, -v6
	v_fma_f32 v12, v4, v77, -v12
	v_fmac_f32_e32 v13, v4, v78
	v_fma_f32 v14, v4, v79, -v14
	v_fmac_f32_e32 v15, v5, v79
	ds_load_b128 v[4:7], v114 offset:16
	ds_store_2addr_b64 v115, v[8:9], v[10:11] offset1:67
	ds_store_2addr_b64 v115, v[12:13], v[14:15] offset0:134 offset1:201
	s_wait_dscnt 0x0
	s_barrier_signal -1
	s_barrier_wait -1
	global_inv scope:SCOPE_SE
	ds_load_2addr_b64 v[20:23], v116 offset1:1
	ds_load_2addr_b64 v[16:19], v116 offset0:2 offset1:3
	v_add_co_u32 v8, vcc_lo, v184, v123
	s_wait_alu 0xfffd
	v_add_co_ci_u32_e64 v9, null, v185, v124, vcc_lo
	s_and_not1_b32 vcc_lo, exec_lo, s18
	s_wait_loadcnt_dscnt 0x0
	s_barrier_signal -1
	s_barrier_wait -1
	global_inv scope:SCOPE_SE
	s_wait_alu 0xfffe
	s_cbranch_vccnz .LBB181_98
; %bb.91:                               ;   in Loop: Header=BB181_78 Depth=2
	v_dual_mov_b32 v81, 0 :: v_dual_add_nc_u32 v10, 16, v111
	v_dual_mov_b32 v82, 0 :: v_dual_mov_b32 v83, 0
	v_mov_b32_e32 v84, 0
	s_mov_b32 s18, exec_lo
	s_delay_alu instid0(VALU_DEP_3)
	v_cmpx_gt_i32_e64 s79, v10
	s_cbranch_execz .LBB181_93
; %bb.92:                               ;   in Loop: Header=BB181_78 Depth=2
	flat_load_b64 v[83:84], v[8:9]
.LBB181_93:                             ;   in Loop: Header=BB181_78 Depth=2
	s_wait_alu 0xfffe
	s_or_b32 exec_lo, exec_lo, s18
	v_add_nc_u32_e32 v10, 17, v111
	s_mov_b32 s18, exec_lo
	s_delay_alu instid0(VALU_DEP_1)
	v_cmpx_gt_i32_e64 s79, v10
	s_cbranch_execz .LBB181_95
; %bb.94:                               ;   in Loop: Header=BB181_78 Depth=2
	v_add_co_u32 v10, vcc_lo, v182, v123
	s_wait_alu 0xfffd
	v_add_co_ci_u32_e64 v11, null, v183, v124, vcc_lo
	flat_load_b64 v[81:82], v[10:11]
.LBB181_95:                             ;   in Loop: Header=BB181_78 Depth=2
	s_wait_alu 0xfffe
	s_or_b32 exec_lo, exec_lo, s18
	v_dual_mov_b32 v85, 0 :: v_dual_add_nc_u32 v10, 18, v111
	v_mov_b32_e32 v86, 0
	s_mov_b32 s18, exec_lo
	s_delay_alu instid0(VALU_DEP_2)
	v_cmpx_gt_i32_e64 s79, v10
	s_cbranch_execz .LBB181_97
; %bb.96:                               ;   in Loop: Header=BB181_78 Depth=2
	v_add_co_u32 v10, vcc_lo, v186, v123
	s_wait_alu 0xfffd
	v_add_co_ci_u32_e64 v11, null, v187, v124, vcc_lo
	flat_load_b64 v[85:86], v[10:11]
.LBB181_97:                             ;   in Loop: Header=BB181_78 Depth=2
	s_wait_alu 0xfffe
	s_or_b32 exec_lo, exec_lo, s18
	v_add_nc_u32_e32 v10, 19, v111
	s_delay_alu instid0(VALU_DEP_1)
	v_cmp_gt_i32_e64 s18, s79, v10
	s_branch .LBB181_100
.LBB181_98:                             ;   in Loop: Header=BB181_78 Depth=2
	s_mov_b32 s18, 0
                                        ; implicit-def: $vgpr85_vgpr86
                                        ; implicit-def: $vgpr81_vgpr82
                                        ; implicit-def: $vgpr83_vgpr84
	s_cbranch_execz .LBB181_100
; %bb.99:                               ;   in Loop: Header=BB181_78 Depth=2
	v_add_co_u32 v10, vcc_lo, v182, v123
	s_wait_alu 0xfffd
	v_add_co_ci_u32_e64 v11, null, v183, v124, vcc_lo
	v_add_co_u32 v12, vcc_lo, v180, v123
	s_wait_alu 0xfffd
	v_add_co_ci_u32_e64 v13, null, v181, v124, vcc_lo
	s_wait_loadcnt_dscnt 0x0
	flat_load_b64 v[83:84], v[8:9]
	flat_load_b64 v[81:82], v[10:11]
	;; [unrolled: 1-line block ×3, first 2 shown]
	s_wait_alu 0xfffe
	s_or_b32 s18, s18, exec_lo
.LBB181_100:                            ;   in Loop: Header=BB181_78 Depth=2
	v_mov_b32_e32 v87, 0
	v_mov_b32_e32 v88, 0
	s_wait_alu 0xfffe
	s_and_saveexec_b32 s80, s18
	s_cbranch_execz .LBB181_102
; %bb.101:                              ;   in Loop: Header=BB181_78 Depth=2
	v_add_co_u32 v8, vcc_lo, v188, v123
	s_wait_alu 0xfffd
	v_add_co_ci_u32_e64 v9, null, v189, v124, vcc_lo
	flat_load_b64 v[87:88], v[8:9]
.LBB181_102:                            ;   in Loop: Header=BB181_78 Depth=2
	s_wait_alu 0xfffe
	s_or_b32 exec_lo, exec_lo, s80
	ds_load_b64 v[12:13], v106
	ds_load_b128 v[8:11], v114 offset:128
	v_cmp_ne_u32_e32 vcc_lo, 1, v40
	s_and_b32 vcc_lo, exec_lo, vcc_lo
	s_wait_loadcnt_dscnt 0x1
	v_mul_f32_e32 v25, v13, v83
	v_mul_f32_e32 v15, v13, v82
	;; [unrolled: 1-line block ×4, first 2 shown]
	v_dual_mul_f32 v28, v13, v86 :: v_dual_mul_f32 v31, v12, v88
	v_mul_f32_e32 v29, v13, v85
	v_mul_f32_e32 v30, v13, v88
	v_fmac_f32_e32 v25, v12, v84
	v_fma_f32 v26, v12, v81, -v15
	v_fmac_f32_e32 v27, v12, v82
	v_fma_f32 v24, v12, v83, -v14
	v_fma_f32 v28, v12, v85, -v28
	v_fmac_f32_e32 v29, v12, v86
	v_fma_f32 v30, v12, v87, -v30
	v_fmac_f32_e32 v31, v13, v87
	ds_load_b128 v[12:15], v114 offset:144
	ds_store_2addr_b64 v115, v[24:25], v[26:27] offset1:67
	ds_store_2addr_b64 v115, v[28:29], v[30:31] offset0:134 offset1:201
	s_wait_dscnt 0x0
	s_barrier_signal -1
	s_barrier_wait -1
	global_inv scope:SCOPE_SE
	ds_load_2addr_b64 v[36:39], v116 offset1:1
	ds_load_2addr_b64 v[32:35], v116 offset0:2 offset1:3
	v_add_co_u32 v24, s18, v194, v123
	s_wait_alu 0xf1ff
	v_add_co_ci_u32_e64 v25, null, v195, v124, s18
	s_wait_loadcnt_dscnt 0x0
	s_barrier_signal -1
	s_barrier_wait -1
	global_inv scope:SCOPE_SE
	s_wait_alu 0xfffe
	s_cbranch_vccnz .LBB181_110
; %bb.103:                              ;   in Loop: Header=BB181_78 Depth=2
	v_dual_mov_b32 v89, 0 :: v_dual_add_nc_u32 v26, 32, v111
	v_dual_mov_b32 v90, 0 :: v_dual_mov_b32 v91, 0
	v_mov_b32_e32 v92, 0
	s_mov_b32 s18, exec_lo
	s_delay_alu instid0(VALU_DEP_3)
	v_cmpx_gt_i32_e64 s79, v26
	s_cbranch_execz .LBB181_105
; %bb.104:                              ;   in Loop: Header=BB181_78 Depth=2
	flat_load_b64 v[91:92], v[24:25]
.LBB181_105:                            ;   in Loop: Header=BB181_78 Depth=2
	s_wait_alu 0xfffe
	s_or_b32 exec_lo, exec_lo, s18
	v_add_nc_u32_e32 v26, 33, v111
	s_mov_b32 s18, exec_lo
	s_delay_alu instid0(VALU_DEP_1)
	v_cmpx_gt_i32_e64 s79, v26
	s_cbranch_execz .LBB181_107
; %bb.106:                              ;   in Loop: Header=BB181_78 Depth=2
	v_add_co_u32 v26, vcc_lo, v192, v123
	s_wait_alu 0xfffd
	v_add_co_ci_u32_e64 v27, null, v193, v124, vcc_lo
	flat_load_b64 v[89:90], v[26:27]
.LBB181_107:                            ;   in Loop: Header=BB181_78 Depth=2
	s_wait_alu 0xfffe
	s_or_b32 exec_lo, exec_lo, s18
	v_dual_mov_b32 v93, 0 :: v_dual_add_nc_u32 v26, 34, v111
	v_mov_b32_e32 v94, 0
	s_mov_b32 s18, exec_lo
	s_delay_alu instid0(VALU_DEP_2)
	v_cmpx_gt_i32_e64 s79, v26
	s_cbranch_execz .LBB181_109
; %bb.108:                              ;   in Loop: Header=BB181_78 Depth=2
	v_add_co_u32 v26, vcc_lo, v196, v123
	s_wait_alu 0xfffd
	v_add_co_ci_u32_e64 v27, null, v197, v124, vcc_lo
	flat_load_b64 v[93:94], v[26:27]
.LBB181_109:                            ;   in Loop: Header=BB181_78 Depth=2
	s_wait_alu 0xfffe
	s_or_b32 exec_lo, exec_lo, s18
	v_add_nc_u32_e32 v26, 35, v111
	s_delay_alu instid0(VALU_DEP_1)
	v_cmp_gt_i32_e64 s18, s79, v26
	s_branch .LBB181_112
.LBB181_110:                            ;   in Loop: Header=BB181_78 Depth=2
	s_mov_b32 s18, 0
                                        ; implicit-def: $vgpr93_vgpr94
                                        ; implicit-def: $vgpr89_vgpr90
                                        ; implicit-def: $vgpr91_vgpr92
	s_cbranch_execz .LBB181_112
; %bb.111:                              ;   in Loop: Header=BB181_78 Depth=2
	v_add_co_u32 v26, vcc_lo, v192, v123
	s_wait_alu 0xfffd
	v_add_co_ci_u32_e64 v27, null, v193, v124, vcc_lo
	v_add_co_u32 v28, vcc_lo, v190, v123
	s_wait_alu 0xfffd
	v_add_co_ci_u32_e64 v29, null, v191, v124, vcc_lo
	s_wait_loadcnt_dscnt 0x0
	flat_load_b64 v[91:92], v[24:25]
	flat_load_b64 v[89:90], v[26:27]
	;; [unrolled: 1-line block ×3, first 2 shown]
	s_wait_alu 0xfffe
	s_or_b32 s18, s18, exec_lo
.LBB181_112:                            ;   in Loop: Header=BB181_78 Depth=2
	v_mov_b32_e32 v95, 0
	v_mov_b32_e32 v96, 0
	s_wait_alu 0xfffe
	s_and_saveexec_b32 s80, s18
	s_cbranch_execz .LBB181_114
; %bb.113:                              ;   in Loop: Header=BB181_78 Depth=2
	v_add_co_u32 v24, vcc_lo, v198, v123
	s_wait_alu 0xfffd
	v_add_co_ci_u32_e64 v25, null, v199, v124, vcc_lo
	flat_load_b64 v[95:96], v[24:25]
.LBB181_114:                            ;   in Loop: Header=BB181_78 Depth=2
	s_wait_alu 0xfffe
	s_or_b32 exec_lo, exec_lo, s80
	ds_load_b64 v[28:29], v106
	ds_load_b128 v[24:27], v114 offset:256
	v_cmp_ne_u32_e32 vcc_lo, 1, v40
	v_add_co_u32 v40, s18, v204, v123
	s_and_b32 vcc_lo, exec_lo, vcc_lo
	s_wait_loadcnt_dscnt 0x1
	v_mul_f32_e32 v30, v29, v92
	v_mul_f32_e32 v42, v29, v91
	v_dual_mul_f32 v31, v29, v90 :: v_dual_mul_f32 v48, v28, v96
	v_mul_f32_e32 v44, v29, v89
	s_delay_alu instid0(VALU_DEP_3) | instskip(SKIP_1) | instid1(VALU_DEP_3)
	v_dual_mul_f32 v45, v29, v94 :: v_dual_fmac_f32 v42, v28, v92
	v_mul_f32_e32 v46, v29, v93
	v_dual_mul_f32 v47, v29, v96 :: v_dual_fmac_f32 v44, v28, v90
	v_fma_f32 v41, v28, v91, -v30
	v_fma_f32 v43, v28, v89, -v31
	;; [unrolled: 1-line block ×3, first 2 shown]
	v_fmac_f32_e32 v46, v28, v94
	v_fma_f32 v47, v28, v95, -v47
	v_fmac_f32_e32 v48, v29, v95
	ds_load_b128 v[28:31], v114 offset:272
	ds_store_2addr_b64 v115, v[41:42], v[43:44] offset1:67
	ds_store_2addr_b64 v115, v[45:46], v[47:48] offset0:134 offset1:201
	s_wait_dscnt 0x0
	s_barrier_signal -1
	s_barrier_wait -1
	global_inv scope:SCOPE_SE
	ds_load_2addr_b64 v[52:55], v116 offset1:1
	ds_load_2addr_b64 v[48:51], v116 offset0:2 offset1:3
	s_wait_alu 0xf1ff
	v_add_co_ci_u32_e64 v41, null, v205, v124, s18
	s_wait_loadcnt_dscnt 0x0
	s_barrier_signal -1
	s_barrier_wait -1
	global_inv scope:SCOPE_SE
	s_wait_alu 0xfffe
	s_cbranch_vccnz .LBB181_122
; %bb.115:                              ;   in Loop: Header=BB181_78 Depth=2
	v_dual_mov_b32 v97, 0 :: v_dual_add_nc_u32 v42, 48, v111
	v_dual_mov_b32 v98, 0 :: v_dual_mov_b32 v99, 0
	v_mov_b32_e32 v100, 0
	s_mov_b32 s18, exec_lo
	s_delay_alu instid0(VALU_DEP_3)
	v_cmpx_gt_i32_e64 s79, v42
	s_cbranch_execz .LBB181_117
; %bb.116:                              ;   in Loop: Header=BB181_78 Depth=2
	flat_load_b64 v[99:100], v[40:41]
.LBB181_117:                            ;   in Loop: Header=BB181_78 Depth=2
	s_wait_alu 0xfffe
	s_or_b32 exec_lo, exec_lo, s18
	v_add_nc_u32_e32 v42, 49, v111
	s_mov_b32 s18, exec_lo
	s_delay_alu instid0(VALU_DEP_1)
	v_cmpx_gt_i32_e64 s79, v42
	s_cbranch_execz .LBB181_119
; %bb.118:                              ;   in Loop: Header=BB181_78 Depth=2
	v_add_co_u32 v42, vcc_lo, v202, v123
	s_wait_alu 0xfffd
	v_add_co_ci_u32_e64 v43, null, v203, v124, vcc_lo
	flat_load_b64 v[97:98], v[42:43]
.LBB181_119:                            ;   in Loop: Header=BB181_78 Depth=2
	s_wait_alu 0xfffe
	s_or_b32 exec_lo, exec_lo, s18
	v_dual_mov_b32 v101, 0 :: v_dual_add_nc_u32 v42, 50, v111
	v_mov_b32_e32 v102, 0
	s_mov_b32 s18, exec_lo
	s_delay_alu instid0(VALU_DEP_2)
	v_cmpx_gt_i32_e64 s79, v42
	s_cbranch_execz .LBB181_121
; %bb.120:                              ;   in Loop: Header=BB181_78 Depth=2
	v_add_co_u32 v42, vcc_lo, v206, v123
	s_wait_alu 0xfffd
	v_add_co_ci_u32_e64 v43, null, v207, v124, vcc_lo
	flat_load_b64 v[101:102], v[42:43]
.LBB181_121:                            ;   in Loop: Header=BB181_78 Depth=2
	s_wait_alu 0xfffe
	s_or_b32 exec_lo, exec_lo, s18
	v_cmp_gt_i32_e64 s18, s79, v119
	s_branch .LBB181_124
.LBB181_122:                            ;   in Loop: Header=BB181_78 Depth=2
	s_mov_b32 s18, 0
                                        ; implicit-def: $vgpr101_vgpr102
                                        ; implicit-def: $vgpr97_vgpr98
                                        ; implicit-def: $vgpr99_vgpr100
	s_cbranch_execz .LBB181_124
; %bb.123:                              ;   in Loop: Header=BB181_78 Depth=2
	v_add_co_u32 v42, vcc_lo, v202, v123
	s_wait_alu 0xfffd
	v_add_co_ci_u32_e64 v43, null, v203, v124, vcc_lo
	v_add_co_u32 v44, vcc_lo, v200, v123
	s_wait_alu 0xfffd
	v_add_co_ci_u32_e64 v45, null, v201, v124, vcc_lo
	s_wait_loadcnt_dscnt 0x0
	flat_load_b64 v[99:100], v[40:41]
	flat_load_b64 v[97:98], v[42:43]
	;; [unrolled: 1-line block ×3, first 2 shown]
	s_wait_alu 0xfffe
	s_or_b32 s18, s18, exec_lo
.LBB181_124:                            ;   in Loop: Header=BB181_78 Depth=2
	v_mov_b32_e32 v103, 0
	v_mov_b32_e32 v104, 0
	s_wait_alu 0xfffe
	s_and_saveexec_b32 s80, s18
	s_cbranch_execz .LBB181_126
; %bb.125:                              ;   in Loop: Header=BB181_78 Depth=2
	v_add_co_u32 v40, vcc_lo, v208, v123
	s_wait_alu 0xfffd
	v_add_co_ci_u32_e64 v41, null, v209, v124, vcc_lo
	flat_load_b64 v[103:104], v[40:41]
.LBB181_126:                            ;   in Loop: Header=BB181_78 Depth=2
	s_wait_alu 0xfffe
	s_or_b32 exec_lo, exec_lo, s80
	ds_load_b64 v[44:45], v106
	ds_load_b128 v[40:43], v114 offset:384
	v_cmp_gt_i32_e32 vcc_lo, s79, v56
	v_add_f32_e32 v52, 0, v52
	v_dual_add_f32 v20, 0, v20 :: v_dual_add_f32 v53, 0, v53
	v_add_f32_e32 v36, 0, v36
	s_or_b32 s18, s71, vcc_lo
	s_wait_alu 0xfffe
	s_and_b32 s71, s17, s18
	v_add_f32_e32 v20, v20, v22
	v_dual_add_f32 v36, v36, v38 :: v_dual_add_f32 v21, 0, v21
	s_delay_alu instid0(VALU_DEP_2) | instskip(NEXT) | instid1(VALU_DEP_2)
	v_add_f32_e32 v38, v20, v16
	v_dual_add_f32 v32, v36, v32 :: v_dual_add_f32 v21, v21, v23
	s_wait_loadcnt_dscnt 0x1
	v_mul_f32_e32 v211, v45, v99
	v_dual_mul_f32 v58, v45, v102 :: v_dual_mul_f32 v217, v44, v104
	v_mul_f32_e32 v47, v45, v98
	v_mul_f32_e32 v213, v45, v97
	;; [unrolled: 1-line block ×4, first 2 shown]
	v_fma_f32 v214, v44, v101, -v58
	v_add_f32_e32 v58, v52, v54
	v_mul_f32_e32 v72, v45, v104
	v_fmac_f32_e32 v211, v44, v100
	v_fma_f32 v212, v44, v97, -v47
	v_fmac_f32_e32 v213, v44, v98
	v_fma_f32 v210, v44, v99, -v46
	;; [unrolled: 2-line block ×3, first 2 shown]
	v_fmac_f32_e32 v217, v45, v103
	ds_load_b128 v[44:47], v114 offset:400
	v_add_f32_e32 v72, v53, v55
	ds_store_2addr_b64 v115, v[210:211], v[212:213] offset1:67
	ds_store_2addr_b64 v115, v[214:215], v[216:217] offset0:134 offset1:201
	s_wait_dscnt 0x0
	s_barrier_signal -1
	s_barrier_wait -1
	global_inv scope:SCOPE_SE
	ds_load_2addr_b64 v[210:213], v116 offset1:1
	ds_load_2addr_b64 v[52:55], v116 offset0:2 offset1:3
	v_dual_add_f32 v37, 0, v37 :: v_dual_add_f32 v22, v58, v48
	v_add_f32_e32 v23, v72, v49
	s_wait_loadcnt_dscnt 0x0
	s_barrier_signal -1
	s_delay_alu instid0(VALU_DEP_2)
	v_dual_add_f32 v37, v37, v39 :: v_dual_add_f32 v16, v22, v50
	v_add_f32_e32 v20, v32, v34
	s_barrier_wait -1
	global_inv scope:SCOPE_SE
	v_add_f32_e32 v18, v38, v18
	v_dual_add_f32 v36, 0, v210 :: v_dual_add_f32 v33, v37, v33
	s_delay_alu instid0(VALU_DEP_1) | instskip(SKIP_1) | instid1(VALU_DEP_2)
	v_dual_add_f32 v37, 0, v211 :: v_dual_add_f32 v22, v36, v212
	v_add_f32_e32 v39, v21, v17
	v_dual_add_f32 v36, v37, v213 :: v_dual_add_f32 v17, v23, v51
	s_delay_alu instid0(VALU_DEP_3) | instskip(NEXT) | instid1(VALU_DEP_3)
	v_dual_add_f32 v21, v33, v35 :: v_dual_add_f32 v22, v22, v52
	v_add_f32_e32 v19, v39, v19
	s_delay_alu instid0(VALU_DEP_2) | instskip(NEXT) | instid1(VALU_DEP_1)
	v_dual_add_f32 v23, v36, v53 :: v_dual_add_f32 v22, v22, v54
	v_add_f32_e32 v23, v23, v55
	ds_store_2addr_b64 v166, v[18:19], v[20:21] offset1:16
	ds_store_2addr_b64 v166, v[16:17], v[22:23] offset0:32 offset1:48
	s_wait_loadcnt_dscnt 0x0
	s_barrier_signal -1
	s_barrier_wait -1
	global_inv scope:SCOPE_SE
	s_wait_alu 0xfffe
	s_and_saveexec_b32 s18, s71
	s_cbranch_execz .LBB181_128
; %bb.127:                              ;   in Loop: Header=BB181_78 Depth=2
	ds_load_b64 v[36:37], v117
	ds_load_2addr_b64 v[16:19], v117 offset0:1 offset1:2
	ds_load_2addr_b64 v[20:23], v117 offset0:3 offset1:4
	ds_load_2addr_b64 v[32:35], v117 offset0:5 offset1:6
	v_ashrrev_i32_e32 v72, 31, v71
	s_wait_dscnt 0x2
	v_dual_add_f32 v16, v16, v36 :: v_dual_add_f32 v17, v17, v37
	s_delay_alu instid0(VALU_DEP_1) | instskip(SKIP_3) | instid1(VALU_DEP_1)
	v_dual_add_f32 v36, v18, v16 :: v_dual_add_f32 v37, v19, v17
	ds_load_2addr_b64 v[16:19], v117 offset0:7 offset1:8
	s_wait_dscnt 0x2
	v_dual_add_f32 v20, v36, v20 :: v_dual_add_f32 v21, v37, v21
	v_dual_add_f32 v36, v20, v22 :: v_dual_add_f32 v37, v21, v23
	ds_load_2addr_b64 v[20:23], v117 offset0:9 offset1:10
	s_wait_dscnt 0x2
	v_dual_add_f32 v32, v36, v32 :: v_dual_add_f32 v33, v37, v33
	s_delay_alu instid0(VALU_DEP_1) | instskip(SKIP_3) | instid1(VALU_DEP_1)
	v_dual_add_f32 v36, v32, v34 :: v_dual_add_f32 v37, v33, v35
	ds_load_2addr_b64 v[32:35], v117 offset0:11 offset1:12
	s_wait_dscnt 0x2
	v_dual_add_f32 v16, v36, v16 :: v_dual_add_f32 v17, v37, v17
	v_dual_add_f32 v36, v16, v18 :: v_dual_add_f32 v37, v17, v19
	ds_load_2addr_b64 v[16:19], v117 offset0:13 offset1:14
	s_wait_dscnt 0x2
	v_dual_add_f32 v20, v36, v20 :: v_dual_add_f32 v21, v37, v21
	s_delay_alu instid0(VALU_DEP_1) | instskip(SKIP_3) | instid1(VALU_DEP_1)
	v_dual_add_f32 v22, v20, v22 :: v_dual_add_f32 v23, v21, v23
	ds_load_b64 v[20:21], v118
	s_wait_dscnt 0x2
	v_dual_add_f32 v22, v22, v32 :: v_dual_add_f32 v23, v23, v33
	v_dual_add_f32 v22, v22, v34 :: v_dual_add_f32 v23, v23, v35
	s_wait_dscnt 0x1
	s_delay_alu instid0(VALU_DEP_1) | instskip(NEXT) | instid1(VALU_DEP_1)
	v_dual_add_f32 v16, v22, v16 :: v_dual_add_f32 v17, v23, v17
	v_dual_add_f32 v18, v16, v18 :: v_dual_add_f32 v19, v17, v19
	v_lshlrev_b64_e32 v[16:17], 3, v[71:72]
	s_wait_dscnt 0x0
	s_delay_alu instid0(VALU_DEP_2) | instskip(NEXT) | instid1(VALU_DEP_2)
	v_dual_add_f32 v18, v18, v20 :: v_dual_add_f32 v19, v19, v21
	v_add_co_u32 v16, vcc_lo, s68, v16
	s_wait_alu 0xfffd
	s_delay_alu instid0(VALU_DEP_3)
	v_add_co_ci_u32_e64 v17, null, s69, v17, vcc_lo
	global_store_b64 v[16:17], v[18:19], off
.LBB181_128:                            ;   in Loop: Header=BB181_78 Depth=2
	s_wait_alu 0xfffe
	s_or_b32 exec_lo, exec_lo, s18
	v_dual_mul_f32 v16, v1, v76 :: v_dual_mul_f32 v17, v3, v74
	v_dual_mul_f32 v3, v3, v73 :: v_dual_mul_f32 v18, v5, v78
	v_add_co_u32 v170, vcc_lo, v170, s58
	s_delay_alu instid0(VALU_DEP_3) | instskip(NEXT) | instid1(VALU_DEP_4)
	v_fma_f32 v16, v0, v75, -v16
	v_fma_f32 v17, v2, v73, -v17
	s_delay_alu instid0(VALU_DEP_4)
	v_fmac_f32_e32 v3, v2, v74
	s_wait_alu 0xfffd
	v_add_co_ci_u32_e64 v171, null, s59, v171, vcc_lo
	v_add_f32_e32 v16, v69, v16
	v_mul_f32_e32 v1, v1, v75
	v_add_co_u32 v172, vcc_lo, v172, s58
	s_wait_alu 0xfffd
	v_add_co_ci_u32_e64 v173, null, s59, v173, vcc_lo
	v_add_f32_e32 v16, v16, v17
	v_fmac_f32_e32 v1, v0, v76
	v_fma_f32 v0, v4, v77, -v18
	v_mul_f32_e32 v5, v5, v77
	v_dual_mul_f32 v20, v9, v84 :: v_dual_mul_f32 v17, v11, v82
	v_add_co_u32 v174, vcc_lo, v174, s58
	s_delay_alu instid0(VALU_DEP_4)
	v_add_f32_e32 v0, v16, v0
	v_mul_f32_e32 v19, v7, v80
	v_mul_f32_e32 v7, v7, v79
	v_fmac_f32_e32 v5, v4, v78
	v_fma_f32 v4, v10, v81, -v17
	s_wait_alu 0xfffd
	v_add_co_ci_u32_e64 v175, null, s59, v175, vcc_lo
	v_fma_f32 v2, v6, v79, -v19
	v_add_co_u32 v176, vcc_lo, v176, s58
	s_wait_alu 0xfffd
	v_add_co_ci_u32_e64 v177, null, s59, v177, vcc_lo
	s_delay_alu instid0(VALU_DEP_3) | instskip(SKIP_4) | instid1(VALU_DEP_3)
	v_add_f32_e32 v0, v0, v2
	v_dual_mul_f32 v2, v13, v86 :: v_dual_add_f32 v1, v70, v1
	v_add_co_u32 v178, vcc_lo, v178, s58
	s_wait_alu 0xfffd
	v_add_co_ci_u32_e64 v179, null, s59, v179, vcc_lo
	v_add_f32_e32 v1, v1, v3
	v_fma_f32 v3, v8, v83, -v20
	v_fma_f32 v2, v12, v85, -v2
	v_add_co_u32 v180, vcc_lo, v180, s58
	s_wait_alu 0xfffd
	v_add_co_ci_u32_e64 v181, null, s59, v181, vcc_lo
	v_add_f32_e32 v0, v0, v3
	v_mul_f32_e32 v9, v9, v83
	v_mul_f32_e32 v3, v15, v88
	v_add_co_u32 v182, vcc_lo, v182, s58
	s_delay_alu instid0(VALU_DEP_4) | instskip(SKIP_1) | instid1(VALU_DEP_4)
	v_dual_add_f32 v0, v0, v4 :: v_dual_mul_f32 v11, v11, v81
	v_mul_f32_e32 v4, v13, v85
	v_fma_f32 v3, v14, v87, -v3
	v_fmac_f32_e32 v9, v8, v84
	s_delay_alu instid0(VALU_DEP_4) | instskip(SKIP_2) | instid1(VALU_DEP_3)
	v_add_f32_e32 v0, v0, v2
	v_mul_f32_e32 v2, v25, v92
	v_dual_fmac_f32 v7, v6, v80 :: v_dual_fmac_f32 v4, v12, v86
	v_dual_fmac_f32 v11, v10, v82 :: v_dual_add_f32 v0, v0, v3
	s_delay_alu instid0(VALU_DEP_3) | instskip(SKIP_3) | instid1(VALU_DEP_4)
	v_fma_f32 v2, v24, v91, -v2
	v_add_f32_e32 v1, v1, v5
	v_mul_f32_e32 v3, v27, v90
	v_mul_f32_e32 v6, v47, v103
	v_dual_mul_f32 v5, v15, v87 :: v_dual_add_f32 v0, v0, v2
	s_delay_alu instid0(VALU_DEP_4) | instskip(NEXT) | instid1(VALU_DEP_4)
	v_add_f32_e32 v1, v1, v7
	v_fma_f32 v2, v26, v89, -v3
	v_mul_f32_e32 v3, v29, v94
	s_wait_alu 0xfffd
	v_add_co_ci_u32_e64 v183, null, s59, v183, vcc_lo
	s_delay_alu instid0(VALU_DEP_3) | instskip(NEXT) | instid1(VALU_DEP_3)
	v_dual_add_f32 v1, v1, v9 :: v_dual_add_f32 v0, v0, v2
	v_fma_f32 v2, v28, v93, -v3
	v_mul_f32_e32 v3, v31, v96
	v_add_co_u32 v184, vcc_lo, v184, s58
	s_delay_alu instid0(VALU_DEP_3) | instskip(NEXT) | instid1(VALU_DEP_3)
	v_dual_add_f32 v1, v1, v11 :: v_dual_add_f32 v0, v0, v2
	v_fma_f32 v2, v30, v95, -v3
	v_mul_f32_e32 v3, v41, v100
	s_wait_alu 0xfffd
	v_add_co_ci_u32_e64 v185, null, s59, v185, vcc_lo
	s_delay_alu instid0(VALU_DEP_3) | instskip(NEXT) | instid1(VALU_DEP_3)
	v_dual_add_f32 v1, v1, v4 :: v_dual_add_f32 v0, v0, v2
	v_fma_f32 v2, v40, v99, -v3
	v_mul_f32_e32 v3, v43, v98
	v_dual_fmac_f32 v5, v14, v88 :: v_dual_mul_f32 v4, v25, v91
	v_fmac_f32_e32 v6, v46, v104
	s_delay_alu instid0(VALU_DEP_4) | instskip(NEXT) | instid1(VALU_DEP_4)
	v_add_f32_e32 v0, v0, v2
	v_fma_f32 v2, v42, v97, -v3
	s_delay_alu instid0(VALU_DEP_4) | instskip(SKIP_1) | instid1(VALU_DEP_3)
	v_dual_add_f32 v1, v1, v5 :: v_dual_fmac_f32 v4, v24, v92
	v_add_co_u32 v186, vcc_lo, v186, s58
	v_add_f32_e32 v0, v0, v2
	v_mul_f32_e32 v2, v45, v101
	v_mul_f32_e32 v5, v27, v89
	v_add_f32_e32 v1, v1, v4
	v_mul_f32_e32 v4, v29, v93
	s_wait_alu 0xfffd
	v_add_co_ci_u32_e64 v187, null, s59, v187, vcc_lo
	v_fmac_f32_e32 v2, v44, v102
	v_fmac_f32_e32 v5, v26, v90
	;; [unrolled: 1-line block ×3, first 2 shown]
	v_add_co_u32 v188, vcc_lo, v188, s58
	v_mul_f32_e32 v3, v43, v97
	s_delay_alu instid0(VALU_DEP_4)
	v_add_f32_e32 v1, v1, v5
	v_mul_f32_e32 v5, v31, v95
	s_wait_alu 0xfffd
	v_add_co_ci_u32_e64 v189, null, s59, v189, vcc_lo
	v_add_co_u32 v190, vcc_lo, v190, s58
	v_add_f32_e32 v1, v1, v4
	v_dual_fmac_f32 v5, v30, v96 :: v_dual_mul_f32 v4, v41, v99
	s_wait_alu 0xfffd
	v_add_co_ci_u32_e64 v191, null, s59, v191, vcc_lo
	v_add_co_u32 v192, vcc_lo, v192, s58
	s_delay_alu instid0(VALU_DEP_3)
	v_dual_add_f32 v1, v1, v5 :: v_dual_fmac_f32 v4, v40, v100
	s_wait_alu 0xfffd
	v_add_co_ci_u32_e64 v193, null, s59, v193, vcc_lo
	v_add_co_u32 v194, vcc_lo, v194, s58
	v_mul_f32_e32 v5, v45, v102
	v_fmac_f32_e32 v3, v42, v98
	v_add_f32_e32 v1, v1, v4
	s_wait_alu 0xfffd
	v_add_co_ci_u32_e64 v195, null, s59, v195, vcc_lo
	v_add_co_u32 v196, vcc_lo, v196, s58
	s_wait_alu 0xfffd
	v_add_co_ci_u32_e64 v197, null, s59, v197, vcc_lo
	v_add_co_u32 v198, vcc_lo, v198, s58
	v_fma_f32 v4, v44, v101, -v5
	v_mul_f32_e32 v5, v47, v104
	v_add_f32_e32 v1, v1, v3
	s_wait_alu 0xfffd
	v_add_co_ci_u32_e64 v199, null, s59, v199, vcc_lo
	v_add_co_u32 v200, vcc_lo, v200, s58
	s_wait_alu 0xfffd
	v_add_co_ci_u32_e64 v201, null, s59, v201, vcc_lo
	v_add_co_u32 v202, vcc_lo, v202, s58
	;; [unrolled: 3-line block ×3, first 2 shown]
	v_add_f32_e32 v0, v0, v4
	v_fma_f32 v3, v46, v103, -v5
	v_add_f32_e32 v1, v1, v2
	s_wait_alu 0xfffd
	v_add_co_ci_u32_e64 v205, null, s59, v205, vcc_lo
	v_add_co_u32 v206, vcc_lo, v206, s58
	s_wait_alu 0xfffd
	v_add_co_ci_u32_e64 v207, null, s59, v207, vcc_lo
	v_add_co_u32 v208, vcc_lo, v208, s58
	v_dual_add_f32 v69, v0, v3 :: v_dual_add_f32 v70, v1, v6
	v_add_nc_u32_e32 v71, 64, v71
	s_wait_alu 0xfffd
	v_add_co_ci_u32_e64 v209, null, s59, v209, vcc_lo
	s_add_co_i32 s18, s19, 1
	s_add_co_i32 s19, s19, 2
	;; [unrolled: 1-line block ×3, first 2 shown]
	s_wait_alu 0xfffe
	s_cmp_ge_u32 s19, s40
	s_wait_loadcnt 0x0
	s_wait_storecnt 0x0
	s_barrier_signal -1
	s_barrier_wait -1
	global_inv scope:SCOPE_SE
	s_cbranch_scc1 .LBB181_130
; %bb.129:                              ;   in Loop: Header=BB181_78 Depth=2
	s_mov_b32 s19, s18
	s_wait_alu 0xfffe
	s_cmp_eq_u32 s75, s19
	s_cselect_b32 s79, s72, 0
	s_and_saveexec_b32 s18, s0
	s_cbranch_execnz .LBB181_74
	s_branch .LBB181_78
.LBB181_130:                            ;   in Loop: Header=BB181_4 Depth=1
	ds_store_b64 v120, v[69:70]
	s_wait_loadcnt_dscnt 0x0
	s_barrier_signal -1
	s_barrier_wait -1
	global_inv scope:SCOPE_SE
	s_and_saveexec_b32 s18, s77
	s_cbranch_execz .LBB181_2
; %bb.131:                              ;   in Loop: Header=BB181_4 Depth=1
	ds_load_2addr_b64 v[0:3], v105 offset1:67
	ds_load_2addr_b64 v[4:7], v105 offset0:134 offset1:201
	s_wait_dscnt 0x1
	v_dual_add_f32 v0, v2, v0 :: v_dual_add_f32 v1, v3, v1
	s_wait_alu 0xfffe
	v_add_co_u32 v2, vcc_lo, s68, v67
	s_wait_alu 0xfffd
	v_add_co_ci_u32_e64 v3, null, s69, v68, vcc_lo
	s_wait_dscnt 0x0
	v_dual_add_f32 v0, v4, v0 :: v_dual_add_f32 v1, v5, v1
	s_delay_alu instid0(VALU_DEP_1)
	v_dual_add_f32 v0, v0, v6 :: v_dual_add_f32 v1, v1, v7
	global_store_b64 v[2:3], v[0:1], off
	s_branch .LBB181_2
.LBB181_132:                            ;   in Loop: Header=BB181_4 Depth=1
	ds_load_b64 v[2:3], v162
	s_wait_dscnt 0x0
	ds_store_b64 v107, v[2:3]
	s_wait_alu 0xfffe
	s_or_b32 exec_lo, exec_lo, s18
	s_and_saveexec_b32 s18, s7
	s_cbranch_execz .LBB181_28
.LBB181_133:                            ;   in Loop: Header=BB181_4 Depth=1
	ds_load_b64 v[2:3], v163
	s_wait_dscnt 0x0
	ds_store_b64 v107, v[2:3] offset:8
	s_wait_alu 0xfffe
	s_or_b32 exec_lo, exec_lo, s18
	s_and_saveexec_b32 s18, s8
	s_cbranch_execz .LBB181_29
.LBB181_134:                            ;   in Loop: Header=BB181_4 Depth=1
	ds_load_b64 v[2:3], v163 offset:264
	s_wait_dscnt 0x0
	ds_store_b64 v107, v[2:3] offset:16
	s_wait_alu 0xfffe
	s_or_b32 exec_lo, exec_lo, s18
	s_and_saveexec_b32 s18, s9
	s_cbranch_execnz .LBB181_30
	s_branch .LBB181_31
.LBB181_135:                            ;   in Loop: Header=BB181_4 Depth=1
	ds_load_b64 v[2:3], v162
	s_wait_dscnt 0x0
	ds_store_b64 v107, v[2:3]
	s_wait_alu 0xfffe
	s_or_b32 exec_lo, exec_lo, s18
	s_and_saveexec_b32 s18, s7
	s_cbranch_execz .LBB181_49
.LBB181_136:                            ;   in Loop: Header=BB181_4 Depth=1
	ds_load_b64 v[2:3], v163
	s_wait_dscnt 0x0
	ds_store_b64 v107, v[2:3] offset:8
	s_wait_alu 0xfffe
	s_or_b32 exec_lo, exec_lo, s18
	s_and_saveexec_b32 s18, s8
	s_cbranch_execz .LBB181_50
.LBB181_137:                            ;   in Loop: Header=BB181_4 Depth=1
	ds_load_b64 v[2:3], v163 offset:264
	s_wait_dscnt 0x0
	ds_store_b64 v107, v[2:3] offset:16
	s_wait_alu 0xfffe
	s_or_b32 exec_lo, exec_lo, s18
	s_and_saveexec_b32 s18, s9
	s_cbranch_execnz .LBB181_51
	s_branch .LBB181_52
.LBB181_138:                            ;   in Loop: Header=BB181_4 Depth=1
	flat_load_b64 v[4:5], v[0:1]
	s_wait_loadcnt_dscnt 0x0
	ds_store_b64 v161, v[4:5]
	s_or_b32 exec_lo, exec_lo, s18
	s_and_saveexec_b32 s18, s3
	s_wait_alu 0xfffe
	s_xor_b32 s18, exec_lo, s18
	s_cbranch_execz .LBB181_17
.LBB181_139:                            ;   in Loop: Header=BB181_4 Depth=1
	v_mov_b32_e32 v58, v57
	ds_store_b64 v161, v[57:58] offset:2112
	s_wait_alu 0xfffe
	s_and_not1_saveexec_b32 s18, s18
	s_cbranch_execz .LBB181_18
.LBB181_140:                            ;   in Loop: Header=BB181_4 Depth=1
	s_lshl_b64 s[68:69], s[48:49], 3
	s_wait_alu 0xfffe
	v_add_co_u32 v4, vcc_lo, v0, s68
	s_wait_alu 0xfffd
	v_add_co_ci_u32_e64 v5, null, s69, v1, vcc_lo
	flat_load_b64 v[4:5], v[4:5]
	s_wait_loadcnt_dscnt 0x0
	ds_store_b64 v161, v[4:5] offset:2112
	s_or_b32 exec_lo, exec_lo, s18
	s_and_saveexec_b32 s18, s4
	s_wait_alu 0xfffe
	s_xor_b32 s18, exec_lo, s18
	s_cbranch_execz .LBB181_19
.LBB181_141:                            ;   in Loop: Header=BB181_4 Depth=1
	v_mov_b32_e32 v58, v57
	ds_store_b64 v161, v[57:58] offset:4224
	s_wait_alu 0xfffe
	s_and_not1_saveexec_b32 s18, s18
	s_cbranch_execz .LBB181_20
.LBB181_142:                            ;   in Loop: Header=BB181_4 Depth=1
	v_add_co_u32 v4, vcc_lo, v0, s60
	s_wait_alu 0xfffd
	v_add_co_ci_u32_e64 v5, null, s61, v1, vcc_lo
	flat_load_b64 v[4:5], v[4:5]
	s_wait_loadcnt_dscnt 0x0
	ds_store_b64 v161, v[4:5] offset:4224
	s_wait_alu 0xfffe
	s_or_b32 exec_lo, exec_lo, s18
	s_and_saveexec_b32 s18, s5
	s_wait_alu 0xfffe
	s_xor_b32 s18, exec_lo, s18
	s_cbranch_execz .LBB181_21
.LBB181_143:                            ;   in Loop: Header=BB181_4 Depth=1
	v_mov_b32_e32 v58, v57
	ds_store_b64 v161, v[57:58] offset:6336
	s_wait_alu 0xfffe
	s_and_not1_saveexec_b32 s18, s18
	s_cbranch_execnz .LBB181_22
	s_branch .LBB181_23
.LBB181_144:                            ;   in Loop: Header=BB181_4 Depth=1
	flat_load_b64 v[6:7], v[0:1]
	s_wait_loadcnt_dscnt 0x0
	ds_store_b64 v161, v[6:7]
	s_or_b32 exec_lo, exec_lo, s18
	s_and_saveexec_b32 s18, s13
	s_wait_alu 0xfffe
	s_xor_b32 s18, exec_lo, s18
	s_cbranch_execz .LBB181_38
.LBB181_145:                            ;   in Loop: Header=BB181_4 Depth=1
	v_mov_b32_e32 v58, v57
	ds_store_b64 v161, v[57:58] offset:2112
	s_wait_alu 0xfffe
	s_and_not1_saveexec_b32 s18, s18
	s_cbranch_execz .LBB181_39
.LBB181_146:                            ;   in Loop: Header=BB181_4 Depth=1
	s_lshl_b64 s[68:69], s[48:49], 3
	s_wait_alu 0xfffe
	v_add_co_u32 v6, vcc_lo, v0, s68
	s_wait_alu 0xfffd
	v_add_co_ci_u32_e64 v7, null, s69, v1, vcc_lo
	flat_load_b64 v[6:7], v[6:7]
	s_wait_loadcnt_dscnt 0x0
	ds_store_b64 v161, v[6:7] offset:2112
	s_or_b32 exec_lo, exec_lo, s18
	s_and_saveexec_b32 s18, s14
	s_wait_alu 0xfffe
	s_xor_b32 s18, exec_lo, s18
	s_cbranch_execz .LBB181_40
.LBB181_147:                            ;   in Loop: Header=BB181_4 Depth=1
	v_mov_b32_e32 v58, v57
	ds_store_b64 v161, v[57:58] offset:4224
	s_wait_alu 0xfffe
	s_and_not1_saveexec_b32 s18, s18
	s_cbranch_execz .LBB181_41
.LBB181_148:                            ;   in Loop: Header=BB181_4 Depth=1
	v_add_co_u32 v6, vcc_lo, v0, s60
	s_wait_alu 0xfffd
	v_add_co_ci_u32_e64 v7, null, s61, v1, vcc_lo
	flat_load_b64 v[6:7], v[6:7]
	s_wait_loadcnt_dscnt 0x0
	ds_store_b64 v161, v[6:7] offset:4224
	s_wait_alu 0xfffe
	s_or_b32 exec_lo, exec_lo, s18
	s_and_saveexec_b32 s18, s15
	s_wait_alu 0xfffe
	s_xor_b32 s18, exec_lo, s18
	s_cbranch_execz .LBB181_42
.LBB181_149:                            ;   in Loop: Header=BB181_4 Depth=1
	v_mov_b32_e32 v58, v57
	ds_store_b64 v161, v[57:58] offset:6336
	s_wait_alu 0xfffe
	s_and_not1_saveexec_b32 s18, s18
	s_cbranch_execnz .LBB181_43
	s_branch .LBB181_44
.LBB181_150:                            ;   in Loop: Header=BB181_4 Depth=1
	flat_load_b64 v[6:7], v[4:5]
	s_wait_loadcnt_dscnt 0x0
	ds_store_b64 v161, v[6:7]
	s_or_b32 exec_lo, exec_lo, s18
	s_and_saveexec_b32 s18, s13
	s_wait_alu 0xfffe
	s_xor_b32 s18, exec_lo, s18
	s_cbranch_execz .LBB181_59
.LBB181_151:                            ;   in Loop: Header=BB181_4 Depth=1
	v_mov_b32_e32 v58, v57
	ds_store_b64 v161, v[57:58] offset:2112
	s_wait_alu 0xfffe
	s_and_not1_saveexec_b32 s18, s18
	s_cbranch_execz .LBB181_60
.LBB181_152:                            ;   in Loop: Header=BB181_4 Depth=1
	s_lshl_b64 s[68:69], s[48:49], 3
	s_wait_alu 0xfffe
	v_add_co_u32 v6, vcc_lo, v4, s68
	s_wait_alu 0xfffd
	v_add_co_ci_u32_e64 v7, null, s69, v5, vcc_lo
	flat_load_b64 v[6:7], v[6:7]
	s_wait_loadcnt_dscnt 0x0
	ds_store_b64 v161, v[6:7] offset:2112
	s_or_b32 exec_lo, exec_lo, s18
	s_and_saveexec_b32 s18, s14
	s_wait_alu 0xfffe
	s_xor_b32 s18, exec_lo, s18
	s_cbranch_execz .LBB181_61
.LBB181_153:                            ;   in Loop: Header=BB181_4 Depth=1
	v_mov_b32_e32 v58, v57
	ds_store_b64 v161, v[57:58] offset:4224
	s_wait_alu 0xfffe
	s_and_not1_saveexec_b32 s18, s18
	s_cbranch_execz .LBB181_62
.LBB181_154:                            ;   in Loop: Header=BB181_4 Depth=1
	v_add_co_u32 v6, vcc_lo, v4, s60
	s_wait_alu 0xfffd
	v_add_co_ci_u32_e64 v7, null, s61, v5, vcc_lo
	flat_load_b64 v[6:7], v[6:7]
	s_wait_loadcnt_dscnt 0x0
	ds_store_b64 v161, v[6:7] offset:4224
	s_wait_alu 0xfffe
	s_or_b32 exec_lo, exec_lo, s18
	s_and_saveexec_b32 s18, s15
	s_wait_alu 0xfffe
	s_xor_b32 s18, exec_lo, s18
	s_cbranch_execz .LBB181_63
.LBB181_155:                            ;   in Loop: Header=BB181_4 Depth=1
	v_mov_b32_e32 v58, v57
	ds_store_b64 v161, v[57:58] offset:6336
	s_wait_alu 0xfffe
	s_and_not1_saveexec_b32 s18, s18
	s_cbranch_execnz .LBB181_64
	s_branch .LBB181_65
.LBB181_156:
	s_nop 0
	s_sendmsg sendmsg(MSG_DEALLOC_VGPRS)
	s_endpgm
	.section	.rodata,"a",@progbits
	.p2align	6, 0x0
	.amdhsa_kernel _ZL26rocblas_hemvn_kernel_upperILb0ELi64ELi4ELi33ELi32ELi16EiPK19rocblas_complex_numIfEPKS3_PS1_EviT6_lT7_lT5_lS8_lS9_lS7_lT8_i
		.amdhsa_group_segment_fixed_size 9600
		.amdhsa_private_segment_fixed_size 0
		.amdhsa_kernarg_size 376
		.amdhsa_user_sgpr_count 2
		.amdhsa_user_sgpr_dispatch_ptr 0
		.amdhsa_user_sgpr_queue_ptr 0
		.amdhsa_user_sgpr_kernarg_segment_ptr 1
		.amdhsa_user_sgpr_dispatch_id 0
		.amdhsa_user_sgpr_private_segment_size 0
		.amdhsa_wavefront_size32 1
		.amdhsa_uses_dynamic_stack 0
		.amdhsa_enable_private_segment 0
		.amdhsa_system_sgpr_workgroup_id_x 1
		.amdhsa_system_sgpr_workgroup_id_y 0
		.amdhsa_system_sgpr_workgroup_id_z 1
		.amdhsa_system_sgpr_workgroup_info 0
		.amdhsa_system_vgpr_workitem_id 1
		.amdhsa_next_free_vgpr 218
		.amdhsa_next_free_sgpr 92
		.amdhsa_reserve_vcc 1
		.amdhsa_float_round_mode_32 0
		.amdhsa_float_round_mode_16_64 0
		.amdhsa_float_denorm_mode_32 3
		.amdhsa_float_denorm_mode_16_64 3
		.amdhsa_fp16_overflow 0
		.amdhsa_workgroup_processor_mode 1
		.amdhsa_memory_ordered 1
		.amdhsa_forward_progress 1
		.amdhsa_inst_pref_size 89
		.amdhsa_round_robin_scheduling 0
		.amdhsa_exception_fp_ieee_invalid_op 0
		.amdhsa_exception_fp_denorm_src 0
		.amdhsa_exception_fp_ieee_div_zero 0
		.amdhsa_exception_fp_ieee_overflow 0
		.amdhsa_exception_fp_ieee_underflow 0
		.amdhsa_exception_fp_ieee_inexact 0
		.amdhsa_exception_int_div_zero 0
	.end_amdhsa_kernel
	.section	.text._ZL26rocblas_hemvn_kernel_upperILb0ELi64ELi4ELi33ELi32ELi16EiPK19rocblas_complex_numIfEPKS3_PS1_EviT6_lT7_lT5_lS8_lS9_lS7_lT8_i,"axG",@progbits,_ZL26rocblas_hemvn_kernel_upperILb0ELi64ELi4ELi33ELi32ELi16EiPK19rocblas_complex_numIfEPKS3_PS1_EviT6_lT7_lT5_lS8_lS9_lS7_lT8_i,comdat
.Lfunc_end181:
	.size	_ZL26rocblas_hemvn_kernel_upperILb0ELi64ELi4ELi33ELi32ELi16EiPK19rocblas_complex_numIfEPKS3_PS1_EviT6_lT7_lT5_lS8_lS9_lS7_lT8_i, .Lfunc_end181-_ZL26rocblas_hemvn_kernel_upperILb0ELi64ELi4ELi33ELi32ELi16EiPK19rocblas_complex_numIfEPKS3_PS1_EviT6_lT7_lT5_lS8_lS9_lS7_lT8_i
                                        ; -- End function
	.set _ZL26rocblas_hemvn_kernel_upperILb0ELi64ELi4ELi33ELi32ELi16EiPK19rocblas_complex_numIfEPKS3_PS1_EviT6_lT7_lT5_lS8_lS9_lS7_lT8_i.num_vgpr, 218
	.set _ZL26rocblas_hemvn_kernel_upperILb0ELi64ELi4ELi33ELi32ELi16EiPK19rocblas_complex_numIfEPKS3_PS1_EviT6_lT7_lT5_lS8_lS9_lS7_lT8_i.num_agpr, 0
	.set _ZL26rocblas_hemvn_kernel_upperILb0ELi64ELi4ELi33ELi32ELi16EiPK19rocblas_complex_numIfEPKS3_PS1_EviT6_lT7_lT5_lS8_lS9_lS7_lT8_i.numbered_sgpr, 92
	.set _ZL26rocblas_hemvn_kernel_upperILb0ELi64ELi4ELi33ELi32ELi16EiPK19rocblas_complex_numIfEPKS3_PS1_EviT6_lT7_lT5_lS8_lS9_lS7_lT8_i.num_named_barrier, 0
	.set _ZL26rocblas_hemvn_kernel_upperILb0ELi64ELi4ELi33ELi32ELi16EiPK19rocblas_complex_numIfEPKS3_PS1_EviT6_lT7_lT5_lS8_lS9_lS7_lT8_i.private_seg_size, 0
	.set _ZL26rocblas_hemvn_kernel_upperILb0ELi64ELi4ELi33ELi32ELi16EiPK19rocblas_complex_numIfEPKS3_PS1_EviT6_lT7_lT5_lS8_lS9_lS7_lT8_i.uses_vcc, 1
	.set _ZL26rocblas_hemvn_kernel_upperILb0ELi64ELi4ELi33ELi32ELi16EiPK19rocblas_complex_numIfEPKS3_PS1_EviT6_lT7_lT5_lS8_lS9_lS7_lT8_i.uses_flat_scratch, 1
	.set _ZL26rocblas_hemvn_kernel_upperILb0ELi64ELi4ELi33ELi32ELi16EiPK19rocblas_complex_numIfEPKS3_PS1_EviT6_lT7_lT5_lS8_lS9_lS7_lT8_i.has_dyn_sized_stack, 0
	.set _ZL26rocblas_hemvn_kernel_upperILb0ELi64ELi4ELi33ELi32ELi16EiPK19rocblas_complex_numIfEPKS3_PS1_EviT6_lT7_lT5_lS8_lS9_lS7_lT8_i.has_recursion, 0
	.set _ZL26rocblas_hemvn_kernel_upperILb0ELi64ELi4ELi33ELi32ELi16EiPK19rocblas_complex_numIfEPKS3_PS1_EviT6_lT7_lT5_lS8_lS9_lS7_lT8_i.has_indirect_call, 0
	.section	.AMDGPU.csdata,"",@progbits
; Kernel info:
; codeLenInByte = 11376
; TotalNumSgprs: 94
; NumVgprs: 218
; ScratchSize: 0
; MemoryBound: 1
; FloatMode: 240
; IeeeMode: 1
; LDSByteSize: 9600 bytes/workgroup (compile time only)
; SGPRBlocks: 0
; VGPRBlocks: 27
; NumSGPRsForWavesPerEU: 94
; NumVGPRsForWavesPerEU: 218
; Occupancy: 6
; WaveLimiterHint : 1
; COMPUTE_PGM_RSRC2:SCRATCH_EN: 0
; COMPUTE_PGM_RSRC2:USER_SGPR: 2
; COMPUTE_PGM_RSRC2:TRAP_HANDLER: 0
; COMPUTE_PGM_RSRC2:TGID_X_EN: 1
; COMPUTE_PGM_RSRC2:TGID_Y_EN: 0
; COMPUTE_PGM_RSRC2:TGID_Z_EN: 1
; COMPUTE_PGM_RSRC2:TIDIG_COMP_CNT: 1
	.section	.text._ZL26rocblas_hemvn_kernel_upperILb0ELi64ELi4ELi33ELi32ELi16El19rocblas_complex_numIfEPKPKS1_PS1_EviT6_lT7_lT5_lS8_lS9_lS7_lT8_i,"axG",@progbits,_ZL26rocblas_hemvn_kernel_upperILb0ELi64ELi4ELi33ELi32ELi16El19rocblas_complex_numIfEPKPKS1_PS1_EviT6_lT7_lT5_lS8_lS9_lS7_lT8_i,comdat
	.globl	_ZL26rocblas_hemvn_kernel_upperILb0ELi64ELi4ELi33ELi32ELi16El19rocblas_complex_numIfEPKPKS1_PS1_EviT6_lT7_lT5_lS8_lS9_lS7_lT8_i ; -- Begin function _ZL26rocblas_hemvn_kernel_upperILb0ELi64ELi4ELi33ELi32ELi16El19rocblas_complex_numIfEPKPKS1_PS1_EviT6_lT7_lT5_lS8_lS9_lS7_lT8_i
	.p2align	8
	.type	_ZL26rocblas_hemvn_kernel_upperILb0ELi64ELi4ELi33ELi32ELi16El19rocblas_complex_numIfEPKPKS1_PS1_EviT6_lT7_lT5_lS8_lS9_lS7_lT8_i,@function
_ZL26rocblas_hemvn_kernel_upperILb0ELi64ELi4ELi33ELi32ELi16El19rocblas_complex_numIfEPKPKS1_PS1_EviT6_lT7_lT5_lS8_lS9_lS7_lT8_i: ; @_ZL26rocblas_hemvn_kernel_upperILb0ELi64ELi4ELi33ELi32ELi16El19rocblas_complex_numIfEPKPKS1_PS1_EviT6_lT7_lT5_lS8_lS9_lS7_lT8_i
; %bb.0:
	s_clause 0x1
	s_load_b64 s[2:3], s[0:1], 0x84
	s_load_b32 s33, s[0:1], 0x70
	s_lshr_b32 s28, ttmp7, 16
	s_wait_kmcnt 0x0
	s_lshr_b32 s4, s2, 16
	s_and_b32 s2, s2, 0xffff
	s_and_b32 s3, s3, 0xffff
	s_mul_i32 s2, s4, s2
	s_delay_alu instid0(SALU_CYCLE_1) | instskip(NEXT) | instid1(SALU_CYCLE_1)
	s_mul_i32 s2, s2, s3
	s_cmp_lg_u32 s2, 0x100
	s_cselect_b32 s2, -1, 0
	s_cmp_ge_u32 s28, s33
	s_cselect_b32 s3, -1, 0
	s_delay_alu instid0(SALU_CYCLE_1) | instskip(NEXT) | instid1(SALU_CYCLE_1)
	s_or_b32 s2, s2, s3
	s_and_b32 vcc_lo, exec_lo, s2
	s_cbranch_vccnz .LBB182_157
; %bb.1:
	s_clause 0x3
	s_load_b64 s[8:9], s[0:1], 0x4
	s_load_b32 s2, s[0:1], 0x0
	s_load_b64 s[6:7], s[0:1], 0x68
	s_load_b64 s[10:11], s[0:1], 0x58
	s_add_nc_u64 s[12:13], s[0:1], 0x78
	s_clause 0x3
	s_load_b128 s[20:23], s[0:1], 0x18
	s_load_b64 s[18:19], s[0:1], 0x28
	s_load_b128 s[24:27], s[0:1], 0x38
	s_load_b64 s[30:31], s[0:1], 0x48
	s_load_b32 s34, s[12:13], 0x0
	v_and_b32_e32 v100, 0x3ff, v0
	v_bfe_u32 v12, v0, 10, 10
	v_dual_mov_b32 v56, 0 :: v_dual_and_b32 v1, 31, v0
	s_mov_b32 s29, 0
	s_mov_b32 s4, ttmp9
	s_delay_alu instid0(VALU_DEP_2) | instskip(NEXT) | instid1(VALU_DEP_2)
	v_lshl_add_u32 v10, v12, 6, v100
	v_lshlrev_b32_e32 v18, 3, v1
	v_mov_b32_e32 v2, v56
	s_mov_b32 s35, s29
	v_mul_u32_u24_e32 v22, 33, v1
	v_lshrrev_b32_e32 v11, 5, v10
	v_lshl_or_b32 v17, v1, 8, v18
	s_wait_kmcnt 0x0
	s_or_b32 s0, s8, s9
	s_ashr_i32 s3, s2, 31
	s_bitset0_b32 s0, 31
	v_mad_co_u64_u32 v[2:3], null, s18, v11, v[1:2]
	s_cmp_eq_u32 s0, 0
	v_lshlrev_b32_e32 v16, 2, v11
	s_cselect_b32 s64, -1, 0
	s_cmp_lg_u32 s0, 0
	v_and_b32_e32 v20, 0x7fe0, v10
	s_cselect_b32 s60, -1, 0
	s_cmp_neq_f32 s10, 1.0
	s_mul_u64 s[38:39], s[34:35], s[2:3]
	v_add_nc_u32_e32 v13, 8, v11
	v_add_nc_u32_e32 v103, v17, v20
	s_cselect_b32 s50, -1, 0
	s_cmp_neq_f32 s11, 0
	v_or_b32_e32 v17, 1, v16
	v_add_nc_u32_e32 v14, 16, v11
	v_mul_u32_u24_e32 v19, 0x108, v11
	s_cselect_b32 s51, -1, 0
	s_lshl_b32 s52, ttmp9, 6
	s_lshr_b32 s1, s3, 26
	v_add_nc_u32_e32 v4, s52, v100
	s_add_co_i32 s1, s2, s1
	s_add_co_i32 s5, s34, -1
	s_and_not1_b32 s1, s1, 63
	v_add_nc_u32_e32 v15, 24, v11
	v_ashrrev_i32_e32 v5, 31, v4
	v_mul_lo_u32 v8, s31, v4
	v_mad_co_u64_u32 v[6:7], null, s30, v4, 0
	s_sub_co_i32 s65, s2, s1
	v_mul_lo_u32 v9, s30, v5
	s_cmp_eq_u32 ttmp9, s5
	v_mul_u32_u24_e32 v21, 0x420, v11
	s_cselect_b32 s36, s65, 0
	v_mul_u32_u24_e32 v24, 0x108, v17
	s_cmp_lg_u32 s36, 0
	v_lshlrev_b32_e32 v17, 3, v11
	s_cselect_b32 s66, -1, 0
	v_add3_u32 v7, v7, v9, v8
	v_mad_co_u64_u32 v[8:9], null, s19, v11, v[3:4]
	s_cmp_eq_u32 s36, 0
	v_cmp_eq_u32_e64 s16, 1, v11
	s_cselect_b32 s1, -1, 0
	s_ashr_i32 s5, ttmp9, 31
	s_sub_co_i32 s15, s36, 32
	s_mul_u64 s[4:5], s[2:3], s[4:5]
	v_mov_b32_e32 v3, v8
	v_sub_co_u32 v8, s2, 0, v1
	s_delay_alu instid0(VALU_DEP_1)
	v_sub_co_ci_u32_e64 v9, null, 0, 0, s2
	v_cmp_le_i32_e64 s2, s36, v11
	v_cmp_le_i32_e64 s12, s15, v11
	v_mul_i32_i24_e32 v107, 0xffffffe8, v11
	v_lshrrev_b32_e32 v11, 4, v10
	s_lshl_b64 s[4:5], s[4:5], 3
	v_cmp_le_i32_e64 s3, s36, v13
	s_add_nc_u64 s[40:41], s[6:7], s[4:5]
	v_cmp_le_i32_e64 s4, s36, v14
	v_add_nc_u32_e32 v105, 0x2380, v20
	v_cmp_le_i32_e64 s13, s15, v13
	v_cmp_le_i32_e64 s14, s15, v14
	v_and_b32_e32 v13, 15, v0
	v_lshlrev_b32_e32 v20, 5, v12
	v_lshlrev_b32_e32 v14, 5, v11
	v_cmp_gt_i32_e32 vcc_lo, s36, v100
	v_cmp_gt_u32_e64 s6, v16, v1
	v_cmp_ge_u32_e64 s7, v16, v1
	v_or_b32_e32 v23, 2, v16
	v_or_b32_e32 v16, 3, v16
	v_mad_u32_u24 v112, 0x218, v13, v14
	v_add_nc_u32_e32 v14, 0x110, v20
	s_or_b32 s61, s1, vcc_lo
	s_add_co_i32 s17, ttmp9, 1
	v_and_b32_e32 v0, 48, v0
	v_lshlrev_b32_e32 v101, 3, v100
	s_xor_b32 s67, s61, -1
	s_ashr_i32 s53, s52, 31
	s_ashr_i32 s37, s36, 31
	s_lshl_b64 s[42:43], s[18:19], 6
	s_lshl_b64 s[44:45], s[18:19], 7
	v_cmp_gt_u32_e64 s9, v16, v1
	v_or_b32_e32 v16, 32, v1
	s_lshl_b64 s[56:57], s[18:19], 5
	v_lshlrev_b32_e32 v104, 3, v22
	v_cmp_gt_u32_e64 s10, 32, v10
	s_cmp_lt_u32 s17, s34
	v_mul_i32_i24_e32 v22, 0xffffffe8, v11
	v_cmp_gt_u32_e64 s17, 64, v10
	v_mad_co_u64_u32 v[10:11], null, s18, v14, 0
	v_lshlrev_b32_e32 v0, 3, v0
	v_cmp_le_i32_e64 s5, s36, v15
	v_cmp_gt_i32_e64 s11, s36, v16
	v_cmp_le_i32_e64 s15, s15, v15
	v_or_b32_e32 v15, 0x78, v101
	v_add_nc_u32_e32 v16, 0x108, v20
	v_mad_u32_u24 v113, 0x218, v13, v0
	v_mov_b32_e32 v0, v11
	v_cmp_eq_u32_e64 s0, 0, v12
	v_lshlrev_b32_e32 v108, 2, v12
	v_mad_u32_u24 v111, 0x860, v12, v101
	v_mad_u32_u24 v114, 0x218, v13, v15
	;; [unrolled: 1-line block ×3, first 2 shown]
	v_mad_co_u64_u32 v[12:13], null, s18, v16, 0
	v_add_nc_u32_e32 v106, v104, v17
	v_add_nc_u32_e32 v131, 0x2380, v17
	;; [unrolled: 1-line block ×3, first 2 shown]
	v_mad_co_u64_u32 v[14:15], null, s19, v14, v[0:1]
	v_lshlrev_b64_e32 v[58:59], 3, v[2:3]
	v_dual_mov_b32 v0, v13 :: v_dual_add_nc_u32 v15, 0x118, v20
	s_delay_alu instid0(VALU_DEP_4) | instskip(SKIP_1) | instid1(VALU_DEP_4)
	v_mad_co_u64_u32 v[2:3], null, s18, v17, 0
	v_cmp_gt_u32_e64 s8, v23, v1
	v_sub_co_u32 v132, vcc_lo, v10, v58
	s_delay_alu instid0(VALU_DEP_1)
	v_sub_co_ci_u32_e64 v133, null, v14, v59, vcc_lo
	v_mad_co_u64_u32 v[13:14], null, s18, v15, 0
	v_mad_co_u64_u32 v[10:11], null, s19, v16, v[0:1]
	v_mov_b32_e32 v0, v3
	v_add_nc_u32_e32 v16, 0x190, v20
	v_sub_co_u32 v134, vcc_lo, v12, v58
	v_mov_b32_e32 v3, v14
	v_add_nc_u32_e32 v23, 0x288, v20
	s_wait_alu 0xfffd
	v_sub_co_ci_u32_e64 v135, null, v10, v59, vcc_lo
	v_mad_co_u64_u32 v[10:11], null, s19, v17, v[0:1]
	v_mad_co_u64_u32 v[11:12], null, s18, v16, 0
	v_mad_co_u64_u32 v[14:15], null, s19, v15, v[3:4]
	v_add_nc_u32_e32 v15, 0x188, v20
	v_sub_co_u32 v136, vcc_lo, v2, v58
	s_wait_alu 0xfffd
	v_sub_co_ci_u32_e64 v137, null, v10, v59, vcc_lo
	v_mov_b32_e32 v0, v12
	v_mad_co_u64_u32 v[2:3], null, s18, v15, 0
	v_add_nc_u32_e32 v10, 0x180, v20
	v_sub_co_u32 v138, vcc_lo, v13, v58
	s_delay_alu instid0(VALU_DEP_4)
	v_mad_co_u64_u32 v[12:13], null, s19, v16, v[0:1]
	s_wait_alu 0xfffd
	v_sub_co_ci_u32_e64 v139, null, v14, v59, vcc_lo
	v_mad_co_u64_u32 v[13:14], null, s18, v10, 0
	v_dual_mov_b32 v0, v3 :: v_dual_add_nc_u32 v3, 0x198, v20
	v_sub_co_u32 v140, vcc_lo, v11, v58
	s_wait_alu 0xfffd
	v_sub_co_ci_u32_e64 v141, null, v12, v59, vcc_lo
	s_delay_alu instid0(VALU_DEP_3) | instskip(SKIP_4) | instid1(VALU_DEP_4)
	v_mad_co_u64_u32 v[15:16], null, s19, v15, v[0:1]
	v_mov_b32_e32 v0, v14
	v_mad_co_u64_u32 v[16:17], null, s18, v3, 0
	v_add_nc_u32_e32 v14, 0x210, v20
	v_sub_co_u32 v142, vcc_lo, v2, v58
	v_mad_co_u64_u32 v[10:11], null, s19, v10, v[0:1]
	s_delay_alu instid0(VALU_DEP_3) | instskip(SKIP_4) | instid1(VALU_DEP_4)
	v_mad_co_u64_u32 v[11:12], null, s18, v14, 0
	v_dual_mov_b32 v2, v17 :: v_dual_add_nc_u32 v109, 0x2180, v101
	s_wait_alu 0xfffd
	v_sub_co_ci_u32_e64 v143, null, v15, v59, vcc_lo
	v_add_nc_u32_e32 v15, 0x208, v20
	v_dual_mov_b32 v0, v12 :: v_dual_add_nc_u32 v119, 17, v108
	v_mad_co_u64_u32 v[2:3], null, s19, v3, v[2:3]
	v_sub_co_u32 v144, vcc_lo, v13, v58
	s_delay_alu instid0(VALU_DEP_4)
	v_mad_co_u64_u32 v[12:13], null, s18, v15, 0
	s_wait_alu 0xfffd
	v_sub_co_ci_u32_e64 v145, null, v10, v59, vcc_lo
	v_add_nc_u32_e32 v10, 0x200, v20
	v_sub_co_u32 v146, vcc_lo, v16, v58
	v_add_nc_u32_e32 v121, 19, v108
	s_wait_alu 0xfffd
	v_sub_co_ci_u32_e64 v147, null, v2, v59, vcc_lo
	v_mad_co_u64_u32 v[2:3], null, s19, v14, v[0:1]
	v_dual_mov_b32 v0, v13 :: v_dual_add_nc_u32 v3, 0x218, v20
	v_mad_co_u64_u32 v[13:14], null, s18, v10, 0
	v_add_nc_u32_e32 v123, 33, v108
	s_delay_alu instid0(VALU_DEP_3) | instskip(NEXT) | instid1(VALU_DEP_4)
	v_mad_co_u64_u32 v[15:16], null, s19, v15, v[0:1]
	v_mad_co_u64_u32 v[16:17], null, s18, v3, 0
	v_sub_co_u32 v148, vcc_lo, v11, v58
	v_dual_mov_b32 v0, v14 :: v_dual_add_nc_u32 v125, 35, v108
	s_wait_alu 0xfffd
	v_sub_co_ci_u32_e64 v149, null, v2, v59, vcc_lo
	s_delay_alu instid0(VALU_DEP_4) | instskip(NEXT) | instid1(VALU_DEP_3)
	v_dual_mov_b32 v2, v17 :: v_dual_add_nc_u32 v17, 0x290, v20
	v_mad_co_u64_u32 v[10:11], null, s19, v10, v[0:1]
	v_sub_co_u32 v150, vcc_lo, v12, v58
	s_delay_alu instid0(VALU_DEP_3)
	v_mad_co_u64_u32 v[11:12], null, s18, v17, 0
	s_wait_alu 0xfffd
	v_sub_co_ci_u32_e64 v151, null, v15, v59, vcc_lo
	v_sub_co_u32 v152, vcc_lo, v13, v58
	s_wait_alu 0xfffd
	v_sub_co_ci_u32_e64 v153, null, v10, v59, vcc_lo
	v_add_nc_u32_e32 v10, 0x280, v20
	v_mad_co_u64_u32 v[2:3], null, s19, v3, v[2:3]
	v_mad_co_u64_u32 v[14:15], null, s18, v23, 0
	v_dual_mov_b32 v0, v12 :: v_dual_add_nc_u32 v127, 49, v108
	v_add_nc_u32_e32 v110, 0x2180, v20
	v_mad_co_u64_u32 v[12:13], null, s18, v10, 0
	v_add_nc_u32_e32 v20, 0x298, v20
	v_sub_co_u32 v154, vcc_lo, v16, v58
	v_add_nc_u32_e32 v129, 51, v108
	s_wait_alu 0xfffd
	v_sub_co_ci_u32_e64 v155, null, v2, v59, vcc_lo
	v_mov_b32_e32 v2, v15
	v_mad_co_u64_u32 v[15:16], null, s19, v17, v[0:1]
	v_mad_co_u64_u32 v[16:17], null, s18, v20, 0
	v_mov_b32_e32 v0, v13
	s_delay_alu instid0(VALU_DEP_4) | instskip(SKIP_1) | instid1(VALU_DEP_3)
	v_mad_co_u64_u32 v[2:3], null, s19, v23, v[2:3]
	v_sub_co_u32 v156, vcc_lo, v11, v58
	v_mad_co_u64_u32 v[10:11], null, s19, v10, v[0:1]
	v_mov_b32_e32 v0, v17
	s_wait_alu 0xfffd
	v_sub_co_ci_u32_e64 v157, null, v15, v59, vcc_lo
	v_sub_co_u32 v158, vcc_lo, v14, v58
	s_wait_alu 0xfffd
	v_sub_co_ci_u32_e64 v159, null, v2, v59, vcc_lo
	v_mad_co_u64_u32 v[2:3], null, s19, v20, v[0:1]
	v_sub_co_u32 v160, vcc_lo, v12, v58
	s_wait_alu 0xfffd
	v_sub_co_ci_u32_e64 v161, null, v10, v59, vcc_lo
	v_sub_co_u32 v162, vcc_lo, v16, v58
	s_wait_alu 0xfffe
	s_mul_u64 s[48:49], s[30:31], s[52:53]
	v_lshlrev_b64_e32 v[60:61], 3, v[6:7]
	v_lshlrev_b64_e32 v[62:63], 3, v[4:5]
	;; [unrolled: 1-line block ×3, first 2 shown]
	v_add_nc_u32_e32 v102, 0x2380, v101
	v_cmp_gt_i32_e64 s1, s36, v1
	v_or_b32_e32 v115, 1, v108
	v_or_b32_e32 v116, 2, v108
	;; [unrolled: 1-line block ×3, first 2 shown]
	v_add_nc_u32_e32 v118, 16, v108
	v_add_nc_u32_e32 v120, 18, v108
	;; [unrolled: 1-line block ×6, first 2 shown]
	s_wait_alu 0xfffd
	v_sub_co_ci_u32_e64 v163, null, v2, v59, vcc_lo
	v_add_nc_u32_e32 v164, v112, v22
	v_add_nc_u32_e32 v165, v18, v19
	v_lshlrev_b32_e32 v166, 3, v1
	v_add_nc_u32_e32 v167, v18, v21
	v_add_nc_u32_e32 v168, v18, v24
	s_mul_u64 s[54:55], s[18:19], s[52:53]
	s_sub_nc_u64 s[58:59], 0, s[48:49]
	s_cselect_b32 s35, -1, 0
	s_and_b32 s69, s0, s61
	s_or_b32 s61, s50, s51
	s_mul_u64 s[46:47], s[18:19], 0xc0
	s_add_co_i32 s68, s34, -2
	s_sub_nc_u64 s[48:49], 0, s[36:37]
	s_add_co_i32 s70, s52, 64
	s_lshl_b64 s[50:51], s[18:19], 9
	s_or_b32 s19, s61, s60
	s_lshl_b64 s[26:27], s[26:27], 3
	s_lshl_b64 s[22:23], s[22:23], 3
	;; [unrolled: 1-line block ×6, first 2 shown]
	s_branch .LBB182_4
.LBB182_2:                              ;   in Loop: Header=BB182_4 Depth=1
	s_wait_alu 0xfffe
	s_or_b32 exec_lo, exec_lo, s18
.LBB182_3:                              ;   in Loop: Header=BB182_4 Depth=1
	s_add_co_i32 s28, s28, 0x10000
	s_delay_alu instid0(SALU_CYCLE_1)
	s_cmp_lt_u32 s28, s33
	s_cbranch_scc0 .LBB182_157
.LBB182_4:                              ; =>This Loop Header: Depth=1
                                        ;     Child Loop BB182_79 Depth 2
	s_wait_alu 0xfffe
	s_and_not1_b32 vcc_lo, exec_lo, s19
	s_wait_alu 0xfffe
	s_cbranch_vccnz .LBB182_3
; %bb.5:                                ;   in Loop: Header=BB182_4 Depth=1
	s_and_b32 vcc_lo, exec_lo, s64
	s_mov_b32 s18, -1
	s_wait_alu 0xfffe
	s_cbranch_vccz .LBB182_7
; %bb.6:                                ;   in Loop: Header=BB182_4 Depth=1
	s_mov_b32 s18, 0
.LBB182_7:                              ;   in Loop: Header=BB182_4 Depth=1
	s_wait_alu 0xfffe
	s_and_not1_b32 vcc_lo, exec_lo, s18
	s_wait_alu 0xfffe
	s_cbranch_vccnz .LBB182_3
; %bb.8:                                ;   in Loop: Header=BB182_4 Depth=1
	s_lshl_b64 s[60:61], s[28:29], 3
	s_wait_alu 0xfffe
	s_add_nc_u64 s[62:63], s[24:25], s[60:61]
	s_add_nc_u64 s[60:61], s[20:21], s[60:61]
	s_clause 0x1
	global_load_b64 v[2:3], v56, s[62:63]
	global_load_b64 v[0:1], v56, s[60:61]
	s_wait_loadcnt 0x1
	v_add_co_u32 v2, vcc_lo, v2, s26
	s_wait_alu 0xfffd
	v_add_co_ci_u32_e64 v3, null, s27, v3, vcc_lo
	s_delay_alu instid0(VALU_DEP_2) | instskip(SKIP_1) | instid1(VALU_DEP_2)
	v_add_co_u32 v12, vcc_lo, v2, v60
	s_wait_alu 0xfffd
	v_add_co_ci_u32_e64 v13, null, v3, v61, vcc_lo
	s_and_saveexec_b32 s18, s0
	s_cbranch_execz .LBB182_13
; %bb.9:                                ;   in Loop: Header=BB182_4 Depth=1
	s_and_saveexec_b32 s60, s67
	s_wait_alu 0xfffe
	s_xor_b32 s60, exec_lo, s60
; %bb.10:                               ;   in Loop: Header=BB182_4 Depth=1
	v_mov_b32_e32 v57, v56
	ds_store_b64 v102, v[56:57]
; %bb.11:                               ;   in Loop: Header=BB182_4 Depth=1
	s_wait_alu 0xfffe
	s_and_not1_saveexec_b32 s60, s60
	s_cbranch_execz .LBB182_13
; %bb.12:                               ;   in Loop: Header=BB182_4 Depth=1
	flat_load_b64 v[2:3], v[12:13]
	s_wait_loadcnt_dscnt 0x0
	ds_store_b64 v102, v[2:3]
.LBB182_13:                             ;   in Loop: Header=BB182_4 Depth=1
	s_wait_alu 0xfffe
	s_or_b32 exec_lo, exec_lo, s18
	s_wait_loadcnt 0x0
	v_add_co_u32 v0, vcc_lo, v0, s22
	s_wait_alu 0xfffd
	v_add_co_ci_u32_e64 v1, null, s23, v1, vcc_lo
	s_mov_b32 s18, -1
	v_add_co_u32 v0, vcc_lo, v0, s52
	s_wait_alu 0xfffd
	v_add_co_ci_u32_e64 v1, null, s53, v1, vcc_lo
	s_delay_alu instid0(VALU_DEP_2) | instskip(SKIP_1) | instid1(VALU_DEP_2)
	v_add_co_u32 v0, vcc_lo, v0, v58
	s_wait_alu 0xfffd
	v_add_co_ci_u32_e64 v1, null, v1, v59, vcc_lo
	s_delay_alu instid0(VALU_DEP_2) | instskip(SKIP_1) | instid1(VALU_DEP_2)
	v_add_co_u32 v2, vcc_lo, v0, s54
	s_wait_alu 0xfffd
	v_add_co_ci_u32_e64 v3, null, s55, v1, vcc_lo
	s_and_b32 vcc_lo, exec_lo, s66
                                        ; implicit-def: $vgpr0_vgpr1
	s_wait_alu 0xfffe
	s_cbranch_vccz .LBB182_25
; %bb.14:                               ;   in Loop: Header=BB182_4 Depth=1
	s_and_saveexec_b32 s18, s2
	s_wait_alu 0xfffe
	s_xor_b32 s18, exec_lo, s18
; %bb.15:                               ;   in Loop: Header=BB182_4 Depth=1
	v_mov_b32_e32 v57, v56
	ds_store_b64 v165, v[56:57]
; %bb.16:                               ;   in Loop: Header=BB182_4 Depth=1
	s_wait_alu 0xfffe
	s_or_saveexec_b32 s18, s18
	v_add_co_u32 v0, vcc_lo, v2, v64
	s_wait_alu 0xfffd
	v_add_co_ci_u32_e64 v1, null, v3, v65, vcc_lo
	s_lshl_b64 s[60:61], s[36:37], 3
	s_wait_alu 0xfffe
	v_add_co_u32 v0, vcc_lo, v0, s60
	s_wait_alu 0xfffd
	v_add_co_ci_u32_e64 v1, null, s61, v1, vcc_lo
	s_delay_alu instid0(VALU_DEP_2) | instskip(SKIP_1) | instid1(VALU_DEP_2)
	v_add_co_u32 v0, vcc_lo, v0, -8
	s_wait_alu 0xfffd
	v_add_co_ci_u32_e64 v1, null, -1, v1, vcc_lo
	s_delay_alu instid0(VALU_DEP_2) | instskip(NEXT) | instid1(VALU_DEP_2)
	v_cndmask_b32_e64 v0, v0, v2, s1
	v_cndmask_b32_e64 v1, v1, v3, s1
	s_xor_b32 exec_lo, exec_lo, s18
	s_cbranch_execnz .LBB182_139
; %bb.17:                               ;   in Loop: Header=BB182_4 Depth=1
	s_or_b32 exec_lo, exec_lo, s18
	s_and_saveexec_b32 s18, s3
	s_wait_alu 0xfffe
	s_xor_b32 s18, exec_lo, s18
	s_cbranch_execnz .LBB182_140
.LBB182_18:                             ;   in Loop: Header=BB182_4 Depth=1
	s_wait_alu 0xfffe
	s_and_not1_saveexec_b32 s18, s18
	s_cbranch_execnz .LBB182_141
.LBB182_19:                             ;   in Loop: Header=BB182_4 Depth=1
	s_wait_alu 0xfffe
	s_or_b32 exec_lo, exec_lo, s18
	s_and_saveexec_b32 s18, s4
	s_wait_alu 0xfffe
	s_xor_b32 s18, exec_lo, s18
	s_cbranch_execnz .LBB182_142
.LBB182_20:                             ;   in Loop: Header=BB182_4 Depth=1
	s_wait_alu 0xfffe
	s_and_not1_saveexec_b32 s18, s18
	s_cbranch_execnz .LBB182_143
.LBB182_21:                             ;   in Loop: Header=BB182_4 Depth=1
	s_wait_alu 0xfffe
	s_or_b32 exec_lo, exec_lo, s18
	s_and_saveexec_b32 s18, s5
	s_wait_alu 0xfffe
	s_xor_b32 s18, exec_lo, s18
	s_cbranch_execnz .LBB182_144
.LBB182_22:                             ;   in Loop: Header=BB182_4 Depth=1
	s_wait_alu 0xfffe
	s_and_not1_saveexec_b32 s18, s18
	s_cbranch_execz .LBB182_24
.LBB182_23:                             ;   in Loop: Header=BB182_4 Depth=1
	v_add_co_u32 v4, vcc_lo, v0, s46
	s_wait_alu 0xfffd
	v_add_co_ci_u32_e64 v5, null, s47, v1, vcc_lo
	flat_load_b64 v[4:5], v[4:5]
	s_wait_loadcnt_dscnt 0x0
	ds_store_b64 v165, v[4:5] offset:6336
.LBB182_24:                             ;   in Loop: Header=BB182_4 Depth=1
	s_wait_alu 0xfffe
	s_or_b32 exec_lo, exec_lo, s18
	v_add_co_u32 v0, vcc_lo, v0, v166
	s_wait_alu 0xfffd
	v_add_co_ci_u32_e64 v1, null, 0, v1, vcc_lo
	s_lshl_b64 s[60:61], s[48:49], 3
	s_mov_b32 s18, 0
	s_wait_alu 0xfffe
	v_add_co_u32 v0, vcc_lo, v0, s60
	s_wait_alu 0xfffd
	v_add_co_ci_u32_e64 v1, null, s61, v1, vcc_lo
	s_delay_alu instid0(VALU_DEP_2) | instskip(SKIP_1) | instid1(VALU_DEP_2)
	v_add_co_u32 v0, vcc_lo, v0, 8
	s_wait_alu 0xfffd
	v_add_co_ci_u32_e64 v1, null, 0, v1, vcc_lo
	s_delay_alu instid0(VALU_DEP_2) | instskip(NEXT) | instid1(VALU_DEP_2)
	v_cndmask_b32_e64 v0, v0, v2, s1
	v_cndmask_b32_e64 v1, v1, v3, s1
.LBB182_25:                             ;   in Loop: Header=BB182_4 Depth=1
	s_and_b32 vcc_lo, exec_lo, s18
	s_wait_alu 0xfffe
	s_cbranch_vccz .LBB182_27
; %bb.26:                               ;   in Loop: Header=BB182_4 Depth=1
	v_add_co_u32 v0, vcc_lo, v2, s42
	s_wait_alu 0xfffd
	v_add_co_ci_u32_e64 v1, null, s43, v3, vcc_lo
	s_delay_alu instid0(VALU_DEP_2) | instskip(SKIP_1) | instid1(VALU_DEP_2)
	v_add_co_u32 v4, vcc_lo, v0, s42
	s_wait_alu 0xfffd
	v_add_co_ci_u32_e64 v5, null, s43, v1, vcc_lo
	s_delay_alu instid0(VALU_DEP_2) | instskip(SKIP_1) | instid1(VALU_DEP_2)
	v_add_co_u32 v6, vcc_lo, v4, s42
	s_wait_alu 0xfffd
	v_add_co_ci_u32_e64 v7, null, s43, v5, vcc_lo
	s_clause 0x3
	flat_load_b64 v[8:9], v[2:3]
	flat_load_b64 v[10:11], v[0:1]
	;; [unrolled: 1-line block ×4, first 2 shown]
	v_dual_mov_b32 v0, v2 :: v_dual_mov_b32 v1, v3
	s_wait_loadcnt_dscnt 0x303
	ds_store_b64 v165, v[8:9]
	s_wait_loadcnt_dscnt 0x203
	ds_store_b64 v165, v[10:11] offset:2112
	s_wait_loadcnt_dscnt 0x103
	ds_store_b64 v165, v[4:5] offset:4224
	;; [unrolled: 2-line block ×3, first 2 shown]
.LBB182_27:                             ;   in Loop: Header=BB182_4 Depth=1
	s_wait_dscnt 0x0
	s_barrier_signal -1
	s_barrier_wait -1
	global_inv scope:SCOPE_SE
	s_and_saveexec_b32 s18, s6
	s_cbranch_execnz .LBB182_133
; %bb.28:                               ;   in Loop: Header=BB182_4 Depth=1
	s_wait_alu 0xfffe
	s_or_b32 exec_lo, exec_lo, s18
	s_and_saveexec_b32 s18, s7
	s_cbranch_execnz .LBB182_134
.LBB182_29:                             ;   in Loop: Header=BB182_4 Depth=1
	s_wait_alu 0xfffe
	s_or_b32 exec_lo, exec_lo, s18
	s_and_saveexec_b32 s18, s8
	s_cbranch_execnz .LBB182_135
.LBB182_30:                             ;   in Loop: Header=BB182_4 Depth=1
	s_wait_alu 0xfffe
	s_or_b32 exec_lo, exec_lo, s18
	s_and_saveexec_b32 s18, s9
	s_cbranch_execz .LBB182_32
.LBB182_31:                             ;   in Loop: Header=BB182_4 Depth=1
	ds_load_b64 v[2:3], v168 offset:528
	s_wait_dscnt 0x0
	ds_store_b64 v103, v[2:3] offset:24
.LBB182_32:                             ;   in Loop: Header=BB182_4 Depth=1
	s_wait_alu 0xfffe
	s_or_b32 exec_lo, exec_lo, s18
	s_wait_loadcnt_dscnt 0x0
	s_barrier_signal -1
	s_barrier_wait -1
	global_inv scope:SCOPE_SE
	ds_load_b64 v[10:11], v167
	ds_load_b128 v[2:5], v105
	ds_load_2addr_b64 v[6:9], v168 offset1:33
	ds_load_b128 v[14:17], v105 offset:16
	ds_load_b64 v[18:19], v168 offset:528
	s_wait_loadcnt_dscnt 0x0
	s_barrier_signal -1
	s_barrier_wait -1
	global_inv scope:SCOPE_SE
	v_dual_mov_b32 v67, 0 :: v_dual_mul_f32 v20, v3, v11
	v_dual_mul_f32 v11, v2, v11 :: v_dual_mul_f32 v22, v15, v9
	v_mul_f32_e32 v9, v14, v9
	s_delay_alu instid0(VALU_DEP_3) | instskip(SKIP_1) | instid1(VALU_DEP_4)
	v_fma_f32 v2, v2, v10, -v20
	v_mul_f32_e32 v21, v5, v7
	v_fmac_f32_e32 v11, v3, v10
	s_delay_alu instid0(VALU_DEP_4) | instskip(SKIP_3) | instid1(VALU_DEP_1)
	v_fmac_f32_e32 v9, v15, v8
	v_fma_f32 v10, v14, v8, -v22
	v_dual_add_f32 v2, 0, v2 :: v_dual_mul_f32 v7, v4, v7
	v_fma_f32 v4, v4, v6, -v21
	v_dual_add_f32 v2, v2, v4 :: v_dual_fmac_f32 v7, v5, v6
	v_mul_f32_e32 v6, v16, v19
	v_add_f32_e32 v5, 0, v11
	s_delay_alu instid0(VALU_DEP_3) | instskip(NEXT) | instid1(VALU_DEP_3)
	v_dual_mul_f32 v3, v17, v19 :: v_dual_add_f32 v2, v2, v10
	v_fmac_f32_e32 v6, v17, v18
	s_delay_alu instid0(VALU_DEP_3) | instskip(NEXT) | instid1(VALU_DEP_3)
	v_add_f32_e32 v4, v5, v7
	v_fma_f32 v3, v16, v18, -v3
	s_delay_alu instid0(VALU_DEP_2) | instskip(SKIP_1) | instid1(VALU_DEP_2)
	v_add_f32_e32 v4, v4, v9
	v_mov_b32_e32 v66, 0
	v_dual_add_f32 v2, v2, v3 :: v_dual_add_f32 v3, v4, v6
	ds_store_b64 v106, v[2:3]
	s_wait_loadcnt_dscnt 0x0
	s_barrier_signal -1
	s_barrier_wait -1
	global_inv scope:SCOPE_SE
	s_and_saveexec_b32 s18, s10
	s_cbranch_execz .LBB182_34
; %bb.33:                               ;   in Loop: Header=BB182_4 Depth=1
	ds_load_2addr_b64 v[2:5], v104 offset1:7
	ds_load_2addr_b64 v[6:9], v104 offset0:1 offset1:2
	ds_load_2addr_b64 v[14:17], v104 offset0:3 offset1:4
	;; [unrolled: 1-line block ×3, first 2 shown]
	s_wait_dscnt 0x2
	v_dual_add_f32 v2, v6, v2 :: v_dual_add_f32 v3, v7, v3
	s_delay_alu instid0(VALU_DEP_1) | instskip(SKIP_1) | instid1(VALU_DEP_1)
	v_dual_add_f32 v2, v8, v2 :: v_dual_add_f32 v3, v9, v3
	s_wait_dscnt 0x1
	v_dual_add_f32 v2, v2, v14 :: v_dual_add_f32 v3, v3, v15
	s_delay_alu instid0(VALU_DEP_1) | instskip(SKIP_1) | instid1(VALU_DEP_1)
	v_dual_add_f32 v2, v2, v16 :: v_dual_add_f32 v3, v3, v17
	s_wait_dscnt 0x0
	v_dual_add_f32 v2, v2, v18 :: v_dual_add_f32 v3, v3, v19
	s_delay_alu instid0(VALU_DEP_1) | instskip(NEXT) | instid1(VALU_DEP_1)
	v_dual_add_f32 v2, v2, v20 :: v_dual_add_f32 v3, v3, v21
	v_dual_add_f32 v66, v2, v4 :: v_dual_add_f32 v67, v3, v5
.LBB182_34:                             ;   in Loop: Header=BB182_4 Depth=1
	s_wait_alu 0xfffe
	s_or_b32 exec_lo, exec_lo, s18
	v_add_co_u32 v4, vcc_lo, v0, s56
	s_wait_alu 0xfffd
	v_add_co_ci_u32_e64 v5, null, s57, v1, vcc_lo
	s_mov_b32 s18, -1
	v_add_co_u32 v2, vcc_lo, 0x100, v4
	s_wait_alu 0xfffd
	v_add_co_ci_u32_e64 v3, null, 0, v5, vcc_lo
	s_and_b32 vcc_lo, exec_lo, s66
	s_wait_loadcnt 0x0
	s_barrier_signal -1
	s_barrier_wait -1
	global_inv scope:SCOPE_SE
                                        ; implicit-def: $vgpr0_vgpr1
	s_wait_alu 0xfffe
	s_cbranch_vccz .LBB182_46
; %bb.35:                               ;   in Loop: Header=BB182_4 Depth=1
	s_and_saveexec_b32 s18, s12
	s_wait_alu 0xfffe
	s_xor_b32 s18, exec_lo, s18
; %bb.36:                               ;   in Loop: Header=BB182_4 Depth=1
	v_mov_b32_e32 v57, v56
	ds_store_b64 v165, v[56:57]
; %bb.37:                               ;   in Loop: Header=BB182_4 Depth=1
	s_wait_alu 0xfffe
	s_or_saveexec_b32 s18, s18
	v_add_co_u32 v0, vcc_lo, v4, v64
	s_wait_alu 0xfffd
	v_add_co_ci_u32_e64 v1, null, v5, v65, vcc_lo
	s_lshl_b64 s[60:61], s[36:37], 3
	s_wait_alu 0xfffe
	v_add_co_u32 v0, vcc_lo, v0, s60
	s_wait_alu 0xfffd
	v_add_co_ci_u32_e64 v1, null, s61, v1, vcc_lo
	s_delay_alu instid0(VALU_DEP_2) | instskip(SKIP_1) | instid1(VALU_DEP_2)
	v_add_co_u32 v0, vcc_lo, v0, -8
	s_wait_alu 0xfffd
	v_add_co_ci_u32_e64 v1, null, -1, v1, vcc_lo
	s_delay_alu instid0(VALU_DEP_2) | instskip(NEXT) | instid1(VALU_DEP_2)
	v_cndmask_b32_e64 v0, v0, v2, s11
	v_cndmask_b32_e64 v1, v1, v3, s11
	s_xor_b32 exec_lo, exec_lo, s18
	s_cbranch_execnz .LBB182_145
; %bb.38:                               ;   in Loop: Header=BB182_4 Depth=1
	s_or_b32 exec_lo, exec_lo, s18
	s_and_saveexec_b32 s18, s13
	s_wait_alu 0xfffe
	s_xor_b32 s18, exec_lo, s18
	s_cbranch_execnz .LBB182_146
.LBB182_39:                             ;   in Loop: Header=BB182_4 Depth=1
	s_wait_alu 0xfffe
	s_and_not1_saveexec_b32 s18, s18
	s_cbranch_execnz .LBB182_147
.LBB182_40:                             ;   in Loop: Header=BB182_4 Depth=1
	s_wait_alu 0xfffe
	s_or_b32 exec_lo, exec_lo, s18
	s_and_saveexec_b32 s18, s14
	s_wait_alu 0xfffe
	s_xor_b32 s18, exec_lo, s18
	s_cbranch_execnz .LBB182_148
.LBB182_41:                             ;   in Loop: Header=BB182_4 Depth=1
	s_wait_alu 0xfffe
	s_and_not1_saveexec_b32 s18, s18
	s_cbranch_execnz .LBB182_149
.LBB182_42:                             ;   in Loop: Header=BB182_4 Depth=1
	s_wait_alu 0xfffe
	s_or_b32 exec_lo, exec_lo, s18
	s_and_saveexec_b32 s18, s15
	s_wait_alu 0xfffe
	s_xor_b32 s18, exec_lo, s18
	s_cbranch_execnz .LBB182_150
.LBB182_43:                             ;   in Loop: Header=BB182_4 Depth=1
	s_wait_alu 0xfffe
	s_and_not1_saveexec_b32 s18, s18
	s_cbranch_execz .LBB182_45
.LBB182_44:                             ;   in Loop: Header=BB182_4 Depth=1
	v_add_co_u32 v6, vcc_lo, v0, s46
	s_wait_alu 0xfffd
	v_add_co_ci_u32_e64 v7, null, s47, v1, vcc_lo
	flat_load_b64 v[6:7], v[6:7]
	s_wait_loadcnt_dscnt 0x0
	ds_store_b64 v165, v[6:7] offset:6336
.LBB182_45:                             ;   in Loop: Header=BB182_4 Depth=1
	s_wait_alu 0xfffe
	s_or_b32 exec_lo, exec_lo, s18
	v_add_co_u32 v0, vcc_lo, v0, v166
	s_wait_alu 0xfffd
	v_add_co_ci_u32_e64 v1, null, 0, v1, vcc_lo
	s_lshl_b64 s[60:61], s[48:49], 3
	s_mov_b32 s18, 0
	s_wait_alu 0xfffe
	v_add_co_u32 v0, vcc_lo, v0, s60
	s_wait_alu 0xfffd
	v_add_co_ci_u32_e64 v1, null, s61, v1, vcc_lo
	s_delay_alu instid0(VALU_DEP_2) | instskip(SKIP_1) | instid1(VALU_DEP_2)
	v_add_co_u32 v0, vcc_lo, 0x108, v0
	s_wait_alu 0xfffd
	v_add_co_ci_u32_e64 v1, null, 0, v1, vcc_lo
	s_delay_alu instid0(VALU_DEP_2) | instskip(NEXT) | instid1(VALU_DEP_2)
	v_cndmask_b32_e64 v0, v0, v2, s11
	v_cndmask_b32_e64 v1, v1, v3, s11
.LBB182_46:                             ;   in Loop: Header=BB182_4 Depth=1
	s_and_b32 vcc_lo, exec_lo, s18
	s_wait_alu 0xfffe
	s_cbranch_vccz .LBB182_48
; %bb.47:                               ;   in Loop: Header=BB182_4 Depth=1
	v_add_co_u32 v0, vcc_lo, v4, s42
	s_wait_alu 0xfffd
	v_add_co_ci_u32_e64 v1, null, s43, v5, vcc_lo
	s_delay_alu instid0(VALU_DEP_2) | instskip(SKIP_1) | instid1(VALU_DEP_2)
	v_add_co_u32 v6, vcc_lo, v0, s42
	s_wait_alu 0xfffd
	v_add_co_ci_u32_e64 v7, null, s43, v1, vcc_lo
	s_delay_alu instid0(VALU_DEP_2) | instskip(SKIP_1) | instid1(VALU_DEP_2)
	v_add_co_u32 v8, vcc_lo, v6, s42
	s_wait_alu 0xfffd
	v_add_co_ci_u32_e64 v9, null, s43, v7, vcc_lo
	s_clause 0x3
	flat_load_b64 v[4:5], v[4:5] offset:256
	flat_load_b64 v[10:11], v[0:1] offset:256
	;; [unrolled: 1-line block ×4, first 2 shown]
	v_dual_mov_b32 v0, v2 :: v_dual_mov_b32 v1, v3
	s_wait_loadcnt_dscnt 0x303
	ds_store_b64 v165, v[4:5]
	s_wait_loadcnt_dscnt 0x203
	ds_store_b64 v165, v[10:11] offset:2112
	s_wait_loadcnt_dscnt 0x103
	ds_store_b64 v165, v[6:7] offset:4224
	;; [unrolled: 2-line block ×3, first 2 shown]
.LBB182_48:                             ;   in Loop: Header=BB182_4 Depth=1
	s_wait_loadcnt_dscnt 0x0
	s_barrier_signal -1
	s_barrier_wait -1
	global_inv scope:SCOPE_SE
	s_and_saveexec_b32 s18, s6
	s_cbranch_execnz .LBB182_136
; %bb.49:                               ;   in Loop: Header=BB182_4 Depth=1
	s_wait_alu 0xfffe
	s_or_b32 exec_lo, exec_lo, s18
	s_and_saveexec_b32 s18, s7
	s_cbranch_execnz .LBB182_137
.LBB182_50:                             ;   in Loop: Header=BB182_4 Depth=1
	s_wait_alu 0xfffe
	s_or_b32 exec_lo, exec_lo, s18
	s_and_saveexec_b32 s18, s8
	s_cbranch_execnz .LBB182_138
.LBB182_51:                             ;   in Loop: Header=BB182_4 Depth=1
	s_wait_alu 0xfffe
	s_or_b32 exec_lo, exec_lo, s18
	s_and_saveexec_b32 s18, s9
	s_cbranch_execz .LBB182_53
.LBB182_52:                             ;   in Loop: Header=BB182_4 Depth=1
	ds_load_b64 v[2:3], v168 offset:528
	s_wait_dscnt 0x0
	ds_store_b64 v103, v[2:3] offset:24
.LBB182_53:                             ;   in Loop: Header=BB182_4 Depth=1
	s_wait_alu 0xfffe
	s_or_b32 exec_lo, exec_lo, s18
	s_wait_loadcnt_dscnt 0x0
	s_barrier_signal -1
	s_barrier_wait -1
	global_inv scope:SCOPE_SE
	ds_load_b64 v[10:11], v167
	ds_load_b128 v[2:5], v105 offset:256
	ds_load_2addr_b64 v[6:9], v168 offset1:33
	ds_load_b128 v[14:17], v105 offset:272
	ds_load_b64 v[18:19], v168 offset:528
	s_wait_loadcnt_dscnt 0x0
	s_barrier_signal -1
	s_barrier_wait -1
	global_inv scope:SCOPE_SE
	v_mul_f32_e32 v20, v3, v11
	v_dual_mul_f32 v11, v2, v11 :: v_dual_mul_f32 v22, v15, v9
	v_mul_f32_e32 v9, v14, v9
	s_delay_alu instid0(VALU_DEP_3) | instskip(SKIP_1) | instid1(VALU_DEP_4)
	v_fma_f32 v2, v2, v10, -v20
	v_mul_f32_e32 v21, v5, v7
	v_fmac_f32_e32 v11, v3, v10
	s_delay_alu instid0(VALU_DEP_4) | instskip(SKIP_3) | instid1(VALU_DEP_1)
	v_fmac_f32_e32 v9, v15, v8
	v_fma_f32 v10, v14, v8, -v22
	v_dual_add_f32 v2, 0, v2 :: v_dual_mul_f32 v7, v4, v7
	v_fma_f32 v4, v4, v6, -v21
	v_dual_add_f32 v2, v2, v4 :: v_dual_fmac_f32 v7, v5, v6
	v_mul_f32_e32 v6, v16, v19
	v_add_f32_e32 v5, 0, v11
	s_delay_alu instid0(VALU_DEP_3) | instskip(NEXT) | instid1(VALU_DEP_3)
	v_dual_mul_f32 v3, v17, v19 :: v_dual_add_f32 v2, v2, v10
	v_fmac_f32_e32 v6, v17, v18
	s_delay_alu instid0(VALU_DEP_3) | instskip(NEXT) | instid1(VALU_DEP_3)
	v_add_f32_e32 v4, v5, v7
	v_fma_f32 v3, v16, v18, -v3
	s_delay_alu instid0(VALU_DEP_2) | instskip(NEXT) | instid1(VALU_DEP_1)
	v_add_f32_e32 v4, v4, v9
	v_dual_add_f32 v2, v2, v3 :: v_dual_add_f32 v3, v4, v6
	ds_store_b64 v106, v[2:3]
	s_wait_loadcnt_dscnt 0x0
	s_barrier_signal -1
	s_barrier_wait -1
	global_inv scope:SCOPE_SE
	s_and_saveexec_b32 s18, s16
	s_cbranch_execz .LBB182_55
; %bb.54:                               ;   in Loop: Header=BB182_4 Depth=1
	ds_load_2addr_b64 v[2:5], v104 offset1:7
	ds_load_2addr_b64 v[6:9], v104 offset0:1 offset1:2
	ds_load_2addr_b64 v[14:17], v104 offset0:3 offset1:4
	;; [unrolled: 1-line block ×3, first 2 shown]
	s_wait_dscnt 0x2
	v_dual_add_f32 v2, v6, v2 :: v_dual_add_f32 v3, v7, v3
	s_delay_alu instid0(VALU_DEP_1) | instskip(SKIP_1) | instid1(VALU_DEP_1)
	v_dual_add_f32 v2, v8, v2 :: v_dual_add_f32 v3, v9, v3
	s_wait_dscnt 0x1
	v_dual_add_f32 v2, v2, v14 :: v_dual_add_f32 v3, v3, v15
	s_delay_alu instid0(VALU_DEP_1) | instskip(SKIP_1) | instid1(VALU_DEP_1)
	v_dual_add_f32 v2, v2, v16 :: v_dual_add_f32 v3, v3, v17
	s_wait_dscnt 0x0
	v_dual_add_f32 v2, v2, v18 :: v_dual_add_f32 v3, v3, v19
	s_delay_alu instid0(VALU_DEP_1) | instskip(NEXT) | instid1(VALU_DEP_1)
	v_dual_add_f32 v2, v2, v20 :: v_dual_add_f32 v3, v3, v21
	v_dual_add_f32 v66, v2, v4 :: v_dual_add_f32 v67, v3, v5
.LBB182_55:                             ;   in Loop: Header=BB182_4 Depth=1
	s_wait_alu 0xfffe
	s_or_b32 exec_lo, exec_lo, s18
	v_add_co_u32 v2, vcc_lo, 0xffffff00, v0
	s_wait_alu 0xfffd
	v_add_co_ci_u32_e64 v3, null, -1, v1, vcc_lo
	s_and_b32 vcc_lo, exec_lo, s66
	s_mov_b32 s18, -1
	s_wait_loadcnt 0x0
	s_barrier_signal -1
	s_barrier_wait -1
	global_inv scope:SCOPE_SE
                                        ; implicit-def: $vgpr14_vgpr15
	s_wait_alu 0xfffe
	s_cbranch_vccz .LBB182_67
; %bb.56:                               ;   in Loop: Header=BB182_4 Depth=1
	s_and_saveexec_b32 s18, s12
	s_wait_alu 0xfffe
	s_xor_b32 s18, exec_lo, s18
; %bb.57:                               ;   in Loop: Header=BB182_4 Depth=1
	v_mov_b32_e32 v57, v56
	ds_store_b64 v165, v[56:57]
; %bb.58:                               ;   in Loop: Header=BB182_4 Depth=1
	s_wait_alu 0xfffe
	s_or_saveexec_b32 s18, s18
	v_add_co_u32 v4, vcc_lo, v0, v64
	s_wait_alu 0xfffd
	v_add_co_ci_u32_e64 v5, null, v1, v65, vcc_lo
	s_lshl_b64 s[60:61], s[36:37], 3
	s_wait_alu 0xfffe
	v_add_co_u32 v4, vcc_lo, v4, s60
	s_wait_alu 0xfffd
	v_add_co_ci_u32_e64 v5, null, s61, v5, vcc_lo
	s_delay_alu instid0(VALU_DEP_2) | instskip(SKIP_1) | instid1(VALU_DEP_2)
	v_add_co_u32 v4, vcc_lo, 0xfffffef8, v4
	s_wait_alu 0xfffd
	v_add_co_ci_u32_e64 v5, null, -1, v5, vcc_lo
	s_delay_alu instid0(VALU_DEP_2) | instskip(NEXT) | instid1(VALU_DEP_2)
	v_cndmask_b32_e64 v4, v4, v2, s1
	v_cndmask_b32_e64 v5, v5, v3, s1
	s_xor_b32 exec_lo, exec_lo, s18
	s_cbranch_execnz .LBB182_151
; %bb.59:                               ;   in Loop: Header=BB182_4 Depth=1
	s_or_b32 exec_lo, exec_lo, s18
	s_and_saveexec_b32 s18, s13
	s_wait_alu 0xfffe
	s_xor_b32 s18, exec_lo, s18
	s_cbranch_execnz .LBB182_152
.LBB182_60:                             ;   in Loop: Header=BB182_4 Depth=1
	s_wait_alu 0xfffe
	s_and_not1_saveexec_b32 s18, s18
	s_cbranch_execnz .LBB182_153
.LBB182_61:                             ;   in Loop: Header=BB182_4 Depth=1
	s_wait_alu 0xfffe
	s_or_b32 exec_lo, exec_lo, s18
	s_and_saveexec_b32 s18, s14
	s_wait_alu 0xfffe
	s_xor_b32 s18, exec_lo, s18
	s_cbranch_execnz .LBB182_154
.LBB182_62:                             ;   in Loop: Header=BB182_4 Depth=1
	s_wait_alu 0xfffe
	s_and_not1_saveexec_b32 s18, s18
	s_cbranch_execnz .LBB182_155
.LBB182_63:                             ;   in Loop: Header=BB182_4 Depth=1
	s_wait_alu 0xfffe
	s_or_b32 exec_lo, exec_lo, s18
	s_and_saveexec_b32 s18, s15
	s_wait_alu 0xfffe
	s_xor_b32 s18, exec_lo, s18
	s_cbranch_execnz .LBB182_156
.LBB182_64:                             ;   in Loop: Header=BB182_4 Depth=1
	s_wait_alu 0xfffe
	s_and_not1_saveexec_b32 s18, s18
	s_cbranch_execz .LBB182_66
.LBB182_65:                             ;   in Loop: Header=BB182_4 Depth=1
	v_add_co_u32 v6, vcc_lo, v4, s46
	s_wait_alu 0xfffd
	v_add_co_ci_u32_e64 v7, null, s47, v5, vcc_lo
	flat_load_b64 v[6:7], v[6:7]
	s_wait_loadcnt_dscnt 0x0
	ds_store_b64 v165, v[6:7] offset:6336
.LBB182_66:                             ;   in Loop: Header=BB182_4 Depth=1
	s_wait_alu 0xfffe
	s_or_b32 exec_lo, exec_lo, s18
	v_add_co_u32 v4, vcc_lo, v4, v166
	s_wait_alu 0xfffd
	v_add_co_ci_u32_e64 v5, null, 0, v5, vcc_lo
	s_lshl_b64 s[60:61], s[48:49], 3
	s_mov_b32 s18, 0
	s_wait_alu 0xfffe
	v_add_co_u32 v4, vcc_lo, v4, s60
	s_wait_alu 0xfffd
	v_add_co_ci_u32_e64 v5, null, s61, v5, vcc_lo
	s_delay_alu instid0(VALU_DEP_2) | instskip(SKIP_1) | instid1(VALU_DEP_2)
	v_add_co_u32 v4, vcc_lo, v4, 8
	s_wait_alu 0xfffd
	v_add_co_ci_u32_e64 v5, null, 0, v5, vcc_lo
	s_delay_alu instid0(VALU_DEP_2) | instskip(NEXT) | instid1(VALU_DEP_2)
	v_cndmask_b32_e64 v14, v4, v2, s1
	v_cndmask_b32_e64 v15, v5, v3, s1
.LBB182_67:                             ;   in Loop: Header=BB182_4 Depth=1
	s_and_b32 vcc_lo, exec_lo, s18
	s_wait_alu 0xfffe
	s_cbranch_vccz .LBB182_69
; %bb.68:                               ;   in Loop: Header=BB182_4 Depth=1
	v_add_co_u32 v4, vcc_lo, v0, s42
	s_wait_alu 0xfffd
	v_add_co_ci_u32_e64 v5, null, s43, v1, vcc_lo
	v_dual_mov_b32 v15, v3 :: v_dual_mov_b32 v14, v2
	s_delay_alu instid0(VALU_DEP_3) | instskip(SKIP_1) | instid1(VALU_DEP_3)
	v_add_co_u32 v6, vcc_lo, v4, s42
	s_wait_alu 0xfffd
	v_add_co_ci_u32_e64 v7, null, s43, v5, vcc_lo
	s_delay_alu instid0(VALU_DEP_2) | instskip(SKIP_1) | instid1(VALU_DEP_2)
	v_add_co_u32 v8, vcc_lo, v6, s42
	s_wait_alu 0xfffd
	v_add_co_ci_u32_e64 v9, null, s43, v7, vcc_lo
	s_clause 0x3
	flat_load_b64 v[0:1], v[0:1] offset:-256
	flat_load_b64 v[4:5], v[4:5] offset:-256
	flat_load_b64 v[6:7], v[6:7] offset:-256
	flat_load_b64 v[8:9], v[8:9] offset:-256
	s_wait_loadcnt_dscnt 0x303
	ds_store_b64 v165, v[0:1]
	s_wait_loadcnt_dscnt 0x203
	ds_store_b64 v165, v[4:5] offset:2112
	s_wait_loadcnt_dscnt 0x103
	ds_store_b64 v165, v[6:7] offset:4224
	;; [unrolled: 2-line block ×3, first 2 shown]
.LBB182_69:                             ;   in Loop: Header=BB182_4 Depth=1
	v_add_nc_u32_e32 v0, v103, v107
	v_add_nc_u32_e32 v1, v105, v107
	s_wait_loadcnt_dscnt 0x0
	s_barrier_signal -1
	s_barrier_wait -1
	global_inv scope:SCOPE_SE
	ds_load_2addr_b64 v[20:23], v106 offset0:8 offset1:16
	ds_load_2addr_b64 v[24:27], v131 offset0:8 offset1:16
	ds_load_b64 v[28:29], v0
	ds_load_b64 v[30:31], v1
	ds_load_b64 v[32:33], v106 offset:192
	ds_load_b64 v[34:35], v131 offset:192
	ds_load_b128 v[8:11], v105 offset:256
	ds_load_b128 v[0:3], v105 offset:272
	ds_load_2addr_b64 v[4:7], v168 offset1:33
	ds_load_b64 v[18:19], v167
	ds_load_b64 v[16:17], v168 offset:528
	s_wait_loadcnt_dscnt 0x0
	s_barrier_signal -1
	s_barrier_wait -1
	global_inv scope:SCOPE_SE
	v_mul_f32_e32 v36, v25, v21
	v_dual_mul_f32 v38, v27, v23 :: v_dual_mul_f32 v21, v24, v21
	v_mul_f32_e32 v23, v26, v23
	s_delay_alu instid0(VALU_DEP_3) | instskip(SKIP_4) | instid1(VALU_DEP_4)
	v_fma_f32 v24, v24, v20, -v36
	v_mul_f32_e32 v37, v31, v29
	v_mul_f32_e32 v29, v30, v29
	v_fmac_f32_e32 v21, v25, v20
	v_fma_f32 v26, v26, v22, -v38
	v_fma_f32 v30, v30, v28, -v37
	s_delay_alu instid0(VALU_DEP_4) | instskip(SKIP_1) | instid1(VALU_DEP_3)
	v_fmac_f32_e32 v29, v31, v28
	v_mul_f32_e32 v28, v35, v33
	v_add_f32_e32 v20, 0, v30
	s_delay_alu instid0(VALU_DEP_1) | instskip(NEXT) | instid1(VALU_DEP_3)
	v_add_f32_e32 v20, v20, v24
	v_fma_f32 v24, v34, v32, -v28
	s_delay_alu instid0(VALU_DEP_2) | instskip(SKIP_1) | instid1(VALU_DEP_2)
	v_add_f32_e32 v20, v20, v26
	v_dual_fmac_f32 v23, v27, v22 :: v_dual_mul_f32 v22, v34, v33
	v_dual_add_f32 v25, 0, v29 :: v_dual_add_f32 v20, v20, v24
	s_delay_alu instid0(VALU_DEP_1) | instskip(NEXT) | instid1(VALU_DEP_1)
	v_dual_fmac_f32 v22, v35, v32 :: v_dual_add_f32 v21, v25, v21
	v_add_f32_e32 v21, v21, v23
	s_delay_alu instid0(VALU_DEP_1)
	v_add_f32_e32 v21, v21, v22
	ds_store_b64 v106, v[20:21]
	s_wait_loadcnt_dscnt 0x0
	s_barrier_signal -1
	s_barrier_wait -1
	global_inv scope:SCOPE_SE
	s_and_saveexec_b32 s18, s16
	s_cbranch_execz .LBB182_71
; %bb.70:                               ;   in Loop: Header=BB182_4 Depth=1
	ds_load_2addr_b64 v[20:23], v104 offset1:1
	ds_load_2addr_b64 v[24:27], v104 offset0:2 offset1:3
	ds_load_2addr_b64 v[28:31], v104 offset0:4 offset1:5
	s_wait_dscnt 0x2
	v_dual_add_f32 v20, v66, v20 :: v_dual_add_f32 v21, v67, v21
	s_delay_alu instid0(VALU_DEP_1) | instskip(SKIP_3) | instid1(VALU_DEP_1)
	v_dual_add_f32 v32, v20, v22 :: v_dual_add_f32 v33, v21, v23
	ds_load_2addr_b64 v[20:23], v104 offset0:6 offset1:7
	s_wait_dscnt 0x2
	v_dual_add_f32 v24, v32, v24 :: v_dual_add_f32 v25, v33, v25
	v_dual_add_f32 v24, v24, v26 :: v_dual_add_f32 v25, v25, v27
	s_wait_dscnt 0x1
	s_delay_alu instid0(VALU_DEP_1) | instskip(NEXT) | instid1(VALU_DEP_1)
	v_dual_add_f32 v24, v24, v28 :: v_dual_add_f32 v25, v25, v29
	v_dual_add_f32 v24, v24, v30 :: v_dual_add_f32 v25, v25, v31
	s_wait_dscnt 0x0
	s_delay_alu instid0(VALU_DEP_1) | instskip(NEXT) | instid1(VALU_DEP_1)
	v_dual_add_f32 v20, v24, v20 :: v_dual_add_f32 v21, v25, v21
	v_dual_add_f32 v66, v20, v22 :: v_dual_add_f32 v67, v21, v23
.LBB182_71:                             ;   in Loop: Header=BB182_4 Depth=1
	s_wait_alu 0xfffe
	s_or_b32 exec_lo, exec_lo, s18
	v_dual_mul_f32 v20, v9, v19 :: v_dual_mul_f32 v21, v11, v5
	v_mul_f32_e32 v19, v8, v19
	v_dual_mul_f32 v5, v10, v5 :: v_dual_mul_f32 v22, v1, v7
	s_delay_alu instid0(VALU_DEP_3) | instskip(NEXT) | instid1(VALU_DEP_4)
	v_fma_f32 v8, v8, v18, -v20
	v_fma_f32 v10, v10, v4, -v21
	v_mul_f32_e32 v7, v0, v7
	s_wait_loadcnt 0x0
	v_fma_f32 v0, v0, v6, -v22
	v_add_f32_e32 v8, 0, v8
	v_fmac_f32_e32 v5, v11, v4
	v_fmac_f32_e32 v7, v1, v6
	s_barrier_signal -1
	s_barrier_wait -1
	v_add_f32_e32 v8, v8, v10
	v_fmac_f32_e32 v19, v9, v18
	global_inv scope:SCOPE_SE
	v_dual_add_f32 v0, v8, v0 :: v_dual_mul_f32 v9, v3, v17
	v_dual_add_f32 v4, 0, v19 :: v_dual_mul_f32 v11, v2, v17
	s_delay_alu instid0(VALU_DEP_2) | instskip(NEXT) | instid1(VALU_DEP_2)
	v_fma_f32 v2, v2, v16, -v9
	v_add_f32_e32 v1, v4, v5
	s_delay_alu instid0(VALU_DEP_2) | instskip(NEXT) | instid1(VALU_DEP_2)
	v_dual_add_f32 v0, v0, v2 :: v_dual_fmac_f32 v11, v3, v16
	v_add_f32_e32 v1, v1, v7
	s_delay_alu instid0(VALU_DEP_1)
	v_add_f32_e32 v1, v1, v11
	ds_store_b64 v106, v[0:1]
	s_wait_loadcnt_dscnt 0x0
	s_barrier_signal -1
	s_barrier_wait -1
	global_inv scope:SCOPE_SE
	s_and_saveexec_b32 s18, s10
	s_cbranch_execz .LBB182_73
; %bb.72:                               ;   in Loop: Header=BB182_4 Depth=1
	ds_load_2addr_b64 v[0:3], v104 offset1:1
	ds_load_2addr_b64 v[4:7], v104 offset0:2 offset1:3
	ds_load_2addr_b64 v[8:11], v104 offset0:4 offset1:5
	s_wait_dscnt 0x2
	v_dual_add_f32 v0, v66, v0 :: v_dual_add_f32 v1, v67, v1
	s_delay_alu instid0(VALU_DEP_1) | instskip(SKIP_3) | instid1(VALU_DEP_1)
	v_dual_add_f32 v16, v0, v2 :: v_dual_add_f32 v17, v1, v3
	ds_load_2addr_b64 v[0:3], v104 offset0:6 offset1:7
	s_wait_dscnt 0x2
	v_dual_add_f32 v4, v16, v4 :: v_dual_add_f32 v5, v17, v5
	v_dual_add_f32 v4, v4, v6 :: v_dual_add_f32 v5, v5, v7
	s_wait_dscnt 0x1
	s_delay_alu instid0(VALU_DEP_1) | instskip(NEXT) | instid1(VALU_DEP_1)
	v_dual_add_f32 v4, v4, v8 :: v_dual_add_f32 v5, v5, v9
	v_dual_add_f32 v4, v4, v10 :: v_dual_add_f32 v5, v5, v11
	s_wait_dscnt 0x0
	s_delay_alu instid0(VALU_DEP_1) | instskip(NEXT) | instid1(VALU_DEP_1)
	v_dual_add_f32 v0, v4, v0 :: v_dual_add_f32 v1, v5, v1
	v_dual_add_f32 v66, v0, v2 :: v_dual_add_f32 v67, v1, v3
.LBB182_73:                             ;   in Loop: Header=BB182_4 Depth=1
	s_wait_alu 0xfffe
	s_or_b32 exec_lo, exec_lo, s18
	s_mul_u64 s[60:61], s[38:39], s[28:29]
	s_and_not1_b32 vcc_lo, exec_lo, s35
	s_wait_alu 0xfffe
	s_lshl_b64 s[60:61], s[60:61], 3
	s_wait_loadcnt 0x0
	s_wait_alu 0xfffe
	s_add_nc_u64 s[60:61], s[40:41], s[60:61]
	s_barrier_signal -1
	s_barrier_wait -1
	global_inv scope:SCOPE_SE
	s_cbranch_vccnz .LBB182_131
; %bb.74:                               ;   in Loop: Header=BB182_4 Depth=1
	v_add_co_u32 v169, vcc_lo, v12, s58
	s_wait_alu 0xfffd
	v_add_co_ci_u32_e64 v170, null, s59, v13, vcc_lo
	v_add_co_u32 v171, vcc_lo, v14, v132
	s_wait_alu 0xfffd
	v_add_co_ci_u32_e64 v172, null, v15, v133, vcc_lo
	;; [unrolled: 3-line block ×17, first 2 shown]
	s_mov_b32 s71, ttmp9
	s_mov_b32 s62, s70
	s_cmp_eq_u32 s68, s71
	s_cselect_b32 s72, s65, 0
	s_and_saveexec_b32 s18, s0
	s_cbranch_execz .LBB182_79
.LBB182_75:                             ;   in Loop: Header=BB182_4 Depth=1
	s_wait_alu 0xfffe
	v_cmp_le_i32_e32 vcc_lo, s72, v100
	s_cmp_lg_u32 s72, 0
	s_cselect_b32 s63, -1, 0
	s_wait_alu 0xfffe
	s_and_b32 s63, s63, vcc_lo
	s_wait_alu 0xfffe
	s_and_saveexec_b32 s73, s63
	s_wait_alu 0xfffe
	s_xor_b32 s63, exec_lo, s73
; %bb.76:                               ;   in Loop: Header=BB182_4 Depth=1
	v_mov_b32_e32 v57, v56
	ds_store_b64 v109, v[56:57]
; %bb.77:                               ;   in Loop: Header=BB182_4 Depth=1
	s_wait_alu 0xfffe
	s_and_not1_saveexec_b32 s63, s63
	s_cbranch_execz .LBB182_79
; %bb.78:                               ;   in Loop: Header=BB182_4 Depth=1
	s_ashr_i32 s63, s62, 31
	s_wait_alu 0xfffe
	s_mul_u64 s[74:75], s[30:31], s[62:63]
	s_wait_alu 0xfffe
	s_lshl_b64 s[74:75], s[74:75], 3
	s_wait_alu 0xfffe
	v_add_co_u32 v0, vcc_lo, v169, s74
	s_wait_alu 0xfffd
	v_add_co_ci_u32_e64 v1, null, s75, v170, vcc_lo
	flat_load_b64 v[0:1], v[0:1]
	s_wait_loadcnt_dscnt 0x0
	ds_store_b64 v109, v[0:1]
.LBB182_79:                             ;   Parent Loop BB182_4 Depth=1
                                        ; =>  This Inner Loop Header: Depth=2
	s_wait_alu 0xfffe
	s_or_b32 exec_lo, exec_lo, s18
	s_cmp_eq_u32 s72, 0
	v_add_co_u32 v0, vcc_lo, v175, v101
	s_cselect_b32 s63, -1, 0
	s_cmp_lg_u32 s72, 0
	s_wait_alu 0xfffd
	v_add_co_ci_u32_e64 v1, null, 0, v176, vcc_lo
	s_cselect_b32 s18, -1, 0
	s_wait_loadcnt_dscnt 0x0
	s_wait_alu 0xfffe
	s_and_b32 vcc_lo, exec_lo, s18
	s_barrier_signal -1
	s_barrier_wait -1
	global_inv scope:SCOPE_SE
	s_wait_alu 0xfffe
	s_cbranch_vccz .LBB182_87
; %bb.80:                               ;   in Loop: Header=BB182_79 Depth=2
	v_mov_b32_e32 v68, 0
	v_dual_mov_b32 v69, 0 :: v_dual_mov_b32 v70, 0
	v_mov_b32_e32 v71, 0
	s_mov_b32 s73, exec_lo
	v_cmpx_gt_i32_e64 s72, v108
	s_cbranch_execz .LBB182_82
; %bb.81:                               ;   in Loop: Header=BB182_79 Depth=2
	flat_load_b64 v[70:71], v[0:1]
.LBB182_82:                             ;   in Loop: Header=BB182_79 Depth=2
	s_wait_alu 0xfffe
	s_or_b32 exec_lo, exec_lo, s73
	s_delay_alu instid0(SALU_CYCLE_1)
	s_mov_b32 s73, exec_lo
	v_cmpx_gt_i32_e64 s72, v115
	s_cbranch_execz .LBB182_84
; %bb.83:                               ;   in Loop: Header=BB182_79 Depth=2
	v_add_co_u32 v2, vcc_lo, v173, v101
	s_wait_alu 0xfffd
	v_add_co_ci_u32_e64 v3, null, 0, v174, vcc_lo
	flat_load_b64 v[68:69], v[2:3]
.LBB182_84:                             ;   in Loop: Header=BB182_79 Depth=2
	s_wait_alu 0xfffe
	s_or_b32 exec_lo, exec_lo, s73
	v_mov_b32_e32 v72, 0
	v_mov_b32_e32 v73, 0
	s_mov_b32 s73, exec_lo
	v_cmpx_gt_i32_e64 s72, v116
	s_cbranch_execz .LBB182_86
; %bb.85:                               ;   in Loop: Header=BB182_79 Depth=2
	v_add_co_u32 v2, vcc_lo, v171, v101
	s_wait_alu 0xfffd
	v_add_co_ci_u32_e64 v3, null, 0, v172, vcc_lo
	flat_load_b64 v[72:73], v[2:3]
.LBB182_86:                             ;   in Loop: Header=BB182_79 Depth=2
	s_wait_alu 0xfffe
	s_or_b32 exec_lo, exec_lo, s73
	v_cmp_gt_i32_e64 s73, s72, v117
	s_branch .LBB182_89
.LBB182_87:                             ;   in Loop: Header=BB182_79 Depth=2
	s_mov_b32 s73, 0
                                        ; implicit-def: $vgpr72_vgpr73
                                        ; implicit-def: $vgpr68_vgpr69
                                        ; implicit-def: $vgpr70_vgpr71
	s_cbranch_execz .LBB182_89
; %bb.88:                               ;   in Loop: Header=BB182_79 Depth=2
	v_add_co_u32 v2, vcc_lo, v173, v101
	s_wait_alu 0xfffd
	v_add_co_ci_u32_e64 v3, null, 0, v174, vcc_lo
	v_add_co_u32 v4, vcc_lo, v171, v101
	s_wait_alu 0xfffd
	v_add_co_ci_u32_e64 v5, null, 0, v172, vcc_lo
	s_wait_loadcnt_dscnt 0x0
	flat_load_b64 v[70:71], v[0:1]
	flat_load_b64 v[68:69], v[2:3]
	;; [unrolled: 1-line block ×3, first 2 shown]
	s_wait_alu 0xfffe
	s_or_b32 s73, s73, exec_lo
.LBB182_89:                             ;   in Loop: Header=BB182_79 Depth=2
	v_mov_b32_e32 v74, 0
	v_mov_b32_e32 v75, 0
	s_wait_alu 0xfffe
	s_and_saveexec_b32 s74, s73
	s_cbranch_execz .LBB182_91
; %bb.90:                               ;   in Loop: Header=BB182_79 Depth=2
	v_add_co_u32 v0, vcc_lo, v177, v101
	s_wait_alu 0xfffd
	v_add_co_ci_u32_e64 v1, null, 0, v178, vcc_lo
	flat_load_b64 v[74:75], v[0:1]
.LBB182_91:                             ;   in Loop: Header=BB182_79 Depth=2
	s_wait_alu 0xfffe
	s_or_b32 exec_lo, exec_lo, s74
	ds_load_b64 v[4:5], v102
	ds_load_b128 v[0:3], v110
	v_cndmask_b32_e64 v40, 0, 1, s18
	s_wait_loadcnt_dscnt 0x1
	v_mul_f32_e32 v9, v5, v70
	v_mul_f32_e32 v7, v5, v69
	;; [unrolled: 1-line block ×4, first 2 shown]
	v_dual_mul_f32 v12, v5, v73 :: v_dual_mul_f32 v15, v4, v75
	v_mul_f32_e32 v13, v5, v72
	v_mul_f32_e32 v14, v5, v75
	v_fmac_f32_e32 v9, v4, v71
	v_fma_f32 v10, v4, v68, -v7
	v_fmac_f32_e32 v11, v4, v69
	v_fma_f32 v8, v4, v70, -v6
	v_fma_f32 v12, v4, v72, -v12
	v_fmac_f32_e32 v13, v4, v73
	v_fma_f32 v14, v4, v74, -v14
	v_fmac_f32_e32 v15, v5, v74
	ds_load_b128 v[4:7], v110 offset:16
	ds_store_2addr_b64 v111, v[8:9], v[10:11] offset1:67
	ds_store_2addr_b64 v111, v[12:13], v[14:15] offset0:134 offset1:201
	s_wait_dscnt 0x0
	s_barrier_signal -1
	s_barrier_wait -1
	global_inv scope:SCOPE_SE
	ds_load_2addr_b64 v[20:23], v112 offset1:1
	ds_load_2addr_b64 v[16:19], v112 offset0:2 offset1:3
	v_add_co_u32 v8, vcc_lo, v183, v101
	s_wait_alu 0xfffd
	v_add_co_ci_u32_e64 v9, null, 0, v184, vcc_lo
	s_and_not1_b32 vcc_lo, exec_lo, s18
	s_wait_loadcnt_dscnt 0x0
	s_barrier_signal -1
	s_barrier_wait -1
	global_inv scope:SCOPE_SE
	s_wait_alu 0xfffe
	s_cbranch_vccnz .LBB182_99
; %bb.92:                               ;   in Loop: Header=BB182_79 Depth=2
	v_mov_b32_e32 v76, 0
	v_dual_mov_b32 v77, 0 :: v_dual_mov_b32 v78, 0
	v_mov_b32_e32 v79, 0
	s_mov_b32 s18, exec_lo
	v_cmpx_gt_i32_e64 s72, v118
	s_cbranch_execz .LBB182_94
; %bb.93:                               ;   in Loop: Header=BB182_79 Depth=2
	flat_load_b64 v[78:79], v[8:9]
.LBB182_94:                             ;   in Loop: Header=BB182_79 Depth=2
	s_wait_alu 0xfffe
	s_or_b32 exec_lo, exec_lo, s18
	s_delay_alu instid0(SALU_CYCLE_1)
	s_mov_b32 s18, exec_lo
	v_cmpx_gt_i32_e64 s72, v119
	s_cbranch_execz .LBB182_96
; %bb.95:                               ;   in Loop: Header=BB182_79 Depth=2
	v_add_co_u32 v10, vcc_lo, v181, v101
	s_wait_alu 0xfffd
	v_add_co_ci_u32_e64 v11, null, 0, v182, vcc_lo
	flat_load_b64 v[76:77], v[10:11]
.LBB182_96:                             ;   in Loop: Header=BB182_79 Depth=2
	s_wait_alu 0xfffe
	s_or_b32 exec_lo, exec_lo, s18
	v_mov_b32_e32 v80, 0
	v_mov_b32_e32 v81, 0
	s_mov_b32 s18, exec_lo
	v_cmpx_gt_i32_e64 s72, v120
	s_cbranch_execz .LBB182_98
; %bb.97:                               ;   in Loop: Header=BB182_79 Depth=2
	v_add_co_u32 v10, vcc_lo, v179, v101
	s_wait_alu 0xfffd
	v_add_co_ci_u32_e64 v11, null, 0, v180, vcc_lo
	flat_load_b64 v[80:81], v[10:11]
.LBB182_98:                             ;   in Loop: Header=BB182_79 Depth=2
	s_wait_alu 0xfffe
	s_or_b32 exec_lo, exec_lo, s18
	v_cmp_gt_i32_e64 s18, s72, v121
	s_branch .LBB182_101
.LBB182_99:                             ;   in Loop: Header=BB182_79 Depth=2
	s_mov_b32 s18, 0
                                        ; implicit-def: $vgpr80_vgpr81
                                        ; implicit-def: $vgpr76_vgpr77
                                        ; implicit-def: $vgpr78_vgpr79
	s_cbranch_execz .LBB182_101
; %bb.100:                              ;   in Loop: Header=BB182_79 Depth=2
	v_add_co_u32 v10, vcc_lo, v181, v101
	s_wait_alu 0xfffd
	v_add_co_ci_u32_e64 v11, null, 0, v182, vcc_lo
	v_add_co_u32 v12, vcc_lo, v179, v101
	s_wait_alu 0xfffd
	v_add_co_ci_u32_e64 v13, null, 0, v180, vcc_lo
	s_wait_loadcnt_dscnt 0x0
	flat_load_b64 v[78:79], v[8:9]
	flat_load_b64 v[76:77], v[10:11]
	;; [unrolled: 1-line block ×3, first 2 shown]
	s_wait_alu 0xfffe
	s_or_b32 s18, s18, exec_lo
.LBB182_101:                            ;   in Loop: Header=BB182_79 Depth=2
	v_mov_b32_e32 v82, 0
	v_mov_b32_e32 v83, 0
	s_wait_alu 0xfffe
	s_and_saveexec_b32 s73, s18
	s_cbranch_execz .LBB182_103
; %bb.102:                              ;   in Loop: Header=BB182_79 Depth=2
	v_add_co_u32 v8, vcc_lo, v185, v101
	s_wait_alu 0xfffd
	v_add_co_ci_u32_e64 v9, null, 0, v186, vcc_lo
	flat_load_b64 v[82:83], v[8:9]
.LBB182_103:                            ;   in Loop: Header=BB182_79 Depth=2
	s_wait_alu 0xfffe
	s_or_b32 exec_lo, exec_lo, s73
	ds_load_b64 v[12:13], v102
	ds_load_b128 v[8:11], v110 offset:128
	v_cmp_ne_u32_e32 vcc_lo, 1, v40
	s_and_b32 vcc_lo, exec_lo, vcc_lo
	s_wait_loadcnt_dscnt 0x1
	v_mul_f32_e32 v25, v13, v78
	v_mul_f32_e32 v15, v13, v77
	;; [unrolled: 1-line block ×4, first 2 shown]
	v_dual_mul_f32 v28, v13, v81 :: v_dual_mul_f32 v31, v12, v83
	v_mul_f32_e32 v29, v13, v80
	v_mul_f32_e32 v30, v13, v83
	v_fmac_f32_e32 v25, v12, v79
	v_fma_f32 v26, v12, v76, -v15
	v_fmac_f32_e32 v27, v12, v77
	v_fma_f32 v24, v12, v78, -v14
	v_fma_f32 v28, v12, v80, -v28
	v_fmac_f32_e32 v29, v12, v81
	v_fma_f32 v30, v12, v82, -v30
	v_fmac_f32_e32 v31, v13, v82
	ds_load_b128 v[12:15], v110 offset:144
	ds_store_2addr_b64 v111, v[24:25], v[26:27] offset1:67
	ds_store_2addr_b64 v111, v[28:29], v[30:31] offset0:134 offset1:201
	s_wait_dscnt 0x0
	s_barrier_signal -1
	s_barrier_wait -1
	global_inv scope:SCOPE_SE
	ds_load_2addr_b64 v[36:39], v112 offset1:1
	ds_load_2addr_b64 v[32:35], v112 offset0:2 offset1:3
	v_add_co_u32 v24, s18, v191, v101
	s_wait_alu 0xf1ff
	v_add_co_ci_u32_e64 v25, null, 0, v192, s18
	s_wait_loadcnt_dscnt 0x0
	s_barrier_signal -1
	s_barrier_wait -1
	global_inv scope:SCOPE_SE
	s_wait_alu 0xfffe
	s_cbranch_vccnz .LBB182_111
; %bb.104:                              ;   in Loop: Header=BB182_79 Depth=2
	v_mov_b32_e32 v84, 0
	v_dual_mov_b32 v85, 0 :: v_dual_mov_b32 v86, 0
	v_mov_b32_e32 v87, 0
	s_mov_b32 s18, exec_lo
	v_cmpx_gt_i32_e64 s72, v122
	s_cbranch_execz .LBB182_106
; %bb.105:                              ;   in Loop: Header=BB182_79 Depth=2
	flat_load_b64 v[86:87], v[24:25]
.LBB182_106:                            ;   in Loop: Header=BB182_79 Depth=2
	s_wait_alu 0xfffe
	s_or_b32 exec_lo, exec_lo, s18
	s_delay_alu instid0(SALU_CYCLE_1)
	s_mov_b32 s18, exec_lo
	v_cmpx_gt_i32_e64 s72, v123
	s_cbranch_execz .LBB182_108
; %bb.107:                              ;   in Loop: Header=BB182_79 Depth=2
	v_add_co_u32 v26, vcc_lo, v189, v101
	s_wait_alu 0xfffd
	v_add_co_ci_u32_e64 v27, null, 0, v190, vcc_lo
	flat_load_b64 v[84:85], v[26:27]
.LBB182_108:                            ;   in Loop: Header=BB182_79 Depth=2
	s_wait_alu 0xfffe
	s_or_b32 exec_lo, exec_lo, s18
	v_mov_b32_e32 v88, 0
	v_mov_b32_e32 v89, 0
	s_mov_b32 s18, exec_lo
	v_cmpx_gt_i32_e64 s72, v124
	s_cbranch_execz .LBB182_110
; %bb.109:                              ;   in Loop: Header=BB182_79 Depth=2
	v_add_co_u32 v26, vcc_lo, v187, v101
	s_wait_alu 0xfffd
	v_add_co_ci_u32_e64 v27, null, 0, v188, vcc_lo
	flat_load_b64 v[88:89], v[26:27]
.LBB182_110:                            ;   in Loop: Header=BB182_79 Depth=2
	s_wait_alu 0xfffe
	s_or_b32 exec_lo, exec_lo, s18
	v_cmp_gt_i32_e64 s18, s72, v125
	s_branch .LBB182_113
.LBB182_111:                            ;   in Loop: Header=BB182_79 Depth=2
	s_mov_b32 s18, 0
                                        ; implicit-def: $vgpr88_vgpr89
                                        ; implicit-def: $vgpr84_vgpr85
                                        ; implicit-def: $vgpr86_vgpr87
	s_cbranch_execz .LBB182_113
; %bb.112:                              ;   in Loop: Header=BB182_79 Depth=2
	v_add_co_u32 v26, vcc_lo, v189, v101
	s_wait_alu 0xfffd
	v_add_co_ci_u32_e64 v27, null, 0, v190, vcc_lo
	v_add_co_u32 v28, vcc_lo, v187, v101
	s_wait_alu 0xfffd
	v_add_co_ci_u32_e64 v29, null, 0, v188, vcc_lo
	s_wait_loadcnt_dscnt 0x0
	flat_load_b64 v[86:87], v[24:25]
	flat_load_b64 v[84:85], v[26:27]
	;; [unrolled: 1-line block ×3, first 2 shown]
	s_wait_alu 0xfffe
	s_or_b32 s18, s18, exec_lo
.LBB182_113:                            ;   in Loop: Header=BB182_79 Depth=2
	v_mov_b32_e32 v90, 0
	v_mov_b32_e32 v91, 0
	s_wait_alu 0xfffe
	s_and_saveexec_b32 s73, s18
	s_cbranch_execz .LBB182_115
; %bb.114:                              ;   in Loop: Header=BB182_79 Depth=2
	v_add_co_u32 v24, vcc_lo, v193, v101
	s_wait_alu 0xfffd
	v_add_co_ci_u32_e64 v25, null, 0, v194, vcc_lo
	flat_load_b64 v[90:91], v[24:25]
.LBB182_115:                            ;   in Loop: Header=BB182_79 Depth=2
	s_wait_alu 0xfffe
	s_or_b32 exec_lo, exec_lo, s73
	ds_load_b64 v[28:29], v102
	ds_load_b128 v[24:27], v110 offset:256
	v_cmp_ne_u32_e32 vcc_lo, 1, v40
	v_add_co_u32 v40, s18, v199, v101
	s_and_b32 vcc_lo, exec_lo, vcc_lo
	s_wait_loadcnt_dscnt 0x1
	v_mul_f32_e32 v30, v29, v87
	v_mul_f32_e32 v42, v29, v86
	v_dual_mul_f32 v31, v29, v85 :: v_dual_mul_f32 v48, v28, v91
	v_mul_f32_e32 v44, v29, v84
	s_delay_alu instid0(VALU_DEP_3) | instskip(SKIP_1) | instid1(VALU_DEP_3)
	v_dual_mul_f32 v45, v29, v89 :: v_dual_fmac_f32 v42, v28, v87
	v_mul_f32_e32 v46, v29, v88
	v_dual_mul_f32 v47, v29, v91 :: v_dual_fmac_f32 v44, v28, v85
	v_fma_f32 v41, v28, v86, -v30
	v_fma_f32 v43, v28, v84, -v31
	;; [unrolled: 1-line block ×3, first 2 shown]
	v_fmac_f32_e32 v46, v28, v89
	v_fma_f32 v47, v28, v90, -v47
	v_fmac_f32_e32 v48, v29, v90
	ds_load_b128 v[28:31], v110 offset:272
	ds_store_2addr_b64 v111, v[41:42], v[43:44] offset1:67
	ds_store_2addr_b64 v111, v[45:46], v[47:48] offset0:134 offset1:201
	s_wait_dscnt 0x0
	s_barrier_signal -1
	s_barrier_wait -1
	global_inv scope:SCOPE_SE
	ds_load_2addr_b64 v[52:55], v112 offset1:1
	ds_load_2addr_b64 v[48:51], v112 offset0:2 offset1:3
	s_wait_alu 0xf1ff
	v_add_co_ci_u32_e64 v41, null, 0, v200, s18
	s_wait_loadcnt_dscnt 0x0
	s_barrier_signal -1
	s_barrier_wait -1
	global_inv scope:SCOPE_SE
	s_wait_alu 0xfffe
	s_cbranch_vccnz .LBB182_123
; %bb.116:                              ;   in Loop: Header=BB182_79 Depth=2
	v_mov_b32_e32 v92, 0
	v_dual_mov_b32 v93, 0 :: v_dual_mov_b32 v94, 0
	v_mov_b32_e32 v95, 0
	s_mov_b32 s18, exec_lo
	v_cmpx_gt_i32_e64 s72, v126
	s_cbranch_execz .LBB182_118
; %bb.117:                              ;   in Loop: Header=BB182_79 Depth=2
	flat_load_b64 v[94:95], v[40:41]
.LBB182_118:                            ;   in Loop: Header=BB182_79 Depth=2
	s_wait_alu 0xfffe
	s_or_b32 exec_lo, exec_lo, s18
	s_delay_alu instid0(SALU_CYCLE_1)
	s_mov_b32 s18, exec_lo
	v_cmpx_gt_i32_e64 s72, v127
	s_cbranch_execz .LBB182_120
; %bb.119:                              ;   in Loop: Header=BB182_79 Depth=2
	v_add_co_u32 v42, vcc_lo, v197, v101
	s_wait_alu 0xfffd
	v_add_co_ci_u32_e64 v43, null, 0, v198, vcc_lo
	flat_load_b64 v[92:93], v[42:43]
.LBB182_120:                            ;   in Loop: Header=BB182_79 Depth=2
	s_wait_alu 0xfffe
	s_or_b32 exec_lo, exec_lo, s18
	v_mov_b32_e32 v96, 0
	v_mov_b32_e32 v97, 0
	s_mov_b32 s18, exec_lo
	v_cmpx_gt_i32_e64 s72, v128
	s_cbranch_execz .LBB182_122
; %bb.121:                              ;   in Loop: Header=BB182_79 Depth=2
	v_add_co_u32 v42, vcc_lo, v195, v101
	s_wait_alu 0xfffd
	v_add_co_ci_u32_e64 v43, null, 0, v196, vcc_lo
	flat_load_b64 v[96:97], v[42:43]
.LBB182_122:                            ;   in Loop: Header=BB182_79 Depth=2
	s_wait_alu 0xfffe
	s_or_b32 exec_lo, exec_lo, s18
	v_cmp_gt_i32_e64 s18, s72, v129
	s_branch .LBB182_125
.LBB182_123:                            ;   in Loop: Header=BB182_79 Depth=2
	s_mov_b32 s18, 0
                                        ; implicit-def: $vgpr96_vgpr97
                                        ; implicit-def: $vgpr92_vgpr93
                                        ; implicit-def: $vgpr94_vgpr95
	s_cbranch_execz .LBB182_125
; %bb.124:                              ;   in Loop: Header=BB182_79 Depth=2
	v_add_co_u32 v42, vcc_lo, v197, v101
	s_wait_alu 0xfffd
	v_add_co_ci_u32_e64 v43, null, 0, v198, vcc_lo
	v_add_co_u32 v44, vcc_lo, v195, v101
	s_wait_alu 0xfffd
	v_add_co_ci_u32_e64 v45, null, 0, v196, vcc_lo
	s_wait_loadcnt_dscnt 0x0
	flat_load_b64 v[94:95], v[40:41]
	flat_load_b64 v[92:93], v[42:43]
	flat_load_b64 v[96:97], v[44:45]
	s_wait_alu 0xfffe
	s_or_b32 s18, s18, exec_lo
.LBB182_125:                            ;   in Loop: Header=BB182_79 Depth=2
	v_mov_b32_e32 v98, 0
	v_mov_b32_e32 v99, 0
	s_wait_alu 0xfffe
	s_and_saveexec_b32 s73, s18
	s_cbranch_execz .LBB182_127
; %bb.126:                              ;   in Loop: Header=BB182_79 Depth=2
	v_add_co_u32 v40, vcc_lo, v201, v101
	s_wait_alu 0xfffd
	v_add_co_ci_u32_e64 v41, null, 0, v202, vcc_lo
	flat_load_b64 v[98:99], v[40:41]
.LBB182_127:                            ;   in Loop: Header=BB182_79 Depth=2
	s_wait_alu 0xfffe
	s_or_b32 exec_lo, exec_lo, s73
	ds_load_b64 v[44:45], v102
	ds_load_b128 v[40:43], v110 offset:384
	v_cmp_gt_i32_e32 vcc_lo, s72, v100
	v_dual_add_f32 v37, 0, v37 :: v_dual_add_f32 v52, 0, v52
	v_add_f32_e32 v21, 0, v21
	v_dual_add_f32 v53, 0, v53 :: v_dual_add_f32 v36, 0, v36
	s_or_b32 s18, s63, vcc_lo
	s_delay_alu instid0(VALU_DEP_3) | instskip(NEXT) | instid1(VALU_DEP_3)
	v_dual_add_f32 v37, v37, v39 :: v_dual_add_f32 v20, 0, v20
	v_add_f32_e32 v21, v21, v23
	s_wait_alu 0xfffe
	s_and_b32 s63, s17, s18
	s_delay_alu instid0(VALU_DEP_2) | instskip(NEXT) | instid1(VALU_DEP_2)
	v_dual_add_f32 v33, v37, v33 :: v_dual_add_f32 v20, v20, v22
	v_add_f32_e32 v39, v21, v17
	s_delay_alu instid0(VALU_DEP_2)
	v_add_f32_e32 v21, v33, v35
	s_wait_loadcnt_dscnt 0x1
	v_mul_f32_e32 v204, v45, v94
	v_mul_f32_e32 v46, v45, v95
	v_dual_mul_f32 v47, v45, v93 :: v_dual_mul_f32 v210, v44, v99
	v_mul_f32_e32 v206, v45, v92
	s_delay_alu instid0(VALU_DEP_4) | instskip(SKIP_1) | instid1(VALU_DEP_3)
	v_dual_mul_f32 v57, v45, v97 :: v_dual_fmac_f32 v204, v44, v95
	v_mul_f32_e32 v208, v45, v96
	v_dual_mul_f32 v209, v45, v99 :: v_dual_fmac_f32 v206, v44, v93
	v_fma_f32 v203, v44, v94, -v46
	v_fma_f32 v205, v44, v92, -v47
	v_fma_f32 v207, v44, v96, -v57
	s_delay_alu instid0(VALU_DEP_4)
	v_fma_f32 v209, v44, v98, -v209
	v_fmac_f32_e32 v210, v45, v98
	v_add_f32_e32 v57, v52, v54
	v_fmac_f32_e32 v208, v44, v97
	ds_load_b128 v[44:47], v110 offset:400
	ds_store_2addr_b64 v111, v[203:204], v[205:206] offset1:67
	ds_store_2addr_b64 v111, v[207:208], v[209:210] offset0:134 offset1:201
	s_wait_dscnt 0x0
	s_barrier_signal -1
	s_barrier_wait -1
	global_inv scope:SCOPE_SE
	ds_load_2addr_b64 v[203:206], v112 offset1:1
	v_add_f32_e32 v207, v53, v55
	ds_load_2addr_b64 v[52:55], v112 offset0:2 offset1:3
	v_add_f32_e32 v36, v36, v38
	v_dual_add_f32 v38, v20, v16 :: v_dual_add_f32 v19, v39, v19
	v_dual_add_f32 v23, v207, v49 :: v_dual_add_f32 v22, v57, v48
	s_wait_loadcnt_dscnt 0x0
	s_delay_alu instid0(VALU_DEP_2) | instskip(SKIP_1) | instid1(VALU_DEP_2)
	v_add_f32_e32 v18, v38, v18
	s_barrier_signal -1
	v_dual_add_f32 v17, v23, v51 :: v_dual_add_f32 v16, v22, v50
	s_barrier_wait -1
	global_inv scope:SCOPE_SE
	v_add_f32_e32 v37, 0, v204
	v_add_f32_e32 v32, v36, v32
	v_add_f32_e32 v36, 0, v203
	s_delay_alu instid0(VALU_DEP_2) | instskip(NEXT) | instid1(VALU_DEP_2)
	v_add_f32_e32 v20, v32, v34
	v_add_f32_e32 v22, v36, v205
	;; [unrolled: 1-line block ×3, first 2 shown]
	s_delay_alu instid0(VALU_DEP_1) | instskip(NEXT) | instid1(VALU_DEP_1)
	v_add_f32_e32 v23, v36, v53
	v_dual_add_f32 v23, v23, v55 :: v_dual_add_f32 v22, v22, v52
	s_delay_alu instid0(VALU_DEP_1)
	v_add_f32_e32 v22, v22, v54
	ds_store_2addr_b64 v164, v[18:19], v[20:21] offset1:16
	ds_store_2addr_b64 v164, v[16:17], v[22:23] offset0:32 offset1:48
	s_wait_loadcnt_dscnt 0x0
	s_barrier_signal -1
	s_barrier_wait -1
	global_inv scope:SCOPE_SE
	s_wait_alu 0xfffe
	s_and_saveexec_b32 s18, s63
	s_cbranch_execz .LBB182_129
; %bb.128:                              ;   in Loop: Header=BB182_79 Depth=2
	ds_load_b64 v[36:37], v113
	ds_load_2addr_b64 v[16:19], v113 offset0:1 offset1:2
	ds_load_2addr_b64 v[20:23], v113 offset0:3 offset1:4
	ds_load_2addr_b64 v[32:35], v113 offset0:5 offset1:6
	s_wait_dscnt 0x2
	v_dual_add_f32 v16, v16, v36 :: v_dual_add_f32 v17, v17, v37
	s_delay_alu instid0(VALU_DEP_1) | instskip(SKIP_3) | instid1(VALU_DEP_1)
	v_dual_add_f32 v36, v18, v16 :: v_dual_add_f32 v37, v19, v17
	ds_load_2addr_b64 v[16:19], v113 offset0:7 offset1:8
	s_wait_dscnt 0x2
	v_dual_add_f32 v20, v36, v20 :: v_dual_add_f32 v21, v37, v21
	v_dual_add_f32 v36, v20, v22 :: v_dual_add_f32 v37, v21, v23
	ds_load_2addr_b64 v[20:23], v113 offset0:9 offset1:10
	s_wait_dscnt 0x2
	v_dual_add_f32 v32, v36, v32 :: v_dual_add_f32 v33, v37, v33
	s_delay_alu instid0(VALU_DEP_1) | instskip(SKIP_3) | instid1(VALU_DEP_1)
	v_dual_add_f32 v36, v32, v34 :: v_dual_add_f32 v37, v33, v35
	ds_load_2addr_b64 v[32:35], v113 offset0:11 offset1:12
	s_wait_dscnt 0x2
	v_dual_add_f32 v16, v36, v16 :: v_dual_add_f32 v17, v37, v17
	v_dual_add_f32 v36, v16, v18 :: v_dual_add_f32 v37, v17, v19
	ds_load_2addr_b64 v[16:19], v113 offset0:13 offset1:14
	s_wait_dscnt 0x2
	v_dual_add_f32 v20, v36, v20 :: v_dual_add_f32 v21, v37, v21
	s_delay_alu instid0(VALU_DEP_1) | instskip(SKIP_3) | instid1(VALU_DEP_1)
	v_dual_add_f32 v22, v20, v22 :: v_dual_add_f32 v23, v21, v23
	ds_load_b64 v[20:21], v114
	s_wait_dscnt 0x2
	v_dual_add_f32 v22, v22, v32 :: v_dual_add_f32 v23, v23, v33
	v_dual_add_f32 v32, v22, v34 :: v_dual_add_f32 v23, v23, v35
	s_wait_dscnt 0x1
	s_delay_alu instid0(VALU_DEP_1) | instskip(NEXT) | instid1(VALU_DEP_2)
	v_dual_add_f32 v17, v23, v17 :: v_dual_add_nc_u32 v22, s62, v100
	v_add_f32_e32 v16, v32, v16
	s_delay_alu instid0(VALU_DEP_2) | instskip(NEXT) | instid1(VALU_DEP_2)
	v_ashrrev_i32_e32 v23, 31, v22
	v_dual_add_f32 v19, v17, v19 :: v_dual_add_f32 v18, v16, v18
	s_delay_alu instid0(VALU_DEP_2) | instskip(SKIP_1) | instid1(VALU_DEP_2)
	v_lshlrev_b64_e32 v[16:17], 3, v[22:23]
	s_wait_dscnt 0x0
	v_dual_add_f32 v19, v19, v21 :: v_dual_add_f32 v18, v18, v20
	s_delay_alu instid0(VALU_DEP_2) | instskip(SKIP_1) | instid1(VALU_DEP_3)
	v_add_co_u32 v16, vcc_lo, s60, v16
	s_wait_alu 0xfffd
	v_add_co_ci_u32_e64 v17, null, s61, v17, vcc_lo
	global_store_b64 v[16:17], v[18:19], off
.LBB182_129:                            ;   in Loop: Header=BB182_79 Depth=2
	s_wait_alu 0xfffe
	s_or_b32 exec_lo, exec_lo, s18
	v_dual_mul_f32 v16, v1, v71 :: v_dual_mul_f32 v17, v3, v69
	v_dual_mul_f32 v3, v3, v68 :: v_dual_mul_f32 v18, v5, v73
	v_add_co_u32 v171, vcc_lo, v171, s50
	s_delay_alu instid0(VALU_DEP_3)
	v_fma_f32 v16, v0, v70, -v16
	v_mul_f32_e32 v1, v1, v70
	v_fma_f32 v17, v2, v68, -v17
	v_fmac_f32_e32 v3, v2, v69
	s_wait_alu 0xfffd
	v_add_co_ci_u32_e64 v172, null, s51, v172, vcc_lo
	v_add_f32_e32 v16, v66, v16
	v_mul_f32_e32 v5, v5, v72
	v_fmac_f32_e32 v1, v0, v71
	v_fma_f32 v0, v4, v72, -v18
	v_mul_f32_e32 v20, v9, v79
	v_dual_add_f32 v16, v16, v17 :: v_dual_mul_f32 v19, v7, v75
	v_mul_f32_e32 v7, v7, v74
	v_fmac_f32_e32 v5, v4, v73
	v_add_co_u32 v173, vcc_lo, v173, s50
	s_delay_alu instid0(VALU_DEP_4)
	v_add_f32_e32 v0, v16, v0
	v_fma_f32 v2, v6, v74, -v19
	v_mul_f32_e32 v17, v11, v77
	v_fmac_f32_e32 v7, v6, v75
	s_wait_alu 0xfffd
	v_add_co_ci_u32_e64 v174, null, s51, v174, vcc_lo
	v_add_f32_e32 v0, v0, v2
	v_mul_f32_e32 v2, v13, v81
	v_add_f32_e32 v1, v67, v1
	v_fma_f32 v4, v10, v76, -v17
	v_add_co_u32 v175, vcc_lo, v175, s50
	s_delay_alu instid0(VALU_DEP_4) | instskip(NEXT) | instid1(VALU_DEP_4)
	v_fma_f32 v2, v12, v80, -v2
	v_add_f32_e32 v1, v1, v3
	v_fma_f32 v3, v8, v78, -v20
	v_mul_f32_e32 v9, v9, v78
	s_wait_alu 0xfffd
	v_add_co_ci_u32_e64 v176, null, s51, v176, vcc_lo
	v_add_co_u32 v177, vcc_lo, v177, s50
	v_add_f32_e32 v0, v0, v3
	v_fmac_f32_e32 v9, v8, v79
	s_wait_alu 0xfffd
	v_add_co_ci_u32_e64 v178, null, s51, v178, vcc_lo
	v_add_co_u32 v179, vcc_lo, v179, s50
	v_add_f32_e32 v0, v0, v4
	v_mul_f32_e32 v11, v11, v76
	v_mul_f32_e32 v4, v13, v80
	s_wait_alu 0xfffd
	v_add_co_ci_u32_e64 v180, null, s51, v180, vcc_lo
	v_add_f32_e32 v0, v0, v2
	v_mul_f32_e32 v2, v25, v87
	v_fmac_f32_e32 v4, v12, v81
	v_fmac_f32_e32 v11, v10, v77
	v_add_co_u32 v181, vcc_lo, v181, s50
	s_delay_alu instid0(VALU_DEP_4) | instskip(SKIP_4) | instid1(VALU_DEP_3)
	v_fma_f32 v2, v24, v86, -v2
	v_mul_f32_e32 v3, v15, v83
	s_wait_alu 0xfffd
	v_add_co_ci_u32_e64 v182, null, s51, v182, vcc_lo
	v_add_co_u32 v183, vcc_lo, v183, s50
	v_fma_f32 v3, v14, v82, -v3
	v_add_f32_e32 v1, v1, v5
	v_mul_f32_e32 v5, v15, v82
	s_wait_alu 0xfffd
	v_add_co_ci_u32_e64 v184, null, s51, v184, vcc_lo
	v_dual_add_f32 v0, v0, v3 :: v_dual_mul_f32 v3, v27, v85
	s_delay_alu instid0(VALU_DEP_3) | instskip(SKIP_1) | instid1(VALU_DEP_3)
	v_fmac_f32_e32 v5, v14, v83
	v_add_co_u32 v185, vcc_lo, v185, s50
	v_add_f32_e32 v0, v0, v2
	s_delay_alu instid0(VALU_DEP_4)
	v_fma_f32 v2, v26, v84, -v3
	v_mul_f32_e32 v3, v29, v89
	v_add_f32_e32 v1, v1, v7
	s_wait_alu 0xfffd
	v_add_co_ci_u32_e64 v186, null, s51, v186, vcc_lo
	v_add_f32_e32 v0, v0, v2
	v_fma_f32 v2, v28, v88, -v3
	v_mul_f32_e32 v3, v31, v91
	v_dual_add_f32 v1, v1, v9 :: v_dual_mul_f32 v6, v47, v98
	v_add_co_u32 v187, vcc_lo, v187, s50
	s_delay_alu instid0(VALU_DEP_4) | instskip(NEXT) | instid1(VALU_DEP_4)
	v_add_f32_e32 v0, v0, v2
	v_fma_f32 v2, v30, v90, -v3
	v_mul_f32_e32 v3, v41, v95
	v_add_f32_e32 v1, v1, v11
	v_fmac_f32_e32 v6, v46, v99
	s_wait_alu 0xfffd
	v_add_co_ci_u32_e64 v188, null, s51, v188, vcc_lo
	v_add_f32_e32 v0, v0, v2
	v_fma_f32 v2, v40, v94, -v3
	v_mul_f32_e32 v3, v43, v93
	v_add_f32_e32 v1, v1, v4
	v_mul_f32_e32 v4, v25, v86
	v_add_co_u32 v189, vcc_lo, v189, s50
	v_add_f32_e32 v0, v0, v2
	v_fma_f32 v2, v42, v92, -v3
	s_delay_alu instid0(VALU_DEP_4)
	v_dual_add_f32 v1, v1, v5 :: v_dual_fmac_f32 v4, v24, v87
	v_mul_f32_e32 v3, v43, v92
	s_wait_alu 0xfffd
	v_add_co_ci_u32_e64 v190, null, s51, v190, vcc_lo
	v_add_f32_e32 v0, v0, v2
	v_mul_f32_e32 v2, v45, v96
	v_mul_f32_e32 v5, v27, v84
	v_add_f32_e32 v1, v1, v4
	v_dual_mul_f32 v4, v29, v88 :: v_dual_fmac_f32 v3, v42, v93
	s_delay_alu instid0(VALU_DEP_4) | instskip(NEXT) | instid1(VALU_DEP_4)
	v_fmac_f32_e32 v2, v44, v97
	v_fmac_f32_e32 v5, v26, v85
	v_add_co_u32 v191, vcc_lo, v191, s50
	s_delay_alu instid0(VALU_DEP_4)
	v_fmac_f32_e32 v4, v28, v89
	s_wait_alu 0xfffd
	v_add_co_ci_u32_e64 v192, null, s51, v192, vcc_lo
	v_add_f32_e32 v1, v1, v5
	v_mul_f32_e32 v5, v31, v90
	v_add_co_u32 v193, vcc_lo, v193, s50
	s_wait_alu 0xfffd
	v_add_co_ci_u32_e64 v194, null, s51, v194, vcc_lo
	v_add_f32_e32 v1, v1, v4
	v_dual_fmac_f32 v5, v30, v91 :: v_dual_mul_f32 v4, v41, v94
	v_add_co_u32 v195, vcc_lo, v195, s50
	s_wait_alu 0xfffd
	v_add_co_ci_u32_e64 v196, null, s51, v196, vcc_lo
	s_delay_alu instid0(VALU_DEP_3)
	v_dual_add_f32 v1, v1, v5 :: v_dual_fmac_f32 v4, v40, v95
	v_mul_f32_e32 v5, v45, v97
	v_add_co_u32 v197, vcc_lo, v197, s50
	s_wait_alu 0xfffd
	v_add_co_ci_u32_e64 v198, null, s51, v198, vcc_lo
	v_add_f32_e32 v1, v1, v4
	v_fma_f32 v4, v44, v96, -v5
	v_mul_f32_e32 v5, v47, v99
	v_add_co_u32 v199, vcc_lo, v199, s50
	s_delay_alu instid0(VALU_DEP_3) | instskip(NEXT) | instid1(VALU_DEP_3)
	v_dual_add_f32 v1, v1, v3 :: v_dual_add_f32 v0, v0, v4
	v_fma_f32 v3, v46, v98, -v5
	s_wait_alu 0xfffd
	v_add_co_ci_u32_e64 v200, null, s51, v200, vcc_lo
	s_delay_alu instid0(VALU_DEP_3)
	v_add_f32_e32 v1, v1, v2
	v_add_co_u32 v201, vcc_lo, v201, s50
	v_add_f32_e32 v66, v0, v3
	s_wait_alu 0xfffd
	v_add_co_ci_u32_e64 v202, null, s51, v202, vcc_lo
	v_add_f32_e32 v67, v1, v6
	s_add_co_i32 s63, s71, 2
	s_add_co_i32 s18, s71, 1
	;; [unrolled: 1-line block ×3, first 2 shown]
	s_wait_alu 0xfffe
	s_cmp_ge_u32 s63, s34
	s_wait_loadcnt 0x0
	s_wait_storecnt 0x0
	s_barrier_signal -1
	s_barrier_wait -1
	global_inv scope:SCOPE_SE
	s_cbranch_scc1 .LBB182_131
; %bb.130:                              ;   in Loop: Header=BB182_79 Depth=2
	s_mov_b32 s71, s18
	s_delay_alu instid0(SALU_CYCLE_1)
	s_cmp_eq_u32 s68, s71
	s_cselect_b32 s72, s65, 0
	s_and_saveexec_b32 s18, s0
	s_cbranch_execnz .LBB182_75
	s_branch .LBB182_79
.LBB182_131:                            ;   in Loop: Header=BB182_4 Depth=1
	ds_store_b64 v130, v[66:67]
	s_wait_loadcnt_dscnt 0x0
	s_barrier_signal -1
	s_barrier_wait -1
	global_inv scope:SCOPE_SE
	s_and_saveexec_b32 s18, s69
	s_cbranch_execz .LBB182_2
; %bb.132:                              ;   in Loop: Header=BB182_4 Depth=1
	ds_load_2addr_b64 v[0:3], v101 offset1:67
	ds_load_2addr_b64 v[4:7], v101 offset0:134 offset1:201
	s_wait_dscnt 0x1
	v_dual_add_f32 v0, v2, v0 :: v_dual_add_f32 v1, v3, v1
	s_wait_alu 0xfffe
	v_add_co_u32 v2, vcc_lo, s60, v62
	s_wait_alu 0xfffd
	v_add_co_ci_u32_e64 v3, null, s61, v63, vcc_lo
	s_wait_dscnt 0x0
	v_dual_add_f32 v0, v4, v0 :: v_dual_add_f32 v1, v5, v1
	s_delay_alu instid0(VALU_DEP_1)
	v_dual_add_f32 v0, v0, v6 :: v_dual_add_f32 v1, v1, v7
	global_store_b64 v[2:3], v[0:1], off
	s_branch .LBB182_2
.LBB182_133:                            ;   in Loop: Header=BB182_4 Depth=1
	ds_load_b64 v[2:3], v167
	s_wait_dscnt 0x0
	ds_store_b64 v103, v[2:3]
	s_wait_alu 0xfffe
	s_or_b32 exec_lo, exec_lo, s18
	s_and_saveexec_b32 s18, s7
	s_cbranch_execz .LBB182_29
.LBB182_134:                            ;   in Loop: Header=BB182_4 Depth=1
	ds_load_b64 v[2:3], v168
	s_wait_dscnt 0x0
	ds_store_b64 v103, v[2:3] offset:8
	s_wait_alu 0xfffe
	s_or_b32 exec_lo, exec_lo, s18
	s_and_saveexec_b32 s18, s8
	s_cbranch_execz .LBB182_30
.LBB182_135:                            ;   in Loop: Header=BB182_4 Depth=1
	ds_load_b64 v[2:3], v168 offset:264
	s_wait_dscnt 0x0
	ds_store_b64 v103, v[2:3] offset:16
	s_wait_alu 0xfffe
	s_or_b32 exec_lo, exec_lo, s18
	s_and_saveexec_b32 s18, s9
	s_cbranch_execnz .LBB182_31
	s_branch .LBB182_32
.LBB182_136:                            ;   in Loop: Header=BB182_4 Depth=1
	ds_load_b64 v[2:3], v167
	s_wait_dscnt 0x0
	ds_store_b64 v103, v[2:3]
	s_wait_alu 0xfffe
	s_or_b32 exec_lo, exec_lo, s18
	s_and_saveexec_b32 s18, s7
	s_cbranch_execz .LBB182_50
.LBB182_137:                            ;   in Loop: Header=BB182_4 Depth=1
	ds_load_b64 v[2:3], v168
	s_wait_dscnt 0x0
	ds_store_b64 v103, v[2:3] offset:8
	s_wait_alu 0xfffe
	s_or_b32 exec_lo, exec_lo, s18
	s_and_saveexec_b32 s18, s8
	s_cbranch_execz .LBB182_51
.LBB182_138:                            ;   in Loop: Header=BB182_4 Depth=1
	ds_load_b64 v[2:3], v168 offset:264
	s_wait_dscnt 0x0
	ds_store_b64 v103, v[2:3] offset:16
	s_wait_alu 0xfffe
	s_or_b32 exec_lo, exec_lo, s18
	s_and_saveexec_b32 s18, s9
	s_cbranch_execnz .LBB182_52
	s_branch .LBB182_53
.LBB182_139:                            ;   in Loop: Header=BB182_4 Depth=1
	flat_load_b64 v[4:5], v[0:1]
	s_wait_loadcnt_dscnt 0x0
	ds_store_b64 v165, v[4:5]
	s_or_b32 exec_lo, exec_lo, s18
	s_and_saveexec_b32 s18, s3
	s_wait_alu 0xfffe
	s_xor_b32 s18, exec_lo, s18
	s_cbranch_execz .LBB182_18
.LBB182_140:                            ;   in Loop: Header=BB182_4 Depth=1
	v_mov_b32_e32 v57, v56
	ds_store_b64 v165, v[56:57] offset:2112
	s_wait_alu 0xfffe
	s_and_not1_saveexec_b32 s18, s18
	s_cbranch_execz .LBB182_19
.LBB182_141:                            ;   in Loop: Header=BB182_4 Depth=1
	v_add_co_u32 v4, vcc_lo, v0, s42
	s_wait_alu 0xfffd
	v_add_co_ci_u32_e64 v5, null, s43, v1, vcc_lo
	flat_load_b64 v[4:5], v[4:5]
	s_wait_loadcnt_dscnt 0x0
	ds_store_b64 v165, v[4:5] offset:2112
	s_wait_alu 0xfffe
	s_or_b32 exec_lo, exec_lo, s18
	s_and_saveexec_b32 s18, s4
	s_wait_alu 0xfffe
	s_xor_b32 s18, exec_lo, s18
	s_cbranch_execz .LBB182_20
.LBB182_142:                            ;   in Loop: Header=BB182_4 Depth=1
	v_mov_b32_e32 v57, v56
	ds_store_b64 v165, v[56:57] offset:4224
	s_wait_alu 0xfffe
	s_and_not1_saveexec_b32 s18, s18
	s_cbranch_execz .LBB182_21
.LBB182_143:                            ;   in Loop: Header=BB182_4 Depth=1
	v_add_co_u32 v4, vcc_lo, v0, s44
	s_wait_alu 0xfffd
	v_add_co_ci_u32_e64 v5, null, s45, v1, vcc_lo
	flat_load_b64 v[4:5], v[4:5]
	s_wait_loadcnt_dscnt 0x0
	ds_store_b64 v165, v[4:5] offset:4224
	s_wait_alu 0xfffe
	s_or_b32 exec_lo, exec_lo, s18
	s_and_saveexec_b32 s18, s5
	s_wait_alu 0xfffe
	s_xor_b32 s18, exec_lo, s18
	s_cbranch_execz .LBB182_22
.LBB182_144:                            ;   in Loop: Header=BB182_4 Depth=1
	v_mov_b32_e32 v57, v56
	ds_store_b64 v165, v[56:57] offset:6336
	s_wait_alu 0xfffe
	s_and_not1_saveexec_b32 s18, s18
	s_cbranch_execnz .LBB182_23
	s_branch .LBB182_24
.LBB182_145:                            ;   in Loop: Header=BB182_4 Depth=1
	flat_load_b64 v[6:7], v[0:1]
	s_wait_loadcnt_dscnt 0x0
	ds_store_b64 v165, v[6:7]
	s_or_b32 exec_lo, exec_lo, s18
	s_and_saveexec_b32 s18, s13
	s_wait_alu 0xfffe
	s_xor_b32 s18, exec_lo, s18
	s_cbranch_execz .LBB182_39
.LBB182_146:                            ;   in Loop: Header=BB182_4 Depth=1
	v_mov_b32_e32 v57, v56
	ds_store_b64 v165, v[56:57] offset:2112
	s_wait_alu 0xfffe
	s_and_not1_saveexec_b32 s18, s18
	s_cbranch_execz .LBB182_40
.LBB182_147:                            ;   in Loop: Header=BB182_4 Depth=1
	v_add_co_u32 v6, vcc_lo, v0, s42
	s_wait_alu 0xfffd
	v_add_co_ci_u32_e64 v7, null, s43, v1, vcc_lo
	flat_load_b64 v[6:7], v[6:7]
	s_wait_loadcnt_dscnt 0x0
	ds_store_b64 v165, v[6:7] offset:2112
	s_wait_alu 0xfffe
	s_or_b32 exec_lo, exec_lo, s18
	s_and_saveexec_b32 s18, s14
	s_wait_alu 0xfffe
	s_xor_b32 s18, exec_lo, s18
	s_cbranch_execz .LBB182_41
.LBB182_148:                            ;   in Loop: Header=BB182_4 Depth=1
	v_mov_b32_e32 v57, v56
	ds_store_b64 v165, v[56:57] offset:4224
	s_wait_alu 0xfffe
	s_and_not1_saveexec_b32 s18, s18
	s_cbranch_execz .LBB182_42
.LBB182_149:                            ;   in Loop: Header=BB182_4 Depth=1
	v_add_co_u32 v6, vcc_lo, v0, s44
	s_wait_alu 0xfffd
	v_add_co_ci_u32_e64 v7, null, s45, v1, vcc_lo
	flat_load_b64 v[6:7], v[6:7]
	s_wait_loadcnt_dscnt 0x0
	ds_store_b64 v165, v[6:7] offset:4224
	s_wait_alu 0xfffe
	s_or_b32 exec_lo, exec_lo, s18
	s_and_saveexec_b32 s18, s15
	s_wait_alu 0xfffe
	s_xor_b32 s18, exec_lo, s18
	s_cbranch_execz .LBB182_43
.LBB182_150:                            ;   in Loop: Header=BB182_4 Depth=1
	v_mov_b32_e32 v57, v56
	ds_store_b64 v165, v[56:57] offset:6336
	s_wait_alu 0xfffe
	s_and_not1_saveexec_b32 s18, s18
	s_cbranch_execnz .LBB182_44
	s_branch .LBB182_45
.LBB182_151:                            ;   in Loop: Header=BB182_4 Depth=1
	flat_load_b64 v[6:7], v[4:5]
	s_wait_loadcnt_dscnt 0x0
	ds_store_b64 v165, v[6:7]
	s_or_b32 exec_lo, exec_lo, s18
	s_and_saveexec_b32 s18, s13
	s_wait_alu 0xfffe
	s_xor_b32 s18, exec_lo, s18
	s_cbranch_execz .LBB182_60
.LBB182_152:                            ;   in Loop: Header=BB182_4 Depth=1
	v_mov_b32_e32 v57, v56
	ds_store_b64 v165, v[56:57] offset:2112
	s_wait_alu 0xfffe
	s_and_not1_saveexec_b32 s18, s18
	s_cbranch_execz .LBB182_61
.LBB182_153:                            ;   in Loop: Header=BB182_4 Depth=1
	v_add_co_u32 v6, vcc_lo, v4, s42
	s_wait_alu 0xfffd
	v_add_co_ci_u32_e64 v7, null, s43, v5, vcc_lo
	flat_load_b64 v[6:7], v[6:7]
	s_wait_loadcnt_dscnt 0x0
	ds_store_b64 v165, v[6:7] offset:2112
	s_wait_alu 0xfffe
	s_or_b32 exec_lo, exec_lo, s18
	s_and_saveexec_b32 s18, s14
	s_wait_alu 0xfffe
	s_xor_b32 s18, exec_lo, s18
	s_cbranch_execz .LBB182_62
.LBB182_154:                            ;   in Loop: Header=BB182_4 Depth=1
	v_mov_b32_e32 v57, v56
	ds_store_b64 v165, v[56:57] offset:4224
	s_wait_alu 0xfffe
	s_and_not1_saveexec_b32 s18, s18
	s_cbranch_execz .LBB182_63
.LBB182_155:                            ;   in Loop: Header=BB182_4 Depth=1
	v_add_co_u32 v6, vcc_lo, v4, s44
	s_wait_alu 0xfffd
	v_add_co_ci_u32_e64 v7, null, s45, v5, vcc_lo
	flat_load_b64 v[6:7], v[6:7]
	s_wait_loadcnt_dscnt 0x0
	ds_store_b64 v165, v[6:7] offset:4224
	s_wait_alu 0xfffe
	s_or_b32 exec_lo, exec_lo, s18
	s_and_saveexec_b32 s18, s15
	s_wait_alu 0xfffe
	s_xor_b32 s18, exec_lo, s18
	s_cbranch_execz .LBB182_64
.LBB182_156:                            ;   in Loop: Header=BB182_4 Depth=1
	v_mov_b32_e32 v57, v56
	ds_store_b64 v165, v[56:57] offset:6336
	s_wait_alu 0xfffe
	s_and_not1_saveexec_b32 s18, s18
	s_cbranch_execnz .LBB182_65
	s_branch .LBB182_66
.LBB182_157:
	s_nop 0
	s_sendmsg sendmsg(MSG_DEALLOC_VGPRS)
	s_endpgm
	.section	.rodata,"a",@progbits
	.p2align	6, 0x0
	.amdhsa_kernel _ZL26rocblas_hemvn_kernel_upperILb0ELi64ELi4ELi33ELi32ELi16El19rocblas_complex_numIfEPKPKS1_PS1_EviT6_lT7_lT5_lS8_lS9_lS7_lT8_i
		.amdhsa_group_segment_fixed_size 9600
		.amdhsa_private_segment_fixed_size 0
		.amdhsa_kernarg_size 376
		.amdhsa_user_sgpr_count 2
		.amdhsa_user_sgpr_dispatch_ptr 0
		.amdhsa_user_sgpr_queue_ptr 0
		.amdhsa_user_sgpr_kernarg_segment_ptr 1
		.amdhsa_user_sgpr_dispatch_id 0
		.amdhsa_user_sgpr_private_segment_size 0
		.amdhsa_wavefront_size32 1
		.amdhsa_uses_dynamic_stack 0
		.amdhsa_enable_private_segment 0
		.amdhsa_system_sgpr_workgroup_id_x 1
		.amdhsa_system_sgpr_workgroup_id_y 0
		.amdhsa_system_sgpr_workgroup_id_z 1
		.amdhsa_system_sgpr_workgroup_info 0
		.amdhsa_system_vgpr_workitem_id 1
		.amdhsa_next_free_vgpr 211
		.amdhsa_next_free_sgpr 76
		.amdhsa_reserve_vcc 1
		.amdhsa_float_round_mode_32 0
		.amdhsa_float_round_mode_16_64 0
		.amdhsa_float_denorm_mode_32 3
		.amdhsa_float_denorm_mode_16_64 3
		.amdhsa_fp16_overflow 0
		.amdhsa_workgroup_processor_mode 1
		.amdhsa_memory_ordered 1
		.amdhsa_forward_progress 1
		.amdhsa_inst_pref_size 89
		.amdhsa_round_robin_scheduling 0
		.amdhsa_exception_fp_ieee_invalid_op 0
		.amdhsa_exception_fp_denorm_src 0
		.amdhsa_exception_fp_ieee_div_zero 0
		.amdhsa_exception_fp_ieee_overflow 0
		.amdhsa_exception_fp_ieee_underflow 0
		.amdhsa_exception_fp_ieee_inexact 0
		.amdhsa_exception_int_div_zero 0
	.end_amdhsa_kernel
	.section	.text._ZL26rocblas_hemvn_kernel_upperILb0ELi64ELi4ELi33ELi32ELi16El19rocblas_complex_numIfEPKPKS1_PS1_EviT6_lT7_lT5_lS8_lS9_lS7_lT8_i,"axG",@progbits,_ZL26rocblas_hemvn_kernel_upperILb0ELi64ELi4ELi33ELi32ELi16El19rocblas_complex_numIfEPKPKS1_PS1_EviT6_lT7_lT5_lS8_lS9_lS7_lT8_i,comdat
.Lfunc_end182:
	.size	_ZL26rocblas_hemvn_kernel_upperILb0ELi64ELi4ELi33ELi32ELi16El19rocblas_complex_numIfEPKPKS1_PS1_EviT6_lT7_lT5_lS8_lS9_lS7_lT8_i, .Lfunc_end182-_ZL26rocblas_hemvn_kernel_upperILb0ELi64ELi4ELi33ELi32ELi16El19rocblas_complex_numIfEPKPKS1_PS1_EviT6_lT7_lT5_lS8_lS9_lS7_lT8_i
                                        ; -- End function
	.set _ZL26rocblas_hemvn_kernel_upperILb0ELi64ELi4ELi33ELi32ELi16El19rocblas_complex_numIfEPKPKS1_PS1_EviT6_lT7_lT5_lS8_lS9_lS7_lT8_i.num_vgpr, 211
	.set _ZL26rocblas_hemvn_kernel_upperILb0ELi64ELi4ELi33ELi32ELi16El19rocblas_complex_numIfEPKPKS1_PS1_EviT6_lT7_lT5_lS8_lS9_lS7_lT8_i.num_agpr, 0
	.set _ZL26rocblas_hemvn_kernel_upperILb0ELi64ELi4ELi33ELi32ELi16El19rocblas_complex_numIfEPKPKS1_PS1_EviT6_lT7_lT5_lS8_lS9_lS7_lT8_i.numbered_sgpr, 76
	.set _ZL26rocblas_hemvn_kernel_upperILb0ELi64ELi4ELi33ELi32ELi16El19rocblas_complex_numIfEPKPKS1_PS1_EviT6_lT7_lT5_lS8_lS9_lS7_lT8_i.num_named_barrier, 0
	.set _ZL26rocblas_hemvn_kernel_upperILb0ELi64ELi4ELi33ELi32ELi16El19rocblas_complex_numIfEPKPKS1_PS1_EviT6_lT7_lT5_lS8_lS9_lS7_lT8_i.private_seg_size, 0
	.set _ZL26rocblas_hemvn_kernel_upperILb0ELi64ELi4ELi33ELi32ELi16El19rocblas_complex_numIfEPKPKS1_PS1_EviT6_lT7_lT5_lS8_lS9_lS7_lT8_i.uses_vcc, 1
	.set _ZL26rocblas_hemvn_kernel_upperILb0ELi64ELi4ELi33ELi32ELi16El19rocblas_complex_numIfEPKPKS1_PS1_EviT6_lT7_lT5_lS8_lS9_lS7_lT8_i.uses_flat_scratch, 1
	.set _ZL26rocblas_hemvn_kernel_upperILb0ELi64ELi4ELi33ELi32ELi16El19rocblas_complex_numIfEPKPKS1_PS1_EviT6_lT7_lT5_lS8_lS9_lS7_lT8_i.has_dyn_sized_stack, 0
	.set _ZL26rocblas_hemvn_kernel_upperILb0ELi64ELi4ELi33ELi32ELi16El19rocblas_complex_numIfEPKPKS1_PS1_EviT6_lT7_lT5_lS8_lS9_lS7_lT8_i.has_recursion, 0
	.set _ZL26rocblas_hemvn_kernel_upperILb0ELi64ELi4ELi33ELi32ELi16El19rocblas_complex_numIfEPKPKS1_PS1_EviT6_lT7_lT5_lS8_lS9_lS7_lT8_i.has_indirect_call, 0
	.section	.AMDGPU.csdata,"",@progbits
; Kernel info:
; codeLenInByte = 11296
; TotalNumSgprs: 78
; NumVgprs: 211
; ScratchSize: 0
; MemoryBound: 1
; FloatMode: 240
; IeeeMode: 1
; LDSByteSize: 9600 bytes/workgroup (compile time only)
; SGPRBlocks: 0
; VGPRBlocks: 26
; NumSGPRsForWavesPerEU: 78
; NumVGPRsForWavesPerEU: 211
; Occupancy: 7
; WaveLimiterHint : 1
; COMPUTE_PGM_RSRC2:SCRATCH_EN: 0
; COMPUTE_PGM_RSRC2:USER_SGPR: 2
; COMPUTE_PGM_RSRC2:TRAP_HANDLER: 0
; COMPUTE_PGM_RSRC2:TGID_X_EN: 1
; COMPUTE_PGM_RSRC2:TGID_Y_EN: 0
; COMPUTE_PGM_RSRC2:TGID_Z_EN: 1
; COMPUTE_PGM_RSRC2:TIDIG_COMP_CNT: 1
	.section	.text._ZL26rocblas_hemvn_kernel_upperILb0ELi64ELi4ELi33ELi32ELi16Ei19rocblas_complex_numIfEPKPKS1_PS1_EviT6_lT7_lT5_lS8_lS9_lS7_lT8_i,"axG",@progbits,_ZL26rocblas_hemvn_kernel_upperILb0ELi64ELi4ELi33ELi32ELi16Ei19rocblas_complex_numIfEPKPKS1_PS1_EviT6_lT7_lT5_lS8_lS9_lS7_lT8_i,comdat
	.globl	_ZL26rocblas_hemvn_kernel_upperILb0ELi64ELi4ELi33ELi32ELi16Ei19rocblas_complex_numIfEPKPKS1_PS1_EviT6_lT7_lT5_lS8_lS9_lS7_lT8_i ; -- Begin function _ZL26rocblas_hemvn_kernel_upperILb0ELi64ELi4ELi33ELi32ELi16Ei19rocblas_complex_numIfEPKPKS1_PS1_EviT6_lT7_lT5_lS8_lS9_lS7_lT8_i
	.p2align	8
	.type	_ZL26rocblas_hemvn_kernel_upperILb0ELi64ELi4ELi33ELi32ELi16Ei19rocblas_complex_numIfEPKPKS1_PS1_EviT6_lT7_lT5_lS8_lS9_lS7_lT8_i,@function
_ZL26rocblas_hemvn_kernel_upperILb0ELi64ELi4ELi33ELi32ELi16Ei19rocblas_complex_numIfEPKPKS1_PS1_EviT6_lT7_lT5_lS8_lS9_lS7_lT8_i: ; @_ZL26rocblas_hemvn_kernel_upperILb0ELi64ELi4ELi33ELi32ELi16Ei19rocblas_complex_numIfEPKPKS1_PS1_EviT6_lT7_lT5_lS8_lS9_lS7_lT8_i
; %bb.0:
	s_clause 0x1
	s_load_b64 s[2:3], s[0:1], 0x84
	s_load_b32 s33, s[0:1], 0x70
	s_lshr_b32 s28, ttmp7, 16
	s_wait_kmcnt 0x0
	s_lshr_b32 s4, s2, 16
	s_and_b32 s2, s2, 0xffff
	s_and_b32 s3, s3, 0xffff
	s_mul_i32 s2, s4, s2
	s_delay_alu instid0(SALU_CYCLE_1) | instskip(NEXT) | instid1(SALU_CYCLE_1)
	s_mul_i32 s2, s2, s3
	s_cmp_lg_u32 s2, 0x100
	s_cselect_b32 s2, -1, 0
	s_cmp_ge_u32 s28, s33
	s_cselect_b32 s3, -1, 0
	s_delay_alu instid0(SALU_CYCLE_1) | instskip(NEXT) | instid1(SALU_CYCLE_1)
	s_or_b32 s2, s2, s3
	s_and_b32 vcc_lo, exec_lo, s2
	s_cbranch_vccnz .LBB183_157
; %bb.1:
	s_clause 0x5
	s_load_b64 s[6:7], s[0:1], 0x4
	s_load_b32 s4, s[0:1], 0x0
	s_load_b32 s48, s[0:1], 0x28
	s_load_b64 s[8:9], s[0:1], 0x58
	s_load_b128 s[20:23], s[0:1], 0x18
	s_load_b64 s[10:11], s[0:1], 0x68
	s_add_nc_u64 s[12:13], s[0:1], 0x78
	s_clause 0x1
	s_load_b128 s[24:27], s[0:1], 0x38
	s_load_b32 s50, s[0:1], 0x48
	s_load_b32 s30, s[12:13], 0x0
	v_dual_mov_b32 v57, 0 :: v_dual_and_b32 v56, 0x3ff, v0
	v_bfe_u32 v5, v0, 10, 10
	v_and_b32_e32 v1, 31, v0
	s_mov_b32 s29, 0
	s_mov_b32 s2, ttmp9
	s_mov_b32 s31, s29
	v_lshl_add_u32 v12, v5, 6, v56
	v_lshlrev_b32_e32 v13, 3, v1
	v_lshlrev_b32_e32 v111, 2, v5
	;; [unrolled: 1-line block ×3, first 2 shown]
	s_wait_kmcnt 0x0
	s_or_b32 s0, s6, s7
	s_ashr_i32 s5, s4, 31
	s_bitset0_b32 s0, 31
	s_ashr_i32 s49, s48, 31
	s_cmp_eq_u32 s0, 0
	v_lshrrev_b32_e32 v10, 5, v12
	s_cselect_b32 s64, -1, 0
	s_cmp_lg_u32 s0, 0
	s_mul_u64 s[36:37], s[30:31], s[4:5]
	s_cselect_b32 s62, -1, 0
	s_cmp_neq_f32 s8, 1.0
	v_add_nc_u32_e32 v11, 8, v10
	v_lshl_or_b32 v18, v1, 8, v13
	v_and_b32_e32 v19, 0x7fe0, v12
	s_cselect_b32 s46, -1, 0
	s_cmp_neq_f32 s9, 0
	v_mad_co_u64_u32 v[2:3], null, s48, v10, v[1:2]
	v_mul_u32_u24_e32 v14, 0x108, v10
	s_cselect_b32 s47, -1, 0
	s_lshr_b32 s1, s5, 26
	s_add_co_i32 s3, s30, -1
	s_add_co_i32 s1, s4, s1
	s_lshl_b32 s18, ttmp9, 6
	s_and_not1_b32 s1, s1, 63
	v_add_nc_u32_e32 v15, 16, v10
	s_sub_co_i32 s65, s4, s1
	s_cmp_eq_u32 ttmp9, s3
	v_add_nc_u32_e32 v16, 24, v10
	s_cselect_b32 s34, s65, 0
	v_lshlrev_b32_e32 v17, 2, v10
	s_cmp_lg_u32 s34, 0
	v_add_nc_u32_e32 v107, v18, v19
	s_cselect_b32 s31, -1, 0
	s_cmp_eq_u32 s34, 0
	v_mul_u32_u24_e32 v18, 0x420, v10
	s_cselect_b32 s1, -1, 0
	s_ashr_i32 s3, ttmp9, 31
	s_sub_co_i32 s15, s34, 32
	s_mul_u64 s[2:3], s[4:5], s[2:3]
	v_lshlrev_b32_e32 v23, 3, v10
	s_lshl_b64 s[2:3], s[2:3], 3
	v_cmp_le_i32_e64 s12, s15, v10
	s_add_nc_u64 s[38:39], s[10:11], s[2:3]
	v_sub_co_u32 v8, s2, 0, v1
	s_delay_alu instid0(VALU_DEP_1)
	v_sub_co_ci_u32_e64 v9, null, 0, 0, s2
	v_cmp_le_i32_e64 s2, s34, v10
	v_cmp_le_i32_e64 s3, s34, v11
	v_cmp_le_i32_e64 s13, s15, v11
	v_cmp_eq_u32_e64 s16, 1, v10
	v_mul_i32_i24_e32 v112, 0xffffffe8, v10
	v_mad_co_u64_u32 v[10:11], null, s48, v111, v[56:57]
	v_cmp_gt_i32_e32 vcc_lo, s34, v56
	v_ashrrev_i32_e32 v3, 31, v2
	s_mul_i32 s56, s48, s18
	s_lshl_b32 s40, s48, 3
	s_lshl_b32 s54, s48, 4
	s_or_b32 s51, s1, vcc_lo
	s_delay_alu instid0(VALU_DEP_3)
	v_ashrrev_i32_e32 v11, 31, v10
	s_mul_i32 s42, s48, 24
	s_lshl_b32 s60, s48, 5
	s_mul_i32 s44, s50, s18
	s_add_co_i32 s63, ttmp9, 1
	v_lshlrev_b64_e32 v[59:60], 3, v[2:3]
	s_ashr_i32 s19, s18, 31
	s_xor_b32 s66, s51, -1
	s_ashr_i32 s57, s56, 31
	s_ashr_i32 s35, s34, 31
	;; [unrolled: 1-line block ×7, first 2 shown]
	s_cmp_lt_u32 s63, s30
	v_lshlrev_b64_e32 v[2:3], 3, v[10:11]
	s_cselect_b32 s67, -1, 0
	s_lshl_b32 s52, s48, 1
	s_mul_i32 s72, s48, 3
	s_or_b32 s86, s46, s47
	s_lshl_b64 s[46:47], s[48:49], 6
	s_lshl_b64 s[74:75], s[48:49], 3
	;; [unrolled: 1-line block ×4, first 2 shown]
	v_sub_co_u32 v122, vcc_lo, 0, v59
	s_wait_alu 0xfffe
	s_add_nc_u64 s[78:79], s[76:77], s[48:49]
	s_ashr_i32 s53, s52, 31
	v_sub_co_ci_u32_e64 v123, null, 0, v60, vcc_lo
	v_add_co_u32 v124, vcc_lo, s78, v2
	s_add_nc_u64 s[80:81], s[74:75], s[48:49]
	s_ashr_i32 s73, s72, 31
	s_wait_alu 0xfffd
	v_add_co_ci_u32_e64 v125, null, s79, v3, vcc_lo
	v_add_co_u32 v126, vcc_lo, s80, v2
	s_lshl_b64 s[82:83], s[52:53], 3
	s_wait_alu 0xfffd
	v_add_co_ci_u32_e64 v127, null, s81, v3, vcc_lo
	v_add_co_u32 v128, vcc_lo, s48, v2
	s_add_nc_u64 s[52:53], s[48:49], s[82:83]
	s_lshl_b64 s[72:73], s[72:73], 3
	s_wait_alu 0xfffd
	v_add_co_ci_u32_e64 v129, null, s49, v3, vcc_lo
	v_add_co_u32 v130, vcc_lo, s52, v2
	s_add_nc_u64 s[84:85], s[48:49], s[72:73]
	s_wait_alu 0xfffd
	v_add_co_ci_u32_e64 v131, null, s53, v3, vcc_lo
	s_lshl_b64 s[52:53], s[54:55], 3
	v_add_co_u32 v132, vcc_lo, s84, v2
	s_wait_alu 0xfffd
	v_add_co_ci_u32_e64 v133, null, s85, v3, vcc_lo
	s_wait_alu 0xfffe
	s_add_nc_u64 s[84:85], s[78:79], s[52:53]
	s_add_nc_u64 s[80:81], s[80:81], s[52:53]
	s_wait_alu 0xfffe
	v_add_co_u32 v134, vcc_lo, s84, v2
	s_wait_alu 0xfffd
	v_add_co_ci_u32_e64 v135, null, s85, v3, vcc_lo
	v_add_co_u32 v136, vcc_lo, s80, v2
	s_wait_alu 0xfffd
	v_add_co_ci_u32_e64 v137, null, s81, v3, vcc_lo
	s_add_nc_u64 s[80:81], s[48:49], s[52:53]
	v_cmp_gt_u32_e64 s6, v17, v1
	s_wait_alu 0xfffe
	v_add_co_u32 v138, vcc_lo, s80, v2
	s_add_nc_u64 s[84:85], s[80:81], s[82:83]
	s_wait_alu 0xfffd
	v_add_co_ci_u32_e64 v139, null, s81, v3, vcc_lo
	s_wait_alu 0xfffe
	v_add_co_u32 v140, vcc_lo, s84, v2
	s_wait_alu 0xfffd
	v_add_co_ci_u32_e64 v141, null, s85, v3, vcc_lo
	s_add_nc_u64 s[80:81], s[80:81], s[72:73]
	s_lshl_b64 s[84:85], s[54:55], 4
	s_wait_alu 0xfffe
	v_add_co_u32 v142, vcc_lo, s80, v2
	s_add_nc_u64 s[78:79], s[78:79], s[84:85]
	s_wait_alu 0xfffd
	v_add_co_ci_u32_e64 v143, null, s81, v3, vcc_lo
	s_add_nc_u64 s[80:81], s[84:85], s[48:49]
	s_wait_alu 0xfffe
	v_add_co_u32 v144, vcc_lo, s78, v2
	s_wait_alu 0xfffd
	v_add_co_ci_u32_e64 v145, null, s79, v3, vcc_lo
	s_add_nc_u64 s[78:79], s[80:81], s[74:75]
	v_or_b32_e32 v20, 1, v17
	s_wait_alu 0xfffe
	v_add_co_u32 v146, vcc_lo, s78, v2
	s_wait_alu 0xfffd
	v_add_co_ci_u32_e64 v147, null, s79, v3, vcc_lo
	v_add_co_u32 v10, vcc_lo, s60, v10
	s_wait_alu 0xfffd
	v_add_co_ci_u32_e64 v11, null, s61, v11, vcc_lo
	v_cmp_ge_u32_e64 s7, v17, v1
	v_or_b32_e32 v22, 2, v17
	v_or_b32_e32 v17, 3, v17
	s_delay_alu instid0(VALU_DEP_4)
	v_lshlrev_b64_e32 v[10:11], 3, v[10:11]
	v_add_nc_u32_e32 v4, s18, v56
	v_add_co_u32 v148, vcc_lo, s80, v2
	s_add_nc_u64 s[60:61], s[80:81], s[82:83]
	v_cmp_eq_u32_e64 s0, 0, v5
	v_cmp_le_i32_e64 s4, s34, v15
	v_cmp_gt_u32_e64 s9, v17, v1
	v_or_b32_e32 v17, 32, v1
	v_cmp_le_i32_e64 s14, s15, v15
	v_lshrrev_b32_e32 v15, 4, v12
	v_mul_lo_u32 v6, s50, v4
	s_wait_alu 0xfffd
	v_add_co_ci_u32_e64 v149, null, s81, v3, vcc_lo
	s_wait_alu 0xfffe
	v_add_co_u32 v150, vcc_lo, s60, v2
	v_mad_co_i64_i32 v[61:62], null, s54, 24, v[10:11]
	s_lshl_b32 s69, s50, 6
	s_mul_i32 s50, s50, s63
	s_wait_alu 0xfffd
	v_add_co_ci_u32_e64 v151, null, s61, v3, vcc_lo
	s_add_nc_u64 s[60:61], s[80:81], s[72:73]
	s_mul_u64 s[78:79], s[54:55], 24
	v_cmp_le_i32_e64 s5, s34, v16
	v_mul_u32_u24_e32 v21, 33, v1
	v_cmp_gt_i32_e64 s11, s34, v17
	v_cmp_le_i32_e64 s15, s15, v16
	v_and_b32_e32 v16, 15, v0
	v_and_b32_e32 v0, 48, v0
	v_lshlrev_b32_e32 v17, 5, v15
	s_and_b32 s70, s0, s51
	s_wait_alu 0xfffe
	s_lshl_b32 s71, s50, 6
	s_lshl_b64 s[50:51], s[54:55], 5
	v_add_co_u32 v152, vcc_lo, s60, v2
	s_add_nc_u64 s[54:55], s[78:79], s[76:77]
	s_wait_alu 0xfffd
	v_add_co_ci_u32_e64 v153, null, s61, v3, vcc_lo
	s_wait_alu 0xfffe
	v_add_co_u32 v154, vcc_lo, s54, v10
	v_ashrrev_i32_e32 v7, 31, v6
	v_lshl_add_u32 v114, v5, 5, 0x2180
	v_mad_u32_u24 v115, 0x860, v5, v105
	v_mad_u32_u24 v119, 0x218, v5, v105
	v_ashrrev_i32_e32 v5, 31, v4
	s_wait_alu 0xfffd
	v_add_co_ci_u32_e64 v155, null, s55, v11, vcc_lo
	v_add_co_u32 v156, vcc_lo, v61, s74
	v_lshlrev_b32_e32 v108, 3, v21
	v_mul_u32_u24_e32 v20, 0x108, v20
	v_add_nc_u32_e32 v109, 0x2380, v19
	v_lshlrev_b32_e32 v0, 3, v0
	v_or_b32_e32 v19, 0x78, v105
	v_mad_u32_u24 v116, 0x218, v16, v17
	v_mul_i32_i24_e32 v15, 0xffffffe8, v15
	s_wait_alu 0xfffd
	v_add_co_ci_u32_e64 v157, null, s75, v62, vcc_lo
	v_add_co_u32 v158, vcc_lo, v61, s82
	s_wait_alu 0xfffd
	v_add_co_ci_u32_e64 v159, null, s83, v62, vcc_lo
	v_add_co_u32 v163, vcc_lo, v61, s72
	v_lshlrev_b64_e32 v[63:64], 3, v[6:7]
	v_lshlrev_b64_e32 v[65:66], 3, v[8:9]
	v_lshlrev_b64_e32 v[67:68], 3, v[4:5]
	v_add_nc_u32_e32 v106, 0x2380, v105
	v_cmp_gt_i32_e64 s1, s34, v1
	v_cmp_gt_u32_e64 s8, v22, v1
	v_add_nc_u32_e32 v110, v108, v23
	v_cmp_gt_u32_e64 s10, 32, v12
	v_add_nc_u32_e32 v113, 0x2180, v105
	v_cmp_gt_u32_e64 s17, 64, v12
	v_mad_u32_u24 v117, 0x218, v16, v0
	v_mad_u32_u24 v118, 0x218, v16, v19
	v_add_nc_u32_e32 v120, 0x2380, v23
	v_add_nc_u32_e32 v121, 64, v4
	;; [unrolled: 1-line block ×5, first 2 shown]
	s_wait_alu 0xfffd
	v_add_co_ci_u32_e64 v164, null, s73, v62, vcc_lo
	v_lshlrev_b32_e32 v165, 3, v1
	v_add_nc_u32_e32 v166, v116, v15
	s_sub_nc_u64 s[58:59], 0, s[44:45]
	s_add_co_i32 s68, s30, -2
	s_sub_nc_u64 s[44:45], 0, s[34:35]
	s_or_b32 s72, s86, s62
	s_lshl_b64 s[26:27], s[26:27], 3
	s_lshl_b64 s[22:23], s[22:23], 3
	;; [unrolled: 1-line block ×5, first 2 shown]
	s_branch .LBB183_4
.LBB183_2:                              ;   in Loop: Header=BB183_4 Depth=1
	s_wait_alu 0xfffe
	s_or_b32 exec_lo, exec_lo, s18
.LBB183_3:                              ;   in Loop: Header=BB183_4 Depth=1
	s_add_co_i32 s28, s28, 0x10000
	s_delay_alu instid0(SALU_CYCLE_1)
	s_cmp_lt_u32 s28, s33
	s_cbranch_scc0 .LBB183_157
.LBB183_4:                              ; =>This Loop Header: Depth=1
                                        ;     Child Loop BB183_79 Depth 2
	s_wait_alu 0xfffe
	s_and_not1_b32 vcc_lo, exec_lo, s72
	s_wait_alu 0xfffe
	s_cbranch_vccnz .LBB183_3
; %bb.5:                                ;   in Loop: Header=BB183_4 Depth=1
	s_and_b32 vcc_lo, exec_lo, s64
	s_mov_b32 s18, -1
	s_wait_alu 0xfffe
	s_cbranch_vccz .LBB183_7
; %bb.6:                                ;   in Loop: Header=BB183_4 Depth=1
	s_mov_b32 s18, 0
.LBB183_7:                              ;   in Loop: Header=BB183_4 Depth=1
	s_wait_alu 0xfffe
	s_and_not1_b32 vcc_lo, exec_lo, s18
	s_wait_alu 0xfffe
	s_cbranch_vccnz .LBB183_3
; %bb.8:                                ;   in Loop: Header=BB183_4 Depth=1
	s_lshl_b64 s[18:19], s[28:29], 3
	s_wait_alu 0xfffe
	s_add_nc_u64 s[60:61], s[24:25], s[18:19]
	s_add_nc_u64 s[18:19], s[20:21], s[18:19]
	s_clause 0x1
	global_load_b64 v[2:3], v57, s[60:61]
	global_load_b64 v[0:1], v57, s[18:19]
	s_wait_loadcnt 0x1
	v_add_co_u32 v2, vcc_lo, v2, s26
	s_wait_alu 0xfffd
	v_add_co_ci_u32_e64 v3, null, s27, v3, vcc_lo
	s_delay_alu instid0(VALU_DEP_2) | instskip(SKIP_1) | instid1(VALU_DEP_2)
	v_add_co_u32 v12, vcc_lo, v2, v63
	s_wait_alu 0xfffd
	v_add_co_ci_u32_e64 v13, null, v3, v64, vcc_lo
	s_and_saveexec_b32 s18, s0
	s_cbranch_execz .LBB183_13
; %bb.9:                                ;   in Loop: Header=BB183_4 Depth=1
	s_and_saveexec_b32 s19, s66
	s_wait_alu 0xfffe
	s_xor_b32 s19, exec_lo, s19
; %bb.10:                               ;   in Loop: Header=BB183_4 Depth=1
	v_mov_b32_e32 v58, v57
	ds_store_b64 v106, v[57:58]
; %bb.11:                               ;   in Loop: Header=BB183_4 Depth=1
	s_wait_alu 0xfffe
	s_and_not1_saveexec_b32 s19, s19
	s_cbranch_execz .LBB183_13
; %bb.12:                               ;   in Loop: Header=BB183_4 Depth=1
	flat_load_b64 v[2:3], v[12:13]
	s_wait_loadcnt_dscnt 0x0
	ds_store_b64 v106, v[2:3]
.LBB183_13:                             ;   in Loop: Header=BB183_4 Depth=1
	s_wait_alu 0xfffe
	s_or_b32 exec_lo, exec_lo, s18
	s_wait_loadcnt 0x0
	v_add_co_u32 v0, vcc_lo, v0, s22
	s_wait_alu 0xfffd
	v_add_co_ci_u32_e64 v1, null, s23, v1, vcc_lo
	s_mov_b32 s18, -1
	v_add_co_u32 v0, vcc_lo, v0, s54
	s_wait_alu 0xfffd
	v_add_co_ci_u32_e64 v1, null, s55, v1, vcc_lo
	s_delay_alu instid0(VALU_DEP_2) | instskip(SKIP_1) | instid1(VALU_DEP_2)
	v_add_co_u32 v0, vcc_lo, v0, v59
	s_wait_alu 0xfffd
	v_add_co_ci_u32_e64 v1, null, v1, v60, vcc_lo
	s_delay_alu instid0(VALU_DEP_2) | instskip(SKIP_1) | instid1(VALU_DEP_2)
	v_add_co_u32 v2, vcc_lo, v0, s56
	s_wait_alu 0xfffd
	v_add_co_ci_u32_e64 v3, null, s57, v1, vcc_lo
	s_and_b32 vcc_lo, exec_lo, s31
                                        ; implicit-def: $vgpr0_vgpr1
	s_wait_alu 0xfffe
	s_cbranch_vccz .LBB183_25
; %bb.14:                               ;   in Loop: Header=BB183_4 Depth=1
	s_and_saveexec_b32 s18, s2
	s_wait_alu 0xfffe
	s_xor_b32 s18, exec_lo, s18
; %bb.15:                               ;   in Loop: Header=BB183_4 Depth=1
	v_mov_b32_e32 v58, v57
	ds_store_b64 v160, v[57:58]
; %bb.16:                               ;   in Loop: Header=BB183_4 Depth=1
	s_wait_alu 0xfffe
	s_or_saveexec_b32 s18, s18
	v_add_co_u32 v0, vcc_lo, v2, v65
	s_wait_alu 0xfffd
	v_add_co_ci_u32_e64 v1, null, v3, v66, vcc_lo
	s_lshl_b64 s[60:61], s[34:35], 3
	s_wait_alu 0xfffe
	v_add_co_u32 v0, vcc_lo, v0, s60
	s_wait_alu 0xfffd
	v_add_co_ci_u32_e64 v1, null, s61, v1, vcc_lo
	s_delay_alu instid0(VALU_DEP_2) | instskip(SKIP_1) | instid1(VALU_DEP_2)
	v_add_co_u32 v0, vcc_lo, v0, -8
	s_wait_alu 0xfffd
	v_add_co_ci_u32_e64 v1, null, -1, v1, vcc_lo
	s_delay_alu instid0(VALU_DEP_2) | instskip(NEXT) | instid1(VALU_DEP_2)
	v_cndmask_b32_e64 v0, v0, v2, s1
	v_cndmask_b32_e64 v1, v1, v3, s1
	s_xor_b32 exec_lo, exec_lo, s18
	s_cbranch_execnz .LBB183_139
; %bb.17:                               ;   in Loop: Header=BB183_4 Depth=1
	s_or_b32 exec_lo, exec_lo, s18
	s_and_saveexec_b32 s18, s3
	s_wait_alu 0xfffe
	s_xor_b32 s18, exec_lo, s18
	s_cbranch_execnz .LBB183_140
.LBB183_18:                             ;   in Loop: Header=BB183_4 Depth=1
	s_wait_alu 0xfffe
	s_and_not1_saveexec_b32 s18, s18
	s_cbranch_execnz .LBB183_141
.LBB183_19:                             ;   in Loop: Header=BB183_4 Depth=1
	s_wait_alu 0xfffe
	s_or_b32 exec_lo, exec_lo, s18
	s_and_saveexec_b32 s18, s4
	s_wait_alu 0xfffe
	s_xor_b32 s18, exec_lo, s18
	s_cbranch_execnz .LBB183_142
.LBB183_20:                             ;   in Loop: Header=BB183_4 Depth=1
	s_wait_alu 0xfffe
	s_and_not1_saveexec_b32 s18, s18
	s_cbranch_execnz .LBB183_143
.LBB183_21:                             ;   in Loop: Header=BB183_4 Depth=1
	s_wait_alu 0xfffe
	s_or_b32 exec_lo, exec_lo, s18
	s_and_saveexec_b32 s18, s5
	s_wait_alu 0xfffe
	s_xor_b32 s18, exec_lo, s18
	s_cbranch_execnz .LBB183_144
.LBB183_22:                             ;   in Loop: Header=BB183_4 Depth=1
	s_wait_alu 0xfffe
	s_and_not1_saveexec_b32 s18, s18
	s_cbranch_execz .LBB183_24
.LBB183_23:                             ;   in Loop: Header=BB183_4 Depth=1
	s_lshl_b64 s[60:61], s[42:43], 3
	s_wait_alu 0xfffe
	v_add_co_u32 v4, vcc_lo, v0, s60
	s_wait_alu 0xfffd
	v_add_co_ci_u32_e64 v5, null, s61, v1, vcc_lo
	flat_load_b64 v[4:5], v[4:5]
	s_wait_loadcnt_dscnt 0x0
	ds_store_b64 v160, v[4:5] offset:6336
.LBB183_24:                             ;   in Loop: Header=BB183_4 Depth=1
	s_wait_alu 0xfffe
	s_or_b32 exec_lo, exec_lo, s18
	v_add_co_u32 v0, vcc_lo, v0, v165
	s_wait_alu 0xfffd
	v_add_co_ci_u32_e64 v1, null, 0, v1, vcc_lo
	s_lshl_b64 s[18:19], s[44:45], 3
	s_wait_alu 0xfffe
	v_add_co_u32 v0, vcc_lo, v0, s18
	s_wait_alu 0xfffd
	v_add_co_ci_u32_e64 v1, null, s19, v1, vcc_lo
	s_mov_b32 s18, 0
	v_add_co_u32 v0, vcc_lo, v0, 8
	s_wait_alu 0xfffd
	v_add_co_ci_u32_e64 v1, null, 0, v1, vcc_lo
	s_delay_alu instid0(VALU_DEP_2) | instskip(NEXT) | instid1(VALU_DEP_2)
	v_cndmask_b32_e64 v0, v0, v2, s1
	v_cndmask_b32_e64 v1, v1, v3, s1
.LBB183_25:                             ;   in Loop: Header=BB183_4 Depth=1
	s_wait_alu 0xfffe
	s_and_b32 vcc_lo, exec_lo, s18
	s_wait_alu 0xfffe
	s_cbranch_vccz .LBB183_27
; %bb.26:                               ;   in Loop: Header=BB183_4 Depth=1
	s_lshl_b64 s[18:19], s[40:41], 3
	s_wait_alu 0xfffe
	v_add_co_u32 v0, vcc_lo, v2, s18
	s_wait_alu 0xfffd
	v_add_co_ci_u32_e64 v1, null, s19, v3, vcc_lo
	s_delay_alu instid0(VALU_DEP_2) | instskip(SKIP_1) | instid1(VALU_DEP_2)
	v_add_co_u32 v4, vcc_lo, v0, s46
	s_wait_alu 0xfffd
	v_add_co_ci_u32_e64 v5, null, s47, v1, vcc_lo
	s_delay_alu instid0(VALU_DEP_2) | instskip(SKIP_1) | instid1(VALU_DEP_2)
	v_add_co_u32 v6, vcc_lo, v4, s46
	s_wait_alu 0xfffd
	v_add_co_ci_u32_e64 v7, null, s47, v5, vcc_lo
	s_clause 0x3
	flat_load_b64 v[8:9], v[2:3]
	flat_load_b64 v[10:11], v[0:1]
	;; [unrolled: 1-line block ×4, first 2 shown]
	v_dual_mov_b32 v0, v2 :: v_dual_mov_b32 v1, v3
	s_wait_loadcnt_dscnt 0x303
	ds_store_b64 v160, v[8:9]
	s_wait_loadcnt_dscnt 0x203
	ds_store_b64 v160, v[10:11] offset:2112
	s_wait_loadcnt_dscnt 0x103
	ds_store_b64 v160, v[4:5] offset:4224
	;; [unrolled: 2-line block ×3, first 2 shown]
.LBB183_27:                             ;   in Loop: Header=BB183_4 Depth=1
	s_wait_dscnt 0x0
	s_barrier_signal -1
	s_barrier_wait -1
	global_inv scope:SCOPE_SE
	s_and_saveexec_b32 s18, s6
	s_cbranch_execnz .LBB183_133
; %bb.28:                               ;   in Loop: Header=BB183_4 Depth=1
	s_wait_alu 0xfffe
	s_or_b32 exec_lo, exec_lo, s18
	s_and_saveexec_b32 s18, s7
	s_cbranch_execnz .LBB183_134
.LBB183_29:                             ;   in Loop: Header=BB183_4 Depth=1
	s_wait_alu 0xfffe
	s_or_b32 exec_lo, exec_lo, s18
	s_and_saveexec_b32 s18, s8
	s_cbranch_execnz .LBB183_135
.LBB183_30:                             ;   in Loop: Header=BB183_4 Depth=1
	s_wait_alu 0xfffe
	s_or_b32 exec_lo, exec_lo, s18
	s_and_saveexec_b32 s18, s9
	s_cbranch_execz .LBB183_32
.LBB183_31:                             ;   in Loop: Header=BB183_4 Depth=1
	ds_load_b64 v[2:3], v162 offset:528
	s_wait_dscnt 0x0
	ds_store_b64 v107, v[2:3] offset:24
.LBB183_32:                             ;   in Loop: Header=BB183_4 Depth=1
	s_wait_alu 0xfffe
	s_or_b32 exec_lo, exec_lo, s18
	s_wait_loadcnt_dscnt 0x0
	s_barrier_signal -1
	s_barrier_wait -1
	global_inv scope:SCOPE_SE
	ds_load_b64 v[10:11], v161
	ds_load_b128 v[2:5], v109
	ds_load_2addr_b64 v[6:9], v162 offset1:33
	ds_load_b128 v[14:17], v109 offset:16
	ds_load_b64 v[18:19], v162 offset:528
	s_wait_loadcnt_dscnt 0x0
	s_barrier_signal -1
	s_barrier_wait -1
	global_inv scope:SCOPE_SE
	v_mov_b32_e32 v70, 0
	v_mul_f32_e32 v20, v3, v11
	v_dual_mul_f32 v11, v2, v11 :: v_dual_mul_f32 v22, v15, v9
	v_mul_f32_e32 v9, v14, v9
	s_delay_alu instid0(VALU_DEP_3) | instskip(SKIP_1) | instid1(VALU_DEP_4)
	v_fma_f32 v2, v2, v10, -v20
	v_mul_f32_e32 v21, v5, v7
	v_fmac_f32_e32 v11, v3, v10
	s_delay_alu instid0(VALU_DEP_4) | instskip(SKIP_3) | instid1(VALU_DEP_1)
	v_fmac_f32_e32 v9, v15, v8
	v_fma_f32 v10, v14, v8, -v22
	v_dual_add_f32 v2, 0, v2 :: v_dual_mul_f32 v7, v4, v7
	v_fma_f32 v4, v4, v6, -v21
	v_dual_add_f32 v2, v2, v4 :: v_dual_fmac_f32 v7, v5, v6
	v_mul_f32_e32 v6, v16, v19
	v_add_f32_e32 v5, 0, v11
	s_delay_alu instid0(VALU_DEP_3) | instskip(NEXT) | instid1(VALU_DEP_3)
	v_dual_mul_f32 v3, v17, v19 :: v_dual_add_f32 v2, v2, v10
	v_fmac_f32_e32 v6, v17, v18
	s_delay_alu instid0(VALU_DEP_3) | instskip(NEXT) | instid1(VALU_DEP_3)
	v_add_f32_e32 v4, v5, v7
	v_fma_f32 v3, v16, v18, -v3
	s_delay_alu instid0(VALU_DEP_2) | instskip(NEXT) | instid1(VALU_DEP_1)
	v_dual_mov_b32 v69, 0 :: v_dual_add_f32 v4, v4, v9
	v_dual_add_f32 v2, v2, v3 :: v_dual_add_f32 v3, v4, v6
	ds_store_b64 v110, v[2:3]
	s_wait_loadcnt_dscnt 0x0
	s_barrier_signal -1
	s_barrier_wait -1
	global_inv scope:SCOPE_SE
	s_and_saveexec_b32 s18, s10
	s_cbranch_execz .LBB183_34
; %bb.33:                               ;   in Loop: Header=BB183_4 Depth=1
	ds_load_2addr_b64 v[2:5], v108 offset1:7
	ds_load_2addr_b64 v[6:9], v108 offset0:1 offset1:2
	ds_load_2addr_b64 v[14:17], v108 offset0:3 offset1:4
	;; [unrolled: 1-line block ×3, first 2 shown]
	s_wait_dscnt 0x2
	v_dual_add_f32 v2, v6, v2 :: v_dual_add_f32 v3, v7, v3
	s_delay_alu instid0(VALU_DEP_1) | instskip(SKIP_1) | instid1(VALU_DEP_1)
	v_dual_add_f32 v2, v8, v2 :: v_dual_add_f32 v3, v9, v3
	s_wait_dscnt 0x1
	v_dual_add_f32 v2, v2, v14 :: v_dual_add_f32 v3, v3, v15
	s_delay_alu instid0(VALU_DEP_1) | instskip(SKIP_1) | instid1(VALU_DEP_1)
	v_dual_add_f32 v2, v2, v16 :: v_dual_add_f32 v3, v3, v17
	s_wait_dscnt 0x0
	v_dual_add_f32 v2, v2, v18 :: v_dual_add_f32 v3, v3, v19
	s_delay_alu instid0(VALU_DEP_1) | instskip(NEXT) | instid1(VALU_DEP_1)
	v_dual_add_f32 v2, v2, v20 :: v_dual_add_f32 v3, v3, v21
	v_dual_add_f32 v69, v2, v4 :: v_dual_add_f32 v70, v3, v5
.LBB183_34:                             ;   in Loop: Header=BB183_4 Depth=1
	s_wait_alu 0xfffe
	s_or_b32 exec_lo, exec_lo, s18
	v_add_co_u32 v4, vcc_lo, v0, s48
	s_wait_alu 0xfffd
	v_add_co_ci_u32_e64 v5, null, s49, v1, vcc_lo
	s_mov_b32 s18, -1
	v_add_co_u32 v2, vcc_lo, 0x100, v4
	s_wait_alu 0xfffd
	v_add_co_ci_u32_e64 v3, null, 0, v5, vcc_lo
	s_and_b32 vcc_lo, exec_lo, s31
	s_wait_loadcnt 0x0
	s_barrier_signal -1
	s_barrier_wait -1
	global_inv scope:SCOPE_SE
                                        ; implicit-def: $vgpr0_vgpr1
	s_wait_alu 0xfffe
	s_cbranch_vccz .LBB183_46
; %bb.35:                               ;   in Loop: Header=BB183_4 Depth=1
	s_and_saveexec_b32 s18, s12
	s_wait_alu 0xfffe
	s_xor_b32 s18, exec_lo, s18
; %bb.36:                               ;   in Loop: Header=BB183_4 Depth=1
	v_mov_b32_e32 v58, v57
	ds_store_b64 v160, v[57:58]
; %bb.37:                               ;   in Loop: Header=BB183_4 Depth=1
	s_wait_alu 0xfffe
	s_or_saveexec_b32 s18, s18
	v_add_co_u32 v0, vcc_lo, v4, v65
	s_wait_alu 0xfffd
	v_add_co_ci_u32_e64 v1, null, v5, v66, vcc_lo
	s_lshl_b64 s[60:61], s[34:35], 3
	s_wait_alu 0xfffe
	v_add_co_u32 v0, vcc_lo, v0, s60
	s_wait_alu 0xfffd
	v_add_co_ci_u32_e64 v1, null, s61, v1, vcc_lo
	s_delay_alu instid0(VALU_DEP_2) | instskip(SKIP_1) | instid1(VALU_DEP_2)
	v_add_co_u32 v0, vcc_lo, v0, -8
	s_wait_alu 0xfffd
	v_add_co_ci_u32_e64 v1, null, -1, v1, vcc_lo
	s_delay_alu instid0(VALU_DEP_2) | instskip(NEXT) | instid1(VALU_DEP_2)
	v_cndmask_b32_e64 v0, v0, v2, s11
	v_cndmask_b32_e64 v1, v1, v3, s11
	s_xor_b32 exec_lo, exec_lo, s18
	s_cbranch_execnz .LBB183_145
; %bb.38:                               ;   in Loop: Header=BB183_4 Depth=1
	s_or_b32 exec_lo, exec_lo, s18
	s_and_saveexec_b32 s18, s13
	s_wait_alu 0xfffe
	s_xor_b32 s18, exec_lo, s18
	s_cbranch_execnz .LBB183_146
.LBB183_39:                             ;   in Loop: Header=BB183_4 Depth=1
	s_wait_alu 0xfffe
	s_and_not1_saveexec_b32 s18, s18
	s_cbranch_execnz .LBB183_147
.LBB183_40:                             ;   in Loop: Header=BB183_4 Depth=1
	s_wait_alu 0xfffe
	s_or_b32 exec_lo, exec_lo, s18
	s_and_saveexec_b32 s18, s14
	s_wait_alu 0xfffe
	s_xor_b32 s18, exec_lo, s18
	s_cbranch_execnz .LBB183_148
.LBB183_41:                             ;   in Loop: Header=BB183_4 Depth=1
	s_wait_alu 0xfffe
	s_and_not1_saveexec_b32 s18, s18
	s_cbranch_execnz .LBB183_149
.LBB183_42:                             ;   in Loop: Header=BB183_4 Depth=1
	s_wait_alu 0xfffe
	s_or_b32 exec_lo, exec_lo, s18
	s_and_saveexec_b32 s18, s15
	s_wait_alu 0xfffe
	s_xor_b32 s18, exec_lo, s18
	s_cbranch_execnz .LBB183_150
.LBB183_43:                             ;   in Loop: Header=BB183_4 Depth=1
	s_wait_alu 0xfffe
	s_and_not1_saveexec_b32 s18, s18
	s_cbranch_execz .LBB183_45
.LBB183_44:                             ;   in Loop: Header=BB183_4 Depth=1
	s_lshl_b64 s[60:61], s[42:43], 3
	s_wait_alu 0xfffe
	v_add_co_u32 v6, vcc_lo, v0, s60
	s_wait_alu 0xfffd
	v_add_co_ci_u32_e64 v7, null, s61, v1, vcc_lo
	flat_load_b64 v[6:7], v[6:7]
	s_wait_loadcnt_dscnt 0x0
	ds_store_b64 v160, v[6:7] offset:6336
.LBB183_45:                             ;   in Loop: Header=BB183_4 Depth=1
	s_wait_alu 0xfffe
	s_or_b32 exec_lo, exec_lo, s18
	v_add_co_u32 v0, vcc_lo, v0, v165
	s_wait_alu 0xfffd
	v_add_co_ci_u32_e64 v1, null, 0, v1, vcc_lo
	s_lshl_b64 s[18:19], s[44:45], 3
	s_wait_alu 0xfffe
	v_add_co_u32 v0, vcc_lo, v0, s18
	s_wait_alu 0xfffd
	v_add_co_ci_u32_e64 v1, null, s19, v1, vcc_lo
	s_mov_b32 s18, 0
	v_add_co_u32 v0, vcc_lo, 0x108, v0
	s_wait_alu 0xfffd
	v_add_co_ci_u32_e64 v1, null, 0, v1, vcc_lo
	s_delay_alu instid0(VALU_DEP_2) | instskip(NEXT) | instid1(VALU_DEP_2)
	v_cndmask_b32_e64 v0, v0, v2, s11
	v_cndmask_b32_e64 v1, v1, v3, s11
.LBB183_46:                             ;   in Loop: Header=BB183_4 Depth=1
	s_wait_alu 0xfffe
	s_and_b32 vcc_lo, exec_lo, s18
	s_wait_alu 0xfffe
	s_cbranch_vccz .LBB183_48
; %bb.47:                               ;   in Loop: Header=BB183_4 Depth=1
	s_lshl_b64 s[18:19], s[40:41], 3
	s_wait_alu 0xfffe
	v_add_co_u32 v0, vcc_lo, v4, s18
	s_wait_alu 0xfffd
	v_add_co_ci_u32_e64 v1, null, s19, v5, vcc_lo
	s_delay_alu instid0(VALU_DEP_2) | instskip(SKIP_1) | instid1(VALU_DEP_2)
	v_add_co_u32 v6, vcc_lo, v0, s46
	s_wait_alu 0xfffd
	v_add_co_ci_u32_e64 v7, null, s47, v1, vcc_lo
	s_delay_alu instid0(VALU_DEP_2) | instskip(SKIP_1) | instid1(VALU_DEP_2)
	v_add_co_u32 v8, vcc_lo, v6, s46
	s_wait_alu 0xfffd
	v_add_co_ci_u32_e64 v9, null, s47, v7, vcc_lo
	s_clause 0x3
	flat_load_b64 v[4:5], v[4:5] offset:256
	flat_load_b64 v[10:11], v[0:1] offset:256
	;; [unrolled: 1-line block ×4, first 2 shown]
	v_dual_mov_b32 v0, v2 :: v_dual_mov_b32 v1, v3
	s_wait_loadcnt_dscnt 0x303
	ds_store_b64 v160, v[4:5]
	s_wait_loadcnt_dscnt 0x203
	ds_store_b64 v160, v[10:11] offset:2112
	s_wait_loadcnt_dscnt 0x103
	ds_store_b64 v160, v[6:7] offset:4224
	;; [unrolled: 2-line block ×3, first 2 shown]
.LBB183_48:                             ;   in Loop: Header=BB183_4 Depth=1
	s_wait_loadcnt_dscnt 0x0
	s_barrier_signal -1
	s_barrier_wait -1
	global_inv scope:SCOPE_SE
	s_and_saveexec_b32 s18, s6
	s_cbranch_execnz .LBB183_136
; %bb.49:                               ;   in Loop: Header=BB183_4 Depth=1
	s_wait_alu 0xfffe
	s_or_b32 exec_lo, exec_lo, s18
	s_and_saveexec_b32 s18, s7
	s_cbranch_execnz .LBB183_137
.LBB183_50:                             ;   in Loop: Header=BB183_4 Depth=1
	s_wait_alu 0xfffe
	s_or_b32 exec_lo, exec_lo, s18
	s_and_saveexec_b32 s18, s8
	s_cbranch_execnz .LBB183_138
.LBB183_51:                             ;   in Loop: Header=BB183_4 Depth=1
	s_wait_alu 0xfffe
	s_or_b32 exec_lo, exec_lo, s18
	s_and_saveexec_b32 s18, s9
	s_cbranch_execz .LBB183_53
.LBB183_52:                             ;   in Loop: Header=BB183_4 Depth=1
	ds_load_b64 v[2:3], v162 offset:528
	s_wait_dscnt 0x0
	ds_store_b64 v107, v[2:3] offset:24
.LBB183_53:                             ;   in Loop: Header=BB183_4 Depth=1
	s_wait_alu 0xfffe
	s_or_b32 exec_lo, exec_lo, s18
	s_wait_loadcnt_dscnt 0x0
	s_barrier_signal -1
	s_barrier_wait -1
	global_inv scope:SCOPE_SE
	ds_load_b64 v[10:11], v161
	ds_load_b128 v[2:5], v109 offset:256
	ds_load_2addr_b64 v[6:9], v162 offset1:33
	ds_load_b128 v[14:17], v109 offset:272
	ds_load_b64 v[18:19], v162 offset:528
	s_wait_loadcnt_dscnt 0x0
	s_barrier_signal -1
	s_barrier_wait -1
	global_inv scope:SCOPE_SE
	v_mul_f32_e32 v20, v3, v11
	v_dual_mul_f32 v11, v2, v11 :: v_dual_mul_f32 v22, v15, v9
	v_mul_f32_e32 v9, v14, v9
	s_delay_alu instid0(VALU_DEP_3) | instskip(SKIP_1) | instid1(VALU_DEP_4)
	v_fma_f32 v2, v2, v10, -v20
	v_mul_f32_e32 v21, v5, v7
	v_fmac_f32_e32 v11, v3, v10
	s_delay_alu instid0(VALU_DEP_4) | instskip(SKIP_3) | instid1(VALU_DEP_1)
	v_fmac_f32_e32 v9, v15, v8
	v_fma_f32 v10, v14, v8, -v22
	v_dual_add_f32 v2, 0, v2 :: v_dual_mul_f32 v7, v4, v7
	v_fma_f32 v4, v4, v6, -v21
	v_dual_add_f32 v2, v2, v4 :: v_dual_fmac_f32 v7, v5, v6
	v_mul_f32_e32 v6, v16, v19
	v_add_f32_e32 v5, 0, v11
	s_delay_alu instid0(VALU_DEP_3) | instskip(NEXT) | instid1(VALU_DEP_3)
	v_dual_mul_f32 v3, v17, v19 :: v_dual_add_f32 v2, v2, v10
	v_fmac_f32_e32 v6, v17, v18
	s_delay_alu instid0(VALU_DEP_3) | instskip(NEXT) | instid1(VALU_DEP_3)
	v_add_f32_e32 v4, v5, v7
	v_fma_f32 v3, v16, v18, -v3
	s_delay_alu instid0(VALU_DEP_2) | instskip(NEXT) | instid1(VALU_DEP_1)
	v_add_f32_e32 v4, v4, v9
	v_dual_add_f32 v2, v2, v3 :: v_dual_add_f32 v3, v4, v6
	ds_store_b64 v110, v[2:3]
	s_wait_loadcnt_dscnt 0x0
	s_barrier_signal -1
	s_barrier_wait -1
	global_inv scope:SCOPE_SE
	s_and_saveexec_b32 s18, s16
	s_cbranch_execz .LBB183_55
; %bb.54:                               ;   in Loop: Header=BB183_4 Depth=1
	ds_load_2addr_b64 v[2:5], v108 offset1:7
	ds_load_2addr_b64 v[6:9], v108 offset0:1 offset1:2
	ds_load_2addr_b64 v[14:17], v108 offset0:3 offset1:4
	;; [unrolled: 1-line block ×3, first 2 shown]
	s_wait_dscnt 0x2
	v_dual_add_f32 v2, v6, v2 :: v_dual_add_f32 v3, v7, v3
	s_delay_alu instid0(VALU_DEP_1) | instskip(SKIP_1) | instid1(VALU_DEP_1)
	v_dual_add_f32 v2, v8, v2 :: v_dual_add_f32 v3, v9, v3
	s_wait_dscnt 0x1
	v_dual_add_f32 v2, v2, v14 :: v_dual_add_f32 v3, v3, v15
	s_delay_alu instid0(VALU_DEP_1) | instskip(SKIP_1) | instid1(VALU_DEP_1)
	v_dual_add_f32 v2, v2, v16 :: v_dual_add_f32 v3, v3, v17
	s_wait_dscnt 0x0
	v_dual_add_f32 v2, v2, v18 :: v_dual_add_f32 v3, v3, v19
	s_delay_alu instid0(VALU_DEP_1) | instskip(NEXT) | instid1(VALU_DEP_1)
	v_dual_add_f32 v2, v2, v20 :: v_dual_add_f32 v3, v3, v21
	v_dual_add_f32 v69, v2, v4 :: v_dual_add_f32 v70, v3, v5
.LBB183_55:                             ;   in Loop: Header=BB183_4 Depth=1
	s_wait_alu 0xfffe
	s_or_b32 exec_lo, exec_lo, s18
	v_add_co_u32 v2, vcc_lo, 0xffffff00, v0
	s_wait_alu 0xfffd
	v_add_co_ci_u32_e64 v3, null, -1, v1, vcc_lo
	s_and_b32 vcc_lo, exec_lo, s31
	s_mov_b32 s18, -1
	s_wait_loadcnt 0x0
	s_barrier_signal -1
	s_barrier_wait -1
	global_inv scope:SCOPE_SE
                                        ; implicit-def: $vgpr14_vgpr15
	s_wait_alu 0xfffe
	s_cbranch_vccz .LBB183_67
; %bb.56:                               ;   in Loop: Header=BB183_4 Depth=1
	s_and_saveexec_b32 s18, s12
	s_wait_alu 0xfffe
	s_xor_b32 s18, exec_lo, s18
; %bb.57:                               ;   in Loop: Header=BB183_4 Depth=1
	v_mov_b32_e32 v58, v57
	ds_store_b64 v160, v[57:58]
; %bb.58:                               ;   in Loop: Header=BB183_4 Depth=1
	s_wait_alu 0xfffe
	s_or_saveexec_b32 s18, s18
	v_add_co_u32 v4, vcc_lo, v0, v65
	s_wait_alu 0xfffd
	v_add_co_ci_u32_e64 v5, null, v1, v66, vcc_lo
	s_lshl_b64 s[60:61], s[34:35], 3
	s_wait_alu 0xfffe
	v_add_co_u32 v4, vcc_lo, v4, s60
	s_wait_alu 0xfffd
	v_add_co_ci_u32_e64 v5, null, s61, v5, vcc_lo
	s_delay_alu instid0(VALU_DEP_2) | instskip(SKIP_1) | instid1(VALU_DEP_2)
	v_add_co_u32 v4, vcc_lo, 0xfffffef8, v4
	s_wait_alu 0xfffd
	v_add_co_ci_u32_e64 v5, null, -1, v5, vcc_lo
	s_delay_alu instid0(VALU_DEP_2) | instskip(NEXT) | instid1(VALU_DEP_2)
	v_cndmask_b32_e64 v4, v4, v2, s1
	v_cndmask_b32_e64 v5, v5, v3, s1
	s_xor_b32 exec_lo, exec_lo, s18
	s_cbranch_execnz .LBB183_151
; %bb.59:                               ;   in Loop: Header=BB183_4 Depth=1
	s_or_b32 exec_lo, exec_lo, s18
	s_and_saveexec_b32 s18, s13
	s_wait_alu 0xfffe
	s_xor_b32 s18, exec_lo, s18
	s_cbranch_execnz .LBB183_152
.LBB183_60:                             ;   in Loop: Header=BB183_4 Depth=1
	s_wait_alu 0xfffe
	s_and_not1_saveexec_b32 s18, s18
	s_cbranch_execnz .LBB183_153
.LBB183_61:                             ;   in Loop: Header=BB183_4 Depth=1
	s_wait_alu 0xfffe
	s_or_b32 exec_lo, exec_lo, s18
	s_and_saveexec_b32 s18, s14
	s_wait_alu 0xfffe
	s_xor_b32 s18, exec_lo, s18
	s_cbranch_execnz .LBB183_154
.LBB183_62:                             ;   in Loop: Header=BB183_4 Depth=1
	s_wait_alu 0xfffe
	s_and_not1_saveexec_b32 s18, s18
	s_cbranch_execnz .LBB183_155
.LBB183_63:                             ;   in Loop: Header=BB183_4 Depth=1
	s_wait_alu 0xfffe
	s_or_b32 exec_lo, exec_lo, s18
	s_and_saveexec_b32 s18, s15
	s_wait_alu 0xfffe
	s_xor_b32 s18, exec_lo, s18
	s_cbranch_execnz .LBB183_156
.LBB183_64:                             ;   in Loop: Header=BB183_4 Depth=1
	s_wait_alu 0xfffe
	s_and_not1_saveexec_b32 s18, s18
	s_cbranch_execz .LBB183_66
.LBB183_65:                             ;   in Loop: Header=BB183_4 Depth=1
	s_lshl_b64 s[60:61], s[42:43], 3
	s_wait_alu 0xfffe
	v_add_co_u32 v6, vcc_lo, v4, s60
	s_wait_alu 0xfffd
	v_add_co_ci_u32_e64 v7, null, s61, v5, vcc_lo
	flat_load_b64 v[6:7], v[6:7]
	s_wait_loadcnt_dscnt 0x0
	ds_store_b64 v160, v[6:7] offset:6336
.LBB183_66:                             ;   in Loop: Header=BB183_4 Depth=1
	s_wait_alu 0xfffe
	s_or_b32 exec_lo, exec_lo, s18
	v_add_co_u32 v4, vcc_lo, v4, v165
	s_wait_alu 0xfffd
	v_add_co_ci_u32_e64 v5, null, 0, v5, vcc_lo
	s_lshl_b64 s[18:19], s[44:45], 3
	s_wait_alu 0xfffe
	v_add_co_u32 v4, vcc_lo, v4, s18
	s_wait_alu 0xfffd
	v_add_co_ci_u32_e64 v5, null, s19, v5, vcc_lo
	s_mov_b32 s18, 0
	v_add_co_u32 v4, vcc_lo, v4, 8
	s_wait_alu 0xfffd
	v_add_co_ci_u32_e64 v5, null, 0, v5, vcc_lo
	s_delay_alu instid0(VALU_DEP_2) | instskip(NEXT) | instid1(VALU_DEP_2)
	v_cndmask_b32_e64 v14, v4, v2, s1
	v_cndmask_b32_e64 v15, v5, v3, s1
.LBB183_67:                             ;   in Loop: Header=BB183_4 Depth=1
	s_wait_alu 0xfffe
	s_and_b32 vcc_lo, exec_lo, s18
	s_wait_alu 0xfffe
	s_cbranch_vccz .LBB183_69
; %bb.68:                               ;   in Loop: Header=BB183_4 Depth=1
	s_lshl_b64 s[18:19], s[40:41], 3
	v_dual_mov_b32 v15, v3 :: v_dual_mov_b32 v14, v2
	s_wait_alu 0xfffe
	v_add_co_u32 v4, vcc_lo, v0, s18
	s_wait_alu 0xfffd
	v_add_co_ci_u32_e64 v5, null, s19, v1, vcc_lo
	s_delay_alu instid0(VALU_DEP_2) | instskip(SKIP_1) | instid1(VALU_DEP_2)
	v_add_co_u32 v6, vcc_lo, v4, s46
	s_wait_alu 0xfffd
	v_add_co_ci_u32_e64 v7, null, s47, v5, vcc_lo
	s_delay_alu instid0(VALU_DEP_2) | instskip(SKIP_1) | instid1(VALU_DEP_2)
	v_add_co_u32 v8, vcc_lo, v6, s46
	s_wait_alu 0xfffd
	v_add_co_ci_u32_e64 v9, null, s47, v7, vcc_lo
	s_clause 0x3
	flat_load_b64 v[0:1], v[0:1] offset:-256
	flat_load_b64 v[4:5], v[4:5] offset:-256
	;; [unrolled: 1-line block ×4, first 2 shown]
	s_wait_loadcnt_dscnt 0x303
	ds_store_b64 v160, v[0:1]
	s_wait_loadcnt_dscnt 0x203
	ds_store_b64 v160, v[4:5] offset:2112
	s_wait_loadcnt_dscnt 0x103
	ds_store_b64 v160, v[6:7] offset:4224
	;; [unrolled: 2-line block ×3, first 2 shown]
.LBB183_69:                             ;   in Loop: Header=BB183_4 Depth=1
	v_add_nc_u32_e32 v0, v107, v112
	v_add_nc_u32_e32 v1, v109, v112
	s_wait_loadcnt_dscnt 0x0
	s_barrier_signal -1
	s_barrier_wait -1
	global_inv scope:SCOPE_SE
	ds_load_2addr_b64 v[20:23], v110 offset0:8 offset1:16
	ds_load_2addr_b64 v[24:27], v120 offset0:8 offset1:16
	ds_load_b64 v[28:29], v0
	ds_load_b64 v[30:31], v1
	ds_load_b64 v[32:33], v110 offset:192
	ds_load_b64 v[34:35], v120 offset:192
	ds_load_b128 v[8:11], v109 offset:256
	ds_load_b128 v[0:3], v109 offset:272
	ds_load_2addr_b64 v[4:7], v162 offset1:33
	ds_load_b64 v[18:19], v161
	ds_load_b64 v[16:17], v162 offset:528
	s_wait_loadcnt_dscnt 0x0
	s_barrier_signal -1
	s_barrier_wait -1
	global_inv scope:SCOPE_SE
	v_mul_f32_e32 v38, v27, v23
	v_mul_f32_e32 v37, v31, v29
	;; [unrolled: 1-line block ×4, first 2 shown]
	s_delay_alu instid0(VALU_DEP_3) | instskip(NEXT) | instid1(VALU_DEP_3)
	v_fma_f32 v30, v30, v28, -v37
	v_dual_fmac_f32 v29, v31, v28 :: v_dual_mul_f32 v28, v34, v33
	v_mul_f32_e32 v21, v24, v21
	s_delay_alu instid0(VALU_DEP_4) | instskip(NEXT) | instid1(VALU_DEP_3)
	v_fma_f32 v24, v24, v20, -v36
	v_fmac_f32_e32 v28, v35, v32
	s_delay_alu instid0(VALU_DEP_3) | instskip(SKIP_1) | instid1(VALU_DEP_2)
	v_dual_fmac_f32 v21, v25, v20 :: v_dual_add_f32 v20, 0, v30
	v_mul_f32_e32 v39, v35, v33
	v_dual_add_f32 v25, 0, v29 :: v_dual_add_f32 v20, v20, v24
	v_mul_f32_e32 v23, v26, v23
	v_fma_f32 v26, v26, v22, -v38
	s_delay_alu instid0(VALU_DEP_1) | instskip(NEXT) | instid1(VALU_DEP_3)
	v_add_f32_e32 v20, v20, v26
	v_fmac_f32_e32 v23, v27, v22
	v_fma_f32 v22, v34, v32, -v39
	s_delay_alu instid0(VALU_DEP_1) | instskip(NEXT) | instid1(VALU_DEP_1)
	v_dual_add_f32 v20, v20, v22 :: v_dual_add_f32 v21, v25, v21
	v_add_f32_e32 v21, v21, v23
	s_delay_alu instid0(VALU_DEP_1)
	v_add_f32_e32 v21, v21, v28
	ds_store_b64 v110, v[20:21]
	s_wait_loadcnt_dscnt 0x0
	s_barrier_signal -1
	s_barrier_wait -1
	global_inv scope:SCOPE_SE
	s_and_saveexec_b32 s18, s16
	s_cbranch_execz .LBB183_71
; %bb.70:                               ;   in Loop: Header=BB183_4 Depth=1
	ds_load_2addr_b64 v[20:23], v108 offset1:1
	ds_load_2addr_b64 v[24:27], v108 offset0:2 offset1:3
	ds_load_2addr_b64 v[28:31], v108 offset0:4 offset1:5
	s_wait_dscnt 0x2
	v_dual_add_f32 v20, v69, v20 :: v_dual_add_f32 v21, v70, v21
	s_delay_alu instid0(VALU_DEP_1) | instskip(SKIP_3) | instid1(VALU_DEP_1)
	v_dual_add_f32 v32, v20, v22 :: v_dual_add_f32 v33, v21, v23
	ds_load_2addr_b64 v[20:23], v108 offset0:6 offset1:7
	s_wait_dscnt 0x2
	v_dual_add_f32 v24, v32, v24 :: v_dual_add_f32 v25, v33, v25
	v_dual_add_f32 v24, v24, v26 :: v_dual_add_f32 v25, v25, v27
	s_wait_dscnt 0x1
	s_delay_alu instid0(VALU_DEP_1) | instskip(NEXT) | instid1(VALU_DEP_1)
	v_dual_add_f32 v24, v24, v28 :: v_dual_add_f32 v25, v25, v29
	v_dual_add_f32 v24, v24, v30 :: v_dual_add_f32 v25, v25, v31
	s_wait_dscnt 0x0
	s_delay_alu instid0(VALU_DEP_1) | instskip(NEXT) | instid1(VALU_DEP_1)
	v_dual_add_f32 v20, v24, v20 :: v_dual_add_f32 v21, v25, v21
	v_dual_add_f32 v69, v20, v22 :: v_dual_add_f32 v70, v21, v23
.LBB183_71:                             ;   in Loop: Header=BB183_4 Depth=1
	s_wait_alu 0xfffe
	s_or_b32 exec_lo, exec_lo, s18
	v_dual_mul_f32 v20, v9, v19 :: v_dual_mul_f32 v21, v11, v5
	v_mul_f32_e32 v19, v8, v19
	v_dual_mul_f32 v5, v10, v5 :: v_dual_mul_f32 v22, v1, v7
	s_delay_alu instid0(VALU_DEP_3) | instskip(NEXT) | instid1(VALU_DEP_4)
	v_fma_f32 v8, v8, v18, -v20
	v_fma_f32 v10, v10, v4, -v21
	v_mul_f32_e32 v7, v0, v7
	s_wait_loadcnt 0x0
	v_fma_f32 v0, v0, v6, -v22
	v_add_f32_e32 v8, 0, v8
	v_fmac_f32_e32 v5, v11, v4
	v_fmac_f32_e32 v7, v1, v6
	s_barrier_signal -1
	s_barrier_wait -1
	v_add_f32_e32 v8, v8, v10
	v_fmac_f32_e32 v19, v9, v18
	global_inv scope:SCOPE_SE
	v_dual_add_f32 v0, v8, v0 :: v_dual_mul_f32 v9, v3, v17
	v_dual_add_f32 v4, 0, v19 :: v_dual_mul_f32 v11, v2, v17
	s_delay_alu instid0(VALU_DEP_2) | instskip(NEXT) | instid1(VALU_DEP_2)
	v_fma_f32 v2, v2, v16, -v9
	v_add_f32_e32 v1, v4, v5
	s_delay_alu instid0(VALU_DEP_2) | instskip(NEXT) | instid1(VALU_DEP_2)
	v_dual_add_f32 v0, v0, v2 :: v_dual_fmac_f32 v11, v3, v16
	v_add_f32_e32 v1, v1, v7
	s_delay_alu instid0(VALU_DEP_1)
	v_add_f32_e32 v1, v1, v11
	ds_store_b64 v110, v[0:1]
	s_wait_loadcnt_dscnt 0x0
	s_barrier_signal -1
	s_barrier_wait -1
	global_inv scope:SCOPE_SE
	s_and_saveexec_b32 s18, s10
	s_cbranch_execz .LBB183_73
; %bb.72:                               ;   in Loop: Header=BB183_4 Depth=1
	ds_load_2addr_b64 v[0:3], v108 offset1:1
	ds_load_2addr_b64 v[4:7], v108 offset0:2 offset1:3
	ds_load_2addr_b64 v[8:11], v108 offset0:4 offset1:5
	s_wait_dscnt 0x2
	v_dual_add_f32 v0, v69, v0 :: v_dual_add_f32 v1, v70, v1
	s_delay_alu instid0(VALU_DEP_1) | instskip(SKIP_3) | instid1(VALU_DEP_1)
	v_dual_add_f32 v16, v0, v2 :: v_dual_add_f32 v17, v1, v3
	ds_load_2addr_b64 v[0:3], v108 offset0:6 offset1:7
	s_wait_dscnt 0x2
	v_dual_add_f32 v4, v16, v4 :: v_dual_add_f32 v5, v17, v5
	v_dual_add_f32 v4, v4, v6 :: v_dual_add_f32 v5, v5, v7
	s_wait_dscnt 0x1
	s_delay_alu instid0(VALU_DEP_1) | instskip(NEXT) | instid1(VALU_DEP_1)
	v_dual_add_f32 v4, v4, v8 :: v_dual_add_f32 v5, v5, v9
	v_dual_add_f32 v4, v4, v10 :: v_dual_add_f32 v5, v5, v11
	s_wait_dscnt 0x0
	s_delay_alu instid0(VALU_DEP_1) | instskip(NEXT) | instid1(VALU_DEP_1)
	v_dual_add_f32 v0, v4, v0 :: v_dual_add_f32 v1, v5, v1
	v_dual_add_f32 v69, v0, v2 :: v_dual_add_f32 v70, v1, v3
.LBB183_73:                             ;   in Loop: Header=BB183_4 Depth=1
	s_wait_alu 0xfffe
	s_or_b32 exec_lo, exec_lo, s18
	s_mul_u64 s[18:19], s[36:37], s[28:29]
	s_and_not1_b32 vcc_lo, exec_lo, s67
	s_wait_alu 0xfffe
	s_lshl_b64 s[18:19], s[18:19], 3
	s_wait_loadcnt 0x0
	s_wait_alu 0xfffe
	s_add_nc_u64 s[60:61], s[38:39], s[18:19]
	s_barrier_signal -1
	s_barrier_wait -1
	global_inv scope:SCOPE_SE
	s_cbranch_vccnz .LBB183_131
; %bb.74:                               ;   in Loop: Header=BB183_4 Depth=1
	v_add_co_u32 v167, vcc_lo, v12, s58
	s_wait_alu 0xfffd
	v_add_co_ci_u32_e64 v168, null, s59, v13, vcc_lo
	v_add_co_u32 v169, vcc_lo, v14, v124
	s_wait_alu 0xfffd
	v_add_co_ci_u32_e64 v170, null, v15, v125, vcc_lo
	;; [unrolled: 3-line block ×21, first 2 shown]
	v_mov_b32_e32 v71, v121
	s_mov_b32 s19, ttmp9
	s_mov_b32 s62, s71
	s_wait_alu 0xfffe
	s_cmp_eq_u32 s68, s19
	s_cselect_b32 s73, s65, 0
	s_and_saveexec_b32 s18, s0
	s_cbranch_execz .LBB183_79
.LBB183_75:                             ;   in Loop: Header=BB183_4 Depth=1
	s_wait_alu 0xfffe
	v_cmp_le_i32_e32 vcc_lo, s73, v56
	s_cmp_lg_u32 s73, 0
	s_cselect_b32 s63, -1, 0
	s_delay_alu instid0(SALU_CYCLE_1) | instskip(NEXT) | instid1(SALU_CYCLE_1)
	s_and_b32 s63, s63, vcc_lo
	s_and_saveexec_b32 s74, s63
	s_wait_alu 0xfffe
	s_xor_b32 s63, exec_lo, s74
; %bb.76:                               ;   in Loop: Header=BB183_4 Depth=1
	v_mov_b32_e32 v58, v57
	ds_store_b64 v113, v[57:58]
; %bb.77:                               ;   in Loop: Header=BB183_4 Depth=1
	s_and_not1_saveexec_b32 s63, s63
	s_cbranch_execz .LBB183_79
; %bb.78:                               ;   in Loop: Header=BB183_4 Depth=1
	s_ashr_i32 s63, s62, 31
	s_delay_alu instid0(SALU_CYCLE_1)
	s_lshl_b64 s[74:75], s[62:63], 3
	s_wait_alu 0xfffe
	v_add_co_u32 v0, vcc_lo, v167, s74
	s_wait_alu 0xfffd
	v_add_co_ci_u32_e64 v1, null, s75, v168, vcc_lo
	flat_load_b64 v[0:1], v[0:1]
	s_wait_loadcnt_dscnt 0x0
	ds_store_b64 v113, v[0:1]
.LBB183_79:                             ;   Parent Loop BB183_4 Depth=1
                                        ; =>  This Inner Loop Header: Depth=2
	s_wait_alu 0xfffe
	s_or_b32 exec_lo, exec_lo, s18
	s_cmp_eq_u32 s73, 0
	v_add_co_u32 v0, vcc_lo, v173, v122
	s_cselect_b32 s63, -1, 0
	s_cmp_lg_u32 s73, 0
	s_wait_alu 0xfffd
	v_add_co_ci_u32_e64 v1, null, v174, v123, vcc_lo
	s_cselect_b32 s18, -1, 0
	s_wait_loadcnt_dscnt 0x0
	s_wait_alu 0xfffe
	s_and_b32 vcc_lo, exec_lo, s18
	s_barrier_signal -1
	s_barrier_wait -1
	global_inv scope:SCOPE_SE
	s_wait_alu 0xfffe
	s_cbranch_vccz .LBB183_87
; %bb.80:                               ;   in Loop: Header=BB183_79 Depth=2
	v_mov_b32_e32 v73, 0
	v_dual_mov_b32 v74, 0 :: v_dual_mov_b32 v75, 0
	v_mov_b32_e32 v76, 0
	s_mov_b32 s74, exec_lo
	v_cmpx_gt_i32_e64 s73, v111
	s_cbranch_execz .LBB183_82
; %bb.81:                               ;   in Loop: Header=BB183_79 Depth=2
	flat_load_b64 v[75:76], v[0:1]
.LBB183_82:                             ;   in Loop: Header=BB183_79 Depth=2
	s_wait_alu 0xfffe
	s_or_b32 exec_lo, exec_lo, s74
	v_or_b32_e32 v2, 1, v111
	s_mov_b32 s74, exec_lo
	s_delay_alu instid0(VALU_DEP_1)
	v_cmpx_gt_i32_e64 s73, v2
	s_cbranch_execz .LBB183_84
; %bb.83:                               ;   in Loop: Header=BB183_79 Depth=2
	v_add_co_u32 v2, vcc_lo, v171, v122
	s_wait_alu 0xfffd
	v_add_co_ci_u32_e64 v3, null, v172, v123, vcc_lo
	flat_load_b64 v[73:74], v[2:3]
.LBB183_84:                             ;   in Loop: Header=BB183_79 Depth=2
	s_wait_alu 0xfffe
	s_or_b32 exec_lo, exec_lo, s74
	v_mov_b32_e32 v77, 0
	v_or_b32_e32 v2, 2, v111
	v_mov_b32_e32 v78, 0
	s_mov_b32 s74, exec_lo
	s_delay_alu instid0(VALU_DEP_2)
	v_cmpx_gt_i32_e64 s73, v2
	s_cbranch_execz .LBB183_86
; %bb.85:                               ;   in Loop: Header=BB183_79 Depth=2
	v_add_co_u32 v2, vcc_lo, v175, v122
	s_wait_alu 0xfffd
	v_add_co_ci_u32_e64 v3, null, v176, v123, vcc_lo
	flat_load_b64 v[77:78], v[2:3]
.LBB183_86:                             ;   in Loop: Header=BB183_79 Depth=2
	s_wait_alu 0xfffe
	s_or_b32 exec_lo, exec_lo, s74
	v_or_b32_e32 v2, 3, v111
	s_delay_alu instid0(VALU_DEP_1)
	v_cmp_gt_i32_e64 s74, s73, v2
	s_branch .LBB183_89
.LBB183_87:                             ;   in Loop: Header=BB183_79 Depth=2
	s_mov_b32 s74, 0
                                        ; implicit-def: $vgpr77_vgpr78
                                        ; implicit-def: $vgpr73_vgpr74
                                        ; implicit-def: $vgpr75_vgpr76
	s_cbranch_execz .LBB183_89
; %bb.88:                               ;   in Loop: Header=BB183_79 Depth=2
	v_add_co_u32 v2, vcc_lo, v171, v122
	s_wait_alu 0xfffd
	v_add_co_ci_u32_e64 v3, null, v172, v123, vcc_lo
	v_add_co_u32 v4, vcc_lo, v169, v122
	s_wait_alu 0xfffd
	v_add_co_ci_u32_e64 v5, null, v170, v123, vcc_lo
	s_wait_loadcnt_dscnt 0x0
	flat_load_b64 v[75:76], v[0:1]
	flat_load_b64 v[73:74], v[2:3]
	;; [unrolled: 1-line block ×3, first 2 shown]
	s_wait_alu 0xfffe
	s_or_b32 s74, s74, exec_lo
.LBB183_89:                             ;   in Loop: Header=BB183_79 Depth=2
	v_mov_b32_e32 v79, 0
	v_mov_b32_e32 v80, 0
	s_wait_alu 0xfffe
	s_and_saveexec_b32 s75, s74
	s_cbranch_execz .LBB183_91
; %bb.90:                               ;   in Loop: Header=BB183_79 Depth=2
	v_add_co_u32 v0, vcc_lo, v177, v122
	s_wait_alu 0xfffd
	v_add_co_ci_u32_e64 v1, null, v178, v123, vcc_lo
	flat_load_b64 v[79:80], v[0:1]
.LBB183_91:                             ;   in Loop: Header=BB183_79 Depth=2
	s_wait_alu 0xfffe
	s_or_b32 exec_lo, exec_lo, s75
	ds_load_b64 v[4:5], v106
	ds_load_b128 v[0:3], v114
	v_cndmask_b32_e64 v40, 0, 1, s18
	s_wait_loadcnt_dscnt 0x1
	v_mul_f32_e32 v9, v5, v75
	v_mul_f32_e32 v7, v5, v74
	;; [unrolled: 1-line block ×4, first 2 shown]
	v_dual_mul_f32 v12, v5, v78 :: v_dual_mul_f32 v15, v4, v80
	v_mul_f32_e32 v13, v5, v77
	v_mul_f32_e32 v14, v5, v80
	v_fmac_f32_e32 v9, v4, v76
	v_fma_f32 v10, v4, v73, -v7
	v_fmac_f32_e32 v11, v4, v74
	v_fma_f32 v8, v4, v75, -v6
	v_fma_f32 v12, v4, v77, -v12
	v_fmac_f32_e32 v13, v4, v78
	v_fma_f32 v14, v4, v79, -v14
	v_fmac_f32_e32 v15, v5, v79
	ds_load_b128 v[4:7], v114 offset:16
	ds_store_2addr_b64 v115, v[8:9], v[10:11] offset1:67
	ds_store_2addr_b64 v115, v[12:13], v[14:15] offset0:134 offset1:201
	s_wait_dscnt 0x0
	s_barrier_signal -1
	s_barrier_wait -1
	global_inv scope:SCOPE_SE
	ds_load_2addr_b64 v[20:23], v116 offset1:1
	ds_load_2addr_b64 v[16:19], v116 offset0:2 offset1:3
	v_add_co_u32 v8, vcc_lo, v183, v122
	s_wait_alu 0xfffd
	v_add_co_ci_u32_e64 v9, null, v184, v123, vcc_lo
	s_and_not1_b32 vcc_lo, exec_lo, s18
	s_wait_loadcnt_dscnt 0x0
	s_barrier_signal -1
	s_barrier_wait -1
	global_inv scope:SCOPE_SE
	s_wait_alu 0xfffe
	s_cbranch_vccnz .LBB183_99
; %bb.92:                               ;   in Loop: Header=BB183_79 Depth=2
	v_dual_mov_b32 v81, 0 :: v_dual_add_nc_u32 v10, 16, v111
	v_dual_mov_b32 v82, 0 :: v_dual_mov_b32 v83, 0
	v_mov_b32_e32 v84, 0
	s_mov_b32 s18, exec_lo
	s_delay_alu instid0(VALU_DEP_3)
	v_cmpx_gt_i32_e64 s73, v10
	s_cbranch_execz .LBB183_94
; %bb.93:                               ;   in Loop: Header=BB183_79 Depth=2
	flat_load_b64 v[83:84], v[8:9]
.LBB183_94:                             ;   in Loop: Header=BB183_79 Depth=2
	s_wait_alu 0xfffe
	s_or_b32 exec_lo, exec_lo, s18
	v_add_nc_u32_e32 v10, 17, v111
	s_mov_b32 s18, exec_lo
	s_delay_alu instid0(VALU_DEP_1)
	v_cmpx_gt_i32_e64 s73, v10
	s_cbranch_execz .LBB183_96
; %bb.95:                               ;   in Loop: Header=BB183_79 Depth=2
	v_add_co_u32 v10, vcc_lo, v181, v122
	s_wait_alu 0xfffd
	v_add_co_ci_u32_e64 v11, null, v182, v123, vcc_lo
	flat_load_b64 v[81:82], v[10:11]
.LBB183_96:                             ;   in Loop: Header=BB183_79 Depth=2
	s_wait_alu 0xfffe
	s_or_b32 exec_lo, exec_lo, s18
	v_dual_mov_b32 v85, 0 :: v_dual_add_nc_u32 v10, 18, v111
	v_mov_b32_e32 v86, 0
	s_mov_b32 s18, exec_lo
	s_delay_alu instid0(VALU_DEP_2)
	v_cmpx_gt_i32_e64 s73, v10
	s_cbranch_execz .LBB183_98
; %bb.97:                               ;   in Loop: Header=BB183_79 Depth=2
	v_add_co_u32 v10, vcc_lo, v185, v122
	s_wait_alu 0xfffd
	v_add_co_ci_u32_e64 v11, null, v186, v123, vcc_lo
	flat_load_b64 v[85:86], v[10:11]
.LBB183_98:                             ;   in Loop: Header=BB183_79 Depth=2
	s_wait_alu 0xfffe
	s_or_b32 exec_lo, exec_lo, s18
	v_add_nc_u32_e32 v10, 19, v111
	s_delay_alu instid0(VALU_DEP_1)
	v_cmp_gt_i32_e64 s18, s73, v10
	s_branch .LBB183_101
.LBB183_99:                             ;   in Loop: Header=BB183_79 Depth=2
	s_mov_b32 s18, 0
                                        ; implicit-def: $vgpr85_vgpr86
                                        ; implicit-def: $vgpr81_vgpr82
                                        ; implicit-def: $vgpr83_vgpr84
	s_cbranch_execz .LBB183_101
; %bb.100:                              ;   in Loop: Header=BB183_79 Depth=2
	v_add_co_u32 v10, vcc_lo, v181, v122
	s_wait_alu 0xfffd
	v_add_co_ci_u32_e64 v11, null, v182, v123, vcc_lo
	v_add_co_u32 v12, vcc_lo, v179, v122
	s_wait_alu 0xfffd
	v_add_co_ci_u32_e64 v13, null, v180, v123, vcc_lo
	s_wait_loadcnt_dscnt 0x0
	flat_load_b64 v[83:84], v[8:9]
	flat_load_b64 v[81:82], v[10:11]
	;; [unrolled: 1-line block ×3, first 2 shown]
	s_wait_alu 0xfffe
	s_or_b32 s18, s18, exec_lo
.LBB183_101:                            ;   in Loop: Header=BB183_79 Depth=2
	v_mov_b32_e32 v87, 0
	v_mov_b32_e32 v88, 0
	s_wait_alu 0xfffe
	s_and_saveexec_b32 s74, s18
	s_cbranch_execz .LBB183_103
; %bb.102:                              ;   in Loop: Header=BB183_79 Depth=2
	v_add_co_u32 v8, vcc_lo, v187, v122
	s_wait_alu 0xfffd
	v_add_co_ci_u32_e64 v9, null, v188, v123, vcc_lo
	flat_load_b64 v[87:88], v[8:9]
.LBB183_103:                            ;   in Loop: Header=BB183_79 Depth=2
	s_wait_alu 0xfffe
	s_or_b32 exec_lo, exec_lo, s74
	ds_load_b64 v[12:13], v106
	ds_load_b128 v[8:11], v114 offset:128
	v_cmp_ne_u32_e32 vcc_lo, 1, v40
	s_and_b32 vcc_lo, exec_lo, vcc_lo
	s_wait_loadcnt_dscnt 0x1
	v_mul_f32_e32 v25, v13, v83
	v_mul_f32_e32 v15, v13, v82
	;; [unrolled: 1-line block ×4, first 2 shown]
	v_dual_mul_f32 v28, v13, v86 :: v_dual_mul_f32 v31, v12, v88
	v_mul_f32_e32 v29, v13, v85
	v_mul_f32_e32 v30, v13, v88
	v_fmac_f32_e32 v25, v12, v84
	v_fma_f32 v26, v12, v81, -v15
	v_fmac_f32_e32 v27, v12, v82
	v_fma_f32 v24, v12, v83, -v14
	v_fma_f32 v28, v12, v85, -v28
	v_fmac_f32_e32 v29, v12, v86
	v_fma_f32 v30, v12, v87, -v30
	v_fmac_f32_e32 v31, v13, v87
	ds_load_b128 v[12:15], v114 offset:144
	ds_store_2addr_b64 v115, v[24:25], v[26:27] offset1:67
	ds_store_2addr_b64 v115, v[28:29], v[30:31] offset0:134 offset1:201
	s_wait_dscnt 0x0
	s_barrier_signal -1
	s_barrier_wait -1
	global_inv scope:SCOPE_SE
	ds_load_2addr_b64 v[36:39], v116 offset1:1
	ds_load_2addr_b64 v[32:35], v116 offset0:2 offset1:3
	v_add_co_u32 v24, s18, v193, v122
	s_wait_alu 0xf1ff
	v_add_co_ci_u32_e64 v25, null, v194, v123, s18
	s_wait_loadcnt_dscnt 0x0
	s_barrier_signal -1
	s_barrier_wait -1
	global_inv scope:SCOPE_SE
	s_wait_alu 0xfffe
	s_cbranch_vccnz .LBB183_111
; %bb.104:                              ;   in Loop: Header=BB183_79 Depth=2
	v_dual_mov_b32 v89, 0 :: v_dual_add_nc_u32 v26, 32, v111
	v_dual_mov_b32 v90, 0 :: v_dual_mov_b32 v91, 0
	v_mov_b32_e32 v92, 0
	s_mov_b32 s18, exec_lo
	s_delay_alu instid0(VALU_DEP_3)
	v_cmpx_gt_i32_e64 s73, v26
	s_cbranch_execz .LBB183_106
; %bb.105:                              ;   in Loop: Header=BB183_79 Depth=2
	flat_load_b64 v[91:92], v[24:25]
.LBB183_106:                            ;   in Loop: Header=BB183_79 Depth=2
	s_wait_alu 0xfffe
	s_or_b32 exec_lo, exec_lo, s18
	v_add_nc_u32_e32 v26, 33, v111
	s_mov_b32 s18, exec_lo
	s_delay_alu instid0(VALU_DEP_1)
	v_cmpx_gt_i32_e64 s73, v26
	s_cbranch_execz .LBB183_108
; %bb.107:                              ;   in Loop: Header=BB183_79 Depth=2
	v_add_co_u32 v26, vcc_lo, v191, v122
	s_wait_alu 0xfffd
	v_add_co_ci_u32_e64 v27, null, v192, v123, vcc_lo
	flat_load_b64 v[89:90], v[26:27]
.LBB183_108:                            ;   in Loop: Header=BB183_79 Depth=2
	s_wait_alu 0xfffe
	s_or_b32 exec_lo, exec_lo, s18
	v_dual_mov_b32 v93, 0 :: v_dual_add_nc_u32 v26, 34, v111
	v_mov_b32_e32 v94, 0
	s_mov_b32 s18, exec_lo
	s_delay_alu instid0(VALU_DEP_2)
	v_cmpx_gt_i32_e64 s73, v26
	s_cbranch_execz .LBB183_110
; %bb.109:                              ;   in Loop: Header=BB183_79 Depth=2
	v_add_co_u32 v26, vcc_lo, v195, v122
	s_wait_alu 0xfffd
	v_add_co_ci_u32_e64 v27, null, v196, v123, vcc_lo
	flat_load_b64 v[93:94], v[26:27]
.LBB183_110:                            ;   in Loop: Header=BB183_79 Depth=2
	s_wait_alu 0xfffe
	s_or_b32 exec_lo, exec_lo, s18
	v_add_nc_u32_e32 v26, 35, v111
	s_delay_alu instid0(VALU_DEP_1)
	v_cmp_gt_i32_e64 s18, s73, v26
	s_branch .LBB183_113
.LBB183_111:                            ;   in Loop: Header=BB183_79 Depth=2
	s_mov_b32 s18, 0
                                        ; implicit-def: $vgpr93_vgpr94
                                        ; implicit-def: $vgpr89_vgpr90
                                        ; implicit-def: $vgpr91_vgpr92
	s_cbranch_execz .LBB183_113
; %bb.112:                              ;   in Loop: Header=BB183_79 Depth=2
	v_add_co_u32 v26, vcc_lo, v191, v122
	s_wait_alu 0xfffd
	v_add_co_ci_u32_e64 v27, null, v192, v123, vcc_lo
	v_add_co_u32 v28, vcc_lo, v189, v122
	s_wait_alu 0xfffd
	v_add_co_ci_u32_e64 v29, null, v190, v123, vcc_lo
	s_wait_loadcnt_dscnt 0x0
	flat_load_b64 v[91:92], v[24:25]
	flat_load_b64 v[89:90], v[26:27]
	;; [unrolled: 1-line block ×3, first 2 shown]
	s_wait_alu 0xfffe
	s_or_b32 s18, s18, exec_lo
.LBB183_113:                            ;   in Loop: Header=BB183_79 Depth=2
	v_mov_b32_e32 v95, 0
	v_mov_b32_e32 v96, 0
	s_wait_alu 0xfffe
	s_and_saveexec_b32 s74, s18
	s_cbranch_execz .LBB183_115
; %bb.114:                              ;   in Loop: Header=BB183_79 Depth=2
	v_add_co_u32 v24, vcc_lo, v197, v122
	s_wait_alu 0xfffd
	v_add_co_ci_u32_e64 v25, null, v198, v123, vcc_lo
	flat_load_b64 v[95:96], v[24:25]
.LBB183_115:                            ;   in Loop: Header=BB183_79 Depth=2
	s_wait_alu 0xfffe
	s_or_b32 exec_lo, exec_lo, s74
	ds_load_b64 v[28:29], v106
	ds_load_b128 v[24:27], v114 offset:256
	v_cmp_ne_u32_e32 vcc_lo, 1, v40
	v_add_co_u32 v40, s18, v203, v122
	s_and_b32 vcc_lo, exec_lo, vcc_lo
	s_wait_loadcnt_dscnt 0x1
	v_mul_f32_e32 v30, v29, v92
	v_mul_f32_e32 v42, v29, v91
	v_dual_mul_f32 v31, v29, v90 :: v_dual_mul_f32 v48, v28, v96
	v_mul_f32_e32 v44, v29, v89
	s_delay_alu instid0(VALU_DEP_3) | instskip(SKIP_1) | instid1(VALU_DEP_3)
	v_dual_mul_f32 v45, v29, v94 :: v_dual_fmac_f32 v42, v28, v92
	v_mul_f32_e32 v46, v29, v93
	v_dual_mul_f32 v47, v29, v96 :: v_dual_fmac_f32 v44, v28, v90
	v_fma_f32 v41, v28, v91, -v30
	v_fma_f32 v43, v28, v89, -v31
	;; [unrolled: 1-line block ×3, first 2 shown]
	v_fmac_f32_e32 v46, v28, v94
	v_fma_f32 v47, v28, v95, -v47
	v_fmac_f32_e32 v48, v29, v95
	ds_load_b128 v[28:31], v114 offset:272
	ds_store_2addr_b64 v115, v[41:42], v[43:44] offset1:67
	ds_store_2addr_b64 v115, v[45:46], v[47:48] offset0:134 offset1:201
	s_wait_dscnt 0x0
	s_barrier_signal -1
	s_barrier_wait -1
	global_inv scope:SCOPE_SE
	ds_load_2addr_b64 v[52:55], v116 offset1:1
	ds_load_2addr_b64 v[48:51], v116 offset0:2 offset1:3
	s_wait_alu 0xf1ff
	v_add_co_ci_u32_e64 v41, null, v204, v123, s18
	s_wait_loadcnt_dscnt 0x0
	s_barrier_signal -1
	s_barrier_wait -1
	global_inv scope:SCOPE_SE
	s_wait_alu 0xfffe
	s_cbranch_vccnz .LBB183_123
; %bb.116:                              ;   in Loop: Header=BB183_79 Depth=2
	v_dual_mov_b32 v97, 0 :: v_dual_add_nc_u32 v42, 48, v111
	v_dual_mov_b32 v98, 0 :: v_dual_mov_b32 v99, 0
	v_mov_b32_e32 v100, 0
	s_mov_b32 s18, exec_lo
	s_delay_alu instid0(VALU_DEP_3)
	v_cmpx_gt_i32_e64 s73, v42
	s_cbranch_execz .LBB183_118
; %bb.117:                              ;   in Loop: Header=BB183_79 Depth=2
	flat_load_b64 v[99:100], v[40:41]
.LBB183_118:                            ;   in Loop: Header=BB183_79 Depth=2
	s_wait_alu 0xfffe
	s_or_b32 exec_lo, exec_lo, s18
	v_add_nc_u32_e32 v42, 49, v111
	s_mov_b32 s18, exec_lo
	s_delay_alu instid0(VALU_DEP_1)
	v_cmpx_gt_i32_e64 s73, v42
	s_cbranch_execz .LBB183_120
; %bb.119:                              ;   in Loop: Header=BB183_79 Depth=2
	v_add_co_u32 v42, vcc_lo, v201, v122
	s_wait_alu 0xfffd
	v_add_co_ci_u32_e64 v43, null, v202, v123, vcc_lo
	flat_load_b64 v[97:98], v[42:43]
.LBB183_120:                            ;   in Loop: Header=BB183_79 Depth=2
	s_wait_alu 0xfffe
	s_or_b32 exec_lo, exec_lo, s18
	v_dual_mov_b32 v101, 0 :: v_dual_add_nc_u32 v42, 50, v111
	v_mov_b32_e32 v102, 0
	s_mov_b32 s18, exec_lo
	s_delay_alu instid0(VALU_DEP_2)
	v_cmpx_gt_i32_e64 s73, v42
	s_cbranch_execz .LBB183_122
; %bb.121:                              ;   in Loop: Header=BB183_79 Depth=2
	v_add_co_u32 v42, vcc_lo, v205, v122
	s_wait_alu 0xfffd
	v_add_co_ci_u32_e64 v43, null, v206, v123, vcc_lo
	flat_load_b64 v[101:102], v[42:43]
.LBB183_122:                            ;   in Loop: Header=BB183_79 Depth=2
	s_wait_alu 0xfffe
	s_or_b32 exec_lo, exec_lo, s18
	v_add_nc_u32_e32 v42, 51, v111
	s_delay_alu instid0(VALU_DEP_1)
	v_cmp_gt_i32_e64 s18, s73, v42
	s_branch .LBB183_125
.LBB183_123:                            ;   in Loop: Header=BB183_79 Depth=2
	s_mov_b32 s18, 0
                                        ; implicit-def: $vgpr101_vgpr102
                                        ; implicit-def: $vgpr97_vgpr98
                                        ; implicit-def: $vgpr99_vgpr100
	s_cbranch_execz .LBB183_125
; %bb.124:                              ;   in Loop: Header=BB183_79 Depth=2
	v_add_co_u32 v42, vcc_lo, v201, v122
	s_wait_alu 0xfffd
	v_add_co_ci_u32_e64 v43, null, v202, v123, vcc_lo
	v_add_co_u32 v44, vcc_lo, v199, v122
	s_wait_alu 0xfffd
	v_add_co_ci_u32_e64 v45, null, v200, v123, vcc_lo
	s_wait_loadcnt_dscnt 0x0
	flat_load_b64 v[99:100], v[40:41]
	flat_load_b64 v[97:98], v[42:43]
	;; [unrolled: 1-line block ×3, first 2 shown]
	s_wait_alu 0xfffe
	s_or_b32 s18, s18, exec_lo
.LBB183_125:                            ;   in Loop: Header=BB183_79 Depth=2
	v_mov_b32_e32 v103, 0
	v_mov_b32_e32 v104, 0
	s_wait_alu 0xfffe
	s_and_saveexec_b32 s74, s18
	s_cbranch_execz .LBB183_127
; %bb.126:                              ;   in Loop: Header=BB183_79 Depth=2
	v_add_co_u32 v40, vcc_lo, v207, v122
	s_wait_alu 0xfffd
	v_add_co_ci_u32_e64 v41, null, v208, v123, vcc_lo
	flat_load_b64 v[103:104], v[40:41]
.LBB183_127:                            ;   in Loop: Header=BB183_79 Depth=2
	s_wait_alu 0xfffe
	s_or_b32 exec_lo, exec_lo, s74
	ds_load_b64 v[44:45], v106
	ds_load_b128 v[40:43], v114 offset:384
	v_cmp_gt_i32_e32 vcc_lo, s73, v56
	v_add_f32_e32 v53, 0, v53
	v_add_f32_e32 v21, 0, v21
	;; [unrolled: 1-line block ×3, first 2 shown]
	s_or_b32 s18, s63, vcc_lo
	s_wait_alu 0xfffe
	s_and_b32 s63, s17, s18
	v_add_f32_e32 v21, v21, v23
	v_dual_add_f32 v37, v37, v39 :: v_dual_add_f32 v52, 0, v52
	s_delay_alu instid0(VALU_DEP_2) | instskip(NEXT) | instid1(VALU_DEP_2)
	v_dual_add_f32 v39, v21, v17 :: v_dual_add_f32 v20, 0, v20
	v_dual_add_f32 v33, v37, v33 :: v_dual_add_f32 v36, 0, v36
	s_wait_loadcnt_dscnt 0x1
	v_mul_f32_e32 v46, v45, v100
	v_mul_f32_e32 v72, v45, v104
	v_dual_mul_f32 v47, v45, v98 :: v_dual_mul_f32 v216, v44, v104
	v_mul_f32_e32 v212, v45, v97
	v_mul_f32_e32 v58, v45, v102
	s_delay_alu instid0(VALU_DEP_4)
	v_fma_f32 v215, v44, v103, -v72
	v_add_f32_e32 v72, v53, v55
	v_mul_f32_e32 v210, v45, v99
	v_fmac_f32_e32 v212, v44, v98
	v_fmac_f32_e32 v216, v45, v103
	v_fma_f32 v209, v44, v99, -v46
	v_add_f32_e32 v23, v72, v49
	v_mul_f32_e32 v214, v45, v101
	v_fmac_f32_e32 v210, v44, v100
	v_fma_f32 v211, v44, v97, -v47
	v_fma_f32 v213, v44, v101, -v58
	s_delay_alu instid0(VALU_DEP_4)
	v_dual_add_f32 v17, v23, v51 :: v_dual_fmac_f32 v214, v44, v102
	ds_load_b128 v[44:47], v114 offset:400
	ds_store_2addr_b64 v115, v[209:210], v[211:212] offset1:67
	ds_store_2addr_b64 v115, v[213:214], v[215:216] offset0:134 offset1:201
	s_wait_dscnt 0x0
	s_barrier_signal -1
	s_barrier_wait -1
	global_inv scope:SCOPE_SE
	ds_load_2addr_b64 v[209:212], v116 offset1:1
	v_add_f32_e32 v58, v52, v54
	ds_load_2addr_b64 v[52:55], v116 offset0:2 offset1:3
	v_dual_add_f32 v21, v33, v35 :: v_dual_add_f32 v36, v36, v38
	v_dual_add_f32 v19, v39, v19 :: v_dual_add_f32 v20, v20, v22
	v_add_f32_e32 v22, v58, v48
	s_wait_loadcnt_dscnt 0x0
	s_delay_alu instid0(VALU_DEP_3)
	v_add_f32_e32 v32, v36, v32
	s_barrier_signal -1
	v_add_f32_e32 v38, v20, v16
	v_add_f32_e32 v16, v22, v50
	s_barrier_wait -1
	v_add_f32_e32 v20, v32, v34
	global_inv scope:SCOPE_SE
	v_add_f32_e32 v18, v38, v18
	v_dual_add_f32 v36, 0, v209 :: v_dual_add_f32 v37, 0, v210
	s_delay_alu instid0(VALU_DEP_1) | instskip(NEXT) | instid1(VALU_DEP_2)
	v_add_f32_e32 v22, v36, v211
	v_add_f32_e32 v36, v37, v212
	s_delay_alu instid0(VALU_DEP_1) | instskip(NEXT) | instid1(VALU_DEP_1)
	v_dual_add_f32 v22, v22, v52 :: v_dual_add_f32 v23, v36, v53
	v_dual_add_f32 v22, v22, v54 :: v_dual_add_f32 v23, v23, v55
	ds_store_2addr_b64 v166, v[18:19], v[20:21] offset1:16
	ds_store_2addr_b64 v166, v[16:17], v[22:23] offset0:32 offset1:48
	s_wait_loadcnt_dscnt 0x0
	s_barrier_signal -1
	s_barrier_wait -1
	global_inv scope:SCOPE_SE
	s_and_saveexec_b32 s18, s63
	s_cbranch_execz .LBB183_129
; %bb.128:                              ;   in Loop: Header=BB183_79 Depth=2
	ds_load_b64 v[36:37], v117
	ds_load_2addr_b64 v[16:19], v117 offset0:1 offset1:2
	ds_load_2addr_b64 v[20:23], v117 offset0:3 offset1:4
	;; [unrolled: 1-line block ×3, first 2 shown]
	v_ashrrev_i32_e32 v72, 31, v71
	s_wait_dscnt 0x2
	v_dual_add_f32 v16, v16, v36 :: v_dual_add_f32 v17, v17, v37
	s_delay_alu instid0(VALU_DEP_1) | instskip(SKIP_3) | instid1(VALU_DEP_1)
	v_dual_add_f32 v36, v18, v16 :: v_dual_add_f32 v37, v19, v17
	ds_load_2addr_b64 v[16:19], v117 offset0:7 offset1:8
	s_wait_dscnt 0x2
	v_dual_add_f32 v20, v36, v20 :: v_dual_add_f32 v21, v37, v21
	v_dual_add_f32 v36, v20, v22 :: v_dual_add_f32 v37, v21, v23
	ds_load_2addr_b64 v[20:23], v117 offset0:9 offset1:10
	s_wait_dscnt 0x2
	v_dual_add_f32 v32, v36, v32 :: v_dual_add_f32 v33, v37, v33
	s_delay_alu instid0(VALU_DEP_1) | instskip(SKIP_3) | instid1(VALU_DEP_1)
	v_dual_add_f32 v36, v32, v34 :: v_dual_add_f32 v37, v33, v35
	ds_load_2addr_b64 v[32:35], v117 offset0:11 offset1:12
	s_wait_dscnt 0x2
	v_dual_add_f32 v16, v36, v16 :: v_dual_add_f32 v17, v37, v17
	v_dual_add_f32 v36, v16, v18 :: v_dual_add_f32 v37, v17, v19
	ds_load_2addr_b64 v[16:19], v117 offset0:13 offset1:14
	s_wait_dscnt 0x2
	v_dual_add_f32 v20, v36, v20 :: v_dual_add_f32 v21, v37, v21
	s_delay_alu instid0(VALU_DEP_1) | instskip(SKIP_3) | instid1(VALU_DEP_1)
	v_dual_add_f32 v22, v20, v22 :: v_dual_add_f32 v23, v21, v23
	ds_load_b64 v[20:21], v118
	s_wait_dscnt 0x2
	v_dual_add_f32 v22, v22, v32 :: v_dual_add_f32 v23, v23, v33
	v_dual_add_f32 v22, v22, v34 :: v_dual_add_f32 v23, v23, v35
	s_wait_dscnt 0x1
	s_delay_alu instid0(VALU_DEP_1) | instskip(NEXT) | instid1(VALU_DEP_1)
	v_dual_add_f32 v16, v22, v16 :: v_dual_add_f32 v17, v23, v17
	v_dual_add_f32 v18, v16, v18 :: v_dual_add_f32 v19, v17, v19
	v_lshlrev_b64_e32 v[16:17], 3, v[71:72]
	s_wait_dscnt 0x0
	s_delay_alu instid0(VALU_DEP_2) | instskip(NEXT) | instid1(VALU_DEP_2)
	v_dual_add_f32 v18, v18, v20 :: v_dual_add_f32 v19, v19, v21
	v_add_co_u32 v16, vcc_lo, s60, v16
	s_wait_alu 0xfffd
	s_delay_alu instid0(VALU_DEP_3)
	v_add_co_ci_u32_e64 v17, null, s61, v17, vcc_lo
	global_store_b64 v[16:17], v[18:19], off
.LBB183_129:                            ;   in Loop: Header=BB183_79 Depth=2
	s_wait_alu 0xfffe
	s_or_b32 exec_lo, exec_lo, s18
	v_dual_mul_f32 v16, v1, v76 :: v_dual_mul_f32 v17, v3, v74
	v_dual_mul_f32 v3, v3, v73 :: v_dual_mul_f32 v18, v5, v78
	v_add_co_u32 v169, vcc_lo, v169, s50
	s_delay_alu instid0(VALU_DEP_3) | instskip(NEXT) | instid1(VALU_DEP_4)
	v_fma_f32 v16, v0, v75, -v16
	v_fma_f32 v17, v2, v73, -v17
	s_delay_alu instid0(VALU_DEP_4)
	v_fmac_f32_e32 v3, v2, v74
	s_wait_alu 0xfffd
	v_add_co_ci_u32_e64 v170, null, s51, v170, vcc_lo
	v_add_f32_e32 v16, v69, v16
	v_mul_f32_e32 v1, v1, v75
	v_add_co_u32 v171, vcc_lo, v171, s50
	s_wait_alu 0xfffd
	v_add_co_ci_u32_e64 v172, null, s51, v172, vcc_lo
	v_add_f32_e32 v16, v16, v17
	v_fmac_f32_e32 v1, v0, v76
	v_fma_f32 v0, v4, v77, -v18
	v_mul_f32_e32 v5, v5, v77
	v_dual_mul_f32 v20, v9, v84 :: v_dual_mul_f32 v17, v11, v82
	v_add_co_u32 v173, vcc_lo, v173, s50
	s_delay_alu instid0(VALU_DEP_4)
	v_add_f32_e32 v0, v16, v0
	v_mul_f32_e32 v19, v7, v80
	v_mul_f32_e32 v7, v7, v79
	v_fmac_f32_e32 v5, v4, v78
	v_fma_f32 v4, v10, v81, -v17
	s_wait_alu 0xfffd
	v_add_co_ci_u32_e64 v174, null, s51, v174, vcc_lo
	v_fma_f32 v2, v6, v79, -v19
	v_add_co_u32 v175, vcc_lo, v175, s50
	s_wait_alu 0xfffd
	v_add_co_ci_u32_e64 v176, null, s51, v176, vcc_lo
	s_delay_alu instid0(VALU_DEP_3) | instskip(SKIP_4) | instid1(VALU_DEP_3)
	v_add_f32_e32 v0, v0, v2
	v_dual_mul_f32 v2, v13, v86 :: v_dual_add_f32 v1, v70, v1
	v_add_co_u32 v177, vcc_lo, v177, s50
	s_wait_alu 0xfffd
	v_add_co_ci_u32_e64 v178, null, s51, v178, vcc_lo
	v_add_f32_e32 v1, v1, v3
	v_fma_f32 v3, v8, v83, -v20
	v_fma_f32 v2, v12, v85, -v2
	v_add_co_u32 v179, vcc_lo, v179, s50
	s_wait_alu 0xfffd
	v_add_co_ci_u32_e64 v180, null, s51, v180, vcc_lo
	v_add_f32_e32 v0, v0, v3
	v_mul_f32_e32 v9, v9, v83
	v_mul_f32_e32 v3, v15, v88
	v_add_co_u32 v181, vcc_lo, v181, s50
	s_delay_alu instid0(VALU_DEP_4) | instskip(SKIP_1) | instid1(VALU_DEP_4)
	v_dual_add_f32 v0, v0, v4 :: v_dual_mul_f32 v11, v11, v81
	v_mul_f32_e32 v4, v13, v85
	v_fma_f32 v3, v14, v87, -v3
	v_fmac_f32_e32 v9, v8, v84
	s_delay_alu instid0(VALU_DEP_4) | instskip(SKIP_2) | instid1(VALU_DEP_3)
	v_add_f32_e32 v0, v0, v2
	v_mul_f32_e32 v2, v25, v92
	v_dual_fmac_f32 v7, v6, v80 :: v_dual_fmac_f32 v4, v12, v86
	v_dual_fmac_f32 v11, v10, v82 :: v_dual_add_f32 v0, v0, v3
	s_delay_alu instid0(VALU_DEP_3) | instskip(SKIP_3) | instid1(VALU_DEP_4)
	v_fma_f32 v2, v24, v91, -v2
	v_add_f32_e32 v1, v1, v5
	v_mul_f32_e32 v3, v27, v90
	v_mul_f32_e32 v6, v47, v103
	v_dual_mul_f32 v5, v15, v87 :: v_dual_add_f32 v0, v0, v2
	s_delay_alu instid0(VALU_DEP_4) | instskip(NEXT) | instid1(VALU_DEP_4)
	v_add_f32_e32 v1, v1, v7
	v_fma_f32 v2, v26, v89, -v3
	v_mul_f32_e32 v3, v29, v94
	s_wait_alu 0xfffd
	v_add_co_ci_u32_e64 v182, null, s51, v182, vcc_lo
	s_delay_alu instid0(VALU_DEP_3) | instskip(NEXT) | instid1(VALU_DEP_3)
	v_dual_add_f32 v1, v1, v9 :: v_dual_add_f32 v0, v0, v2
	v_fma_f32 v2, v28, v93, -v3
	v_mul_f32_e32 v3, v31, v96
	v_add_co_u32 v183, vcc_lo, v183, s50
	s_delay_alu instid0(VALU_DEP_3) | instskip(NEXT) | instid1(VALU_DEP_3)
	v_dual_add_f32 v1, v1, v11 :: v_dual_add_f32 v0, v0, v2
	v_fma_f32 v2, v30, v95, -v3
	v_mul_f32_e32 v3, v41, v100
	s_wait_alu 0xfffd
	v_add_co_ci_u32_e64 v184, null, s51, v184, vcc_lo
	s_delay_alu instid0(VALU_DEP_3) | instskip(NEXT) | instid1(VALU_DEP_3)
	v_dual_add_f32 v1, v1, v4 :: v_dual_add_f32 v0, v0, v2
	v_fma_f32 v2, v40, v99, -v3
	v_mul_f32_e32 v3, v43, v98
	v_dual_fmac_f32 v5, v14, v88 :: v_dual_mul_f32 v4, v25, v91
	v_fmac_f32_e32 v6, v46, v104
	s_delay_alu instid0(VALU_DEP_4) | instskip(NEXT) | instid1(VALU_DEP_4)
	v_add_f32_e32 v0, v0, v2
	v_fma_f32 v2, v42, v97, -v3
	s_delay_alu instid0(VALU_DEP_4) | instskip(SKIP_1) | instid1(VALU_DEP_3)
	v_dual_add_f32 v1, v1, v5 :: v_dual_fmac_f32 v4, v24, v92
	v_add_co_u32 v185, vcc_lo, v185, s50
	v_add_f32_e32 v0, v0, v2
	v_mul_f32_e32 v2, v45, v101
	v_mul_f32_e32 v5, v27, v89
	v_add_f32_e32 v1, v1, v4
	v_mul_f32_e32 v4, v29, v93
	s_wait_alu 0xfffd
	v_add_co_ci_u32_e64 v186, null, s51, v186, vcc_lo
	v_fmac_f32_e32 v2, v44, v102
	v_fmac_f32_e32 v5, v26, v90
	;; [unrolled: 1-line block ×3, first 2 shown]
	v_add_co_u32 v187, vcc_lo, v187, s50
	v_mul_f32_e32 v3, v43, v97
	s_delay_alu instid0(VALU_DEP_4)
	v_add_f32_e32 v1, v1, v5
	v_mul_f32_e32 v5, v31, v95
	s_wait_alu 0xfffd
	v_add_co_ci_u32_e64 v188, null, s51, v188, vcc_lo
	v_add_co_u32 v189, vcc_lo, v189, s50
	v_add_f32_e32 v1, v1, v4
	v_dual_fmac_f32 v5, v30, v96 :: v_dual_mul_f32 v4, v41, v99
	s_wait_alu 0xfffd
	v_add_co_ci_u32_e64 v190, null, s51, v190, vcc_lo
	v_add_co_u32 v191, vcc_lo, v191, s50
	s_delay_alu instid0(VALU_DEP_3)
	v_dual_add_f32 v1, v1, v5 :: v_dual_fmac_f32 v4, v40, v100
	s_wait_alu 0xfffd
	v_add_co_ci_u32_e64 v192, null, s51, v192, vcc_lo
	v_add_co_u32 v193, vcc_lo, v193, s50
	v_mul_f32_e32 v5, v45, v102
	v_fmac_f32_e32 v3, v42, v98
	v_add_f32_e32 v1, v1, v4
	s_wait_alu 0xfffd
	v_add_co_ci_u32_e64 v194, null, s51, v194, vcc_lo
	v_add_co_u32 v195, vcc_lo, v195, s50
	s_wait_alu 0xfffd
	v_add_co_ci_u32_e64 v196, null, s51, v196, vcc_lo
	v_add_co_u32 v197, vcc_lo, v197, s50
	v_fma_f32 v4, v44, v101, -v5
	v_mul_f32_e32 v5, v47, v104
	v_add_f32_e32 v1, v1, v3
	s_wait_alu 0xfffd
	v_add_co_ci_u32_e64 v198, null, s51, v198, vcc_lo
	v_add_co_u32 v199, vcc_lo, v199, s50
	s_wait_alu 0xfffd
	v_add_co_ci_u32_e64 v200, null, s51, v200, vcc_lo
	v_add_co_u32 v201, vcc_lo, v201, s50
	;; [unrolled: 3-line block ×3, first 2 shown]
	v_add_f32_e32 v0, v0, v4
	v_fma_f32 v3, v46, v103, -v5
	v_add_f32_e32 v1, v1, v2
	s_wait_alu 0xfffd
	v_add_co_ci_u32_e64 v204, null, s51, v204, vcc_lo
	v_add_co_u32 v205, vcc_lo, v205, s50
	s_wait_alu 0xfffd
	v_add_co_ci_u32_e64 v206, null, s51, v206, vcc_lo
	v_add_co_u32 v207, vcc_lo, v207, s50
	v_dual_add_f32 v69, v0, v3 :: v_dual_add_f32 v70, v1, v6
	v_add_nc_u32_e32 v71, 64, v71
	s_wait_alu 0xfffd
	v_add_co_ci_u32_e64 v208, null, s51, v208, vcc_lo
	s_add_co_i32 s18, s19, 1
	s_add_co_i32 s19, s19, 2
	;; [unrolled: 1-line block ×3, first 2 shown]
	s_wait_alu 0xfffe
	s_cmp_ge_u32 s19, s30
	s_wait_loadcnt 0x0
	s_wait_storecnt 0x0
	s_barrier_signal -1
	s_barrier_wait -1
	global_inv scope:SCOPE_SE
	s_cbranch_scc1 .LBB183_131
; %bb.130:                              ;   in Loop: Header=BB183_79 Depth=2
	s_mov_b32 s19, s18
	s_wait_alu 0xfffe
	s_cmp_eq_u32 s68, s19
	s_cselect_b32 s73, s65, 0
	s_and_saveexec_b32 s18, s0
	s_cbranch_execnz .LBB183_75
	s_branch .LBB183_79
.LBB183_131:                            ;   in Loop: Header=BB183_4 Depth=1
	ds_store_b64 v119, v[69:70]
	s_wait_loadcnt_dscnt 0x0
	s_barrier_signal -1
	s_barrier_wait -1
	global_inv scope:SCOPE_SE
	s_and_saveexec_b32 s18, s70
	s_cbranch_execz .LBB183_2
; %bb.132:                              ;   in Loop: Header=BB183_4 Depth=1
	ds_load_2addr_b64 v[0:3], v105 offset1:67
	ds_load_2addr_b64 v[4:7], v105 offset0:134 offset1:201
	s_wait_dscnt 0x1
	v_dual_add_f32 v0, v2, v0 :: v_dual_add_f32 v1, v3, v1
	s_wait_alu 0xfffe
	v_add_co_u32 v2, vcc_lo, s60, v67
	s_wait_alu 0xfffd
	v_add_co_ci_u32_e64 v3, null, s61, v68, vcc_lo
	s_wait_dscnt 0x0
	v_dual_add_f32 v0, v4, v0 :: v_dual_add_f32 v1, v5, v1
	s_delay_alu instid0(VALU_DEP_1)
	v_dual_add_f32 v0, v0, v6 :: v_dual_add_f32 v1, v1, v7
	global_store_b64 v[2:3], v[0:1], off
	s_branch .LBB183_2
.LBB183_133:                            ;   in Loop: Header=BB183_4 Depth=1
	ds_load_b64 v[2:3], v161
	s_wait_dscnt 0x0
	ds_store_b64 v107, v[2:3]
	s_wait_alu 0xfffe
	s_or_b32 exec_lo, exec_lo, s18
	s_and_saveexec_b32 s18, s7
	s_cbranch_execz .LBB183_29
.LBB183_134:                            ;   in Loop: Header=BB183_4 Depth=1
	ds_load_b64 v[2:3], v162
	s_wait_dscnt 0x0
	ds_store_b64 v107, v[2:3] offset:8
	s_wait_alu 0xfffe
	s_or_b32 exec_lo, exec_lo, s18
	s_and_saveexec_b32 s18, s8
	s_cbranch_execz .LBB183_30
.LBB183_135:                            ;   in Loop: Header=BB183_4 Depth=1
	ds_load_b64 v[2:3], v162 offset:264
	s_wait_dscnt 0x0
	ds_store_b64 v107, v[2:3] offset:16
	s_wait_alu 0xfffe
	s_or_b32 exec_lo, exec_lo, s18
	s_and_saveexec_b32 s18, s9
	s_cbranch_execnz .LBB183_31
	s_branch .LBB183_32
.LBB183_136:                            ;   in Loop: Header=BB183_4 Depth=1
	ds_load_b64 v[2:3], v161
	s_wait_dscnt 0x0
	ds_store_b64 v107, v[2:3]
	s_wait_alu 0xfffe
	s_or_b32 exec_lo, exec_lo, s18
	s_and_saveexec_b32 s18, s7
	s_cbranch_execz .LBB183_50
.LBB183_137:                            ;   in Loop: Header=BB183_4 Depth=1
	ds_load_b64 v[2:3], v162
	s_wait_dscnt 0x0
	ds_store_b64 v107, v[2:3] offset:8
	s_wait_alu 0xfffe
	s_or_b32 exec_lo, exec_lo, s18
	s_and_saveexec_b32 s18, s8
	s_cbranch_execz .LBB183_51
.LBB183_138:                            ;   in Loop: Header=BB183_4 Depth=1
	ds_load_b64 v[2:3], v162 offset:264
	s_wait_dscnt 0x0
	ds_store_b64 v107, v[2:3] offset:16
	s_wait_alu 0xfffe
	s_or_b32 exec_lo, exec_lo, s18
	s_and_saveexec_b32 s18, s9
	s_cbranch_execnz .LBB183_52
	s_branch .LBB183_53
.LBB183_139:                            ;   in Loop: Header=BB183_4 Depth=1
	flat_load_b64 v[4:5], v[0:1]
	s_wait_loadcnt_dscnt 0x0
	ds_store_b64 v160, v[4:5]
	s_or_b32 exec_lo, exec_lo, s18
	s_and_saveexec_b32 s18, s3
	s_wait_alu 0xfffe
	s_xor_b32 s18, exec_lo, s18
	s_cbranch_execz .LBB183_18
.LBB183_140:                            ;   in Loop: Header=BB183_4 Depth=1
	v_mov_b32_e32 v58, v57
	ds_store_b64 v160, v[57:58] offset:2112
	s_wait_alu 0xfffe
	s_and_not1_saveexec_b32 s18, s18
	s_cbranch_execz .LBB183_19
.LBB183_141:                            ;   in Loop: Header=BB183_4 Depth=1
	s_lshl_b64 s[60:61], s[40:41], 3
	s_wait_alu 0xfffe
	v_add_co_u32 v4, vcc_lo, v0, s60
	s_wait_alu 0xfffd
	v_add_co_ci_u32_e64 v5, null, s61, v1, vcc_lo
	flat_load_b64 v[4:5], v[4:5]
	s_wait_loadcnt_dscnt 0x0
	ds_store_b64 v160, v[4:5] offset:2112
	s_or_b32 exec_lo, exec_lo, s18
	s_and_saveexec_b32 s18, s4
	s_wait_alu 0xfffe
	s_xor_b32 s18, exec_lo, s18
	s_cbranch_execz .LBB183_20
.LBB183_142:                            ;   in Loop: Header=BB183_4 Depth=1
	v_mov_b32_e32 v58, v57
	ds_store_b64 v160, v[57:58] offset:4224
	s_wait_alu 0xfffe
	s_and_not1_saveexec_b32 s18, s18
	s_cbranch_execz .LBB183_21
.LBB183_143:                            ;   in Loop: Header=BB183_4 Depth=1
	v_add_co_u32 v4, vcc_lo, v0, s52
	s_wait_alu 0xfffd
	v_add_co_ci_u32_e64 v5, null, s53, v1, vcc_lo
	flat_load_b64 v[4:5], v[4:5]
	s_wait_loadcnt_dscnt 0x0
	ds_store_b64 v160, v[4:5] offset:4224
	s_wait_alu 0xfffe
	s_or_b32 exec_lo, exec_lo, s18
	s_and_saveexec_b32 s18, s5
	s_wait_alu 0xfffe
	s_xor_b32 s18, exec_lo, s18
	s_cbranch_execz .LBB183_22
.LBB183_144:                            ;   in Loop: Header=BB183_4 Depth=1
	v_mov_b32_e32 v58, v57
	ds_store_b64 v160, v[57:58] offset:6336
	s_wait_alu 0xfffe
	s_and_not1_saveexec_b32 s18, s18
	s_cbranch_execnz .LBB183_23
	s_branch .LBB183_24
.LBB183_145:                            ;   in Loop: Header=BB183_4 Depth=1
	flat_load_b64 v[6:7], v[0:1]
	s_wait_loadcnt_dscnt 0x0
	ds_store_b64 v160, v[6:7]
	s_or_b32 exec_lo, exec_lo, s18
	s_and_saveexec_b32 s18, s13
	s_wait_alu 0xfffe
	s_xor_b32 s18, exec_lo, s18
	s_cbranch_execz .LBB183_39
.LBB183_146:                            ;   in Loop: Header=BB183_4 Depth=1
	v_mov_b32_e32 v58, v57
	ds_store_b64 v160, v[57:58] offset:2112
	s_wait_alu 0xfffe
	s_and_not1_saveexec_b32 s18, s18
	s_cbranch_execz .LBB183_40
.LBB183_147:                            ;   in Loop: Header=BB183_4 Depth=1
	s_lshl_b64 s[60:61], s[40:41], 3
	s_wait_alu 0xfffe
	v_add_co_u32 v6, vcc_lo, v0, s60
	s_wait_alu 0xfffd
	v_add_co_ci_u32_e64 v7, null, s61, v1, vcc_lo
	flat_load_b64 v[6:7], v[6:7]
	s_wait_loadcnt_dscnt 0x0
	ds_store_b64 v160, v[6:7] offset:2112
	s_or_b32 exec_lo, exec_lo, s18
	s_and_saveexec_b32 s18, s14
	s_wait_alu 0xfffe
	s_xor_b32 s18, exec_lo, s18
	s_cbranch_execz .LBB183_41
.LBB183_148:                            ;   in Loop: Header=BB183_4 Depth=1
	v_mov_b32_e32 v58, v57
	ds_store_b64 v160, v[57:58] offset:4224
	s_wait_alu 0xfffe
	s_and_not1_saveexec_b32 s18, s18
	s_cbranch_execz .LBB183_42
.LBB183_149:                            ;   in Loop: Header=BB183_4 Depth=1
	v_add_co_u32 v6, vcc_lo, v0, s52
	s_wait_alu 0xfffd
	v_add_co_ci_u32_e64 v7, null, s53, v1, vcc_lo
	flat_load_b64 v[6:7], v[6:7]
	s_wait_loadcnt_dscnt 0x0
	ds_store_b64 v160, v[6:7] offset:4224
	s_wait_alu 0xfffe
	s_or_b32 exec_lo, exec_lo, s18
	s_and_saveexec_b32 s18, s15
	s_wait_alu 0xfffe
	s_xor_b32 s18, exec_lo, s18
	s_cbranch_execz .LBB183_43
.LBB183_150:                            ;   in Loop: Header=BB183_4 Depth=1
	v_mov_b32_e32 v58, v57
	ds_store_b64 v160, v[57:58] offset:6336
	s_wait_alu 0xfffe
	s_and_not1_saveexec_b32 s18, s18
	s_cbranch_execnz .LBB183_44
	s_branch .LBB183_45
.LBB183_151:                            ;   in Loop: Header=BB183_4 Depth=1
	flat_load_b64 v[6:7], v[4:5]
	s_wait_loadcnt_dscnt 0x0
	ds_store_b64 v160, v[6:7]
	s_or_b32 exec_lo, exec_lo, s18
	s_and_saveexec_b32 s18, s13
	s_wait_alu 0xfffe
	s_xor_b32 s18, exec_lo, s18
	s_cbranch_execz .LBB183_60
.LBB183_152:                            ;   in Loop: Header=BB183_4 Depth=1
	v_mov_b32_e32 v58, v57
	ds_store_b64 v160, v[57:58] offset:2112
	s_wait_alu 0xfffe
	s_and_not1_saveexec_b32 s18, s18
	s_cbranch_execz .LBB183_61
.LBB183_153:                            ;   in Loop: Header=BB183_4 Depth=1
	s_lshl_b64 s[60:61], s[40:41], 3
	s_wait_alu 0xfffe
	v_add_co_u32 v6, vcc_lo, v4, s60
	s_wait_alu 0xfffd
	v_add_co_ci_u32_e64 v7, null, s61, v5, vcc_lo
	flat_load_b64 v[6:7], v[6:7]
	s_wait_loadcnt_dscnt 0x0
	ds_store_b64 v160, v[6:7] offset:2112
	s_or_b32 exec_lo, exec_lo, s18
	s_and_saveexec_b32 s18, s14
	s_wait_alu 0xfffe
	s_xor_b32 s18, exec_lo, s18
	s_cbranch_execz .LBB183_62
.LBB183_154:                            ;   in Loop: Header=BB183_4 Depth=1
	v_mov_b32_e32 v58, v57
	ds_store_b64 v160, v[57:58] offset:4224
	s_wait_alu 0xfffe
	s_and_not1_saveexec_b32 s18, s18
	s_cbranch_execz .LBB183_63
.LBB183_155:                            ;   in Loop: Header=BB183_4 Depth=1
	v_add_co_u32 v6, vcc_lo, v4, s52
	s_wait_alu 0xfffd
	v_add_co_ci_u32_e64 v7, null, s53, v5, vcc_lo
	flat_load_b64 v[6:7], v[6:7]
	s_wait_loadcnt_dscnt 0x0
	ds_store_b64 v160, v[6:7] offset:4224
	s_wait_alu 0xfffe
	s_or_b32 exec_lo, exec_lo, s18
	s_and_saveexec_b32 s18, s15
	s_wait_alu 0xfffe
	s_xor_b32 s18, exec_lo, s18
	s_cbranch_execz .LBB183_64
.LBB183_156:                            ;   in Loop: Header=BB183_4 Depth=1
	v_mov_b32_e32 v58, v57
	ds_store_b64 v160, v[57:58] offset:6336
	s_wait_alu 0xfffe
	s_and_not1_saveexec_b32 s18, s18
	s_cbranch_execnz .LBB183_65
	s_branch .LBB183_66
.LBB183_157:
	s_nop 0
	s_sendmsg sendmsg(MSG_DEALLOC_VGPRS)
	s_endpgm
	.section	.rodata,"a",@progbits
	.p2align	6, 0x0
	.amdhsa_kernel _ZL26rocblas_hemvn_kernel_upperILb0ELi64ELi4ELi33ELi32ELi16Ei19rocblas_complex_numIfEPKPKS1_PS1_EviT6_lT7_lT5_lS8_lS9_lS7_lT8_i
		.amdhsa_group_segment_fixed_size 9600
		.amdhsa_private_segment_fixed_size 0
		.amdhsa_kernarg_size 376
		.amdhsa_user_sgpr_count 2
		.amdhsa_user_sgpr_dispatch_ptr 0
		.amdhsa_user_sgpr_queue_ptr 0
		.amdhsa_user_sgpr_kernarg_segment_ptr 1
		.amdhsa_user_sgpr_dispatch_id 0
		.amdhsa_user_sgpr_private_segment_size 0
		.amdhsa_wavefront_size32 1
		.amdhsa_uses_dynamic_stack 0
		.amdhsa_enable_private_segment 0
		.amdhsa_system_sgpr_workgroup_id_x 1
		.amdhsa_system_sgpr_workgroup_id_y 0
		.amdhsa_system_sgpr_workgroup_id_z 1
		.amdhsa_system_sgpr_workgroup_info 0
		.amdhsa_system_vgpr_workitem_id 1
		.amdhsa_next_free_vgpr 217
		.amdhsa_next_free_sgpr 87
		.amdhsa_reserve_vcc 1
		.amdhsa_float_round_mode_32 0
		.amdhsa_float_round_mode_16_64 0
		.amdhsa_float_denorm_mode_32 3
		.amdhsa_float_denorm_mode_16_64 3
		.amdhsa_fp16_overflow 0
		.amdhsa_workgroup_processor_mode 1
		.amdhsa_memory_ordered 1
		.amdhsa_forward_progress 1
		.amdhsa_inst_pref_size 89
		.amdhsa_round_robin_scheduling 0
		.amdhsa_exception_fp_ieee_invalid_op 0
		.amdhsa_exception_fp_denorm_src 0
		.amdhsa_exception_fp_ieee_div_zero 0
		.amdhsa_exception_fp_ieee_overflow 0
		.amdhsa_exception_fp_ieee_underflow 0
		.amdhsa_exception_fp_ieee_inexact 0
		.amdhsa_exception_int_div_zero 0
	.end_amdhsa_kernel
	.section	.text._ZL26rocblas_hemvn_kernel_upperILb0ELi64ELi4ELi33ELi32ELi16Ei19rocblas_complex_numIfEPKPKS1_PS1_EviT6_lT7_lT5_lS8_lS9_lS7_lT8_i,"axG",@progbits,_ZL26rocblas_hemvn_kernel_upperILb0ELi64ELi4ELi33ELi32ELi16Ei19rocblas_complex_numIfEPKPKS1_PS1_EviT6_lT7_lT5_lS8_lS9_lS7_lT8_i,comdat
.Lfunc_end183:
	.size	_ZL26rocblas_hemvn_kernel_upperILb0ELi64ELi4ELi33ELi32ELi16Ei19rocblas_complex_numIfEPKPKS1_PS1_EviT6_lT7_lT5_lS8_lS9_lS7_lT8_i, .Lfunc_end183-_ZL26rocblas_hemvn_kernel_upperILb0ELi64ELi4ELi33ELi32ELi16Ei19rocblas_complex_numIfEPKPKS1_PS1_EviT6_lT7_lT5_lS8_lS9_lS7_lT8_i
                                        ; -- End function
	.set _ZL26rocblas_hemvn_kernel_upperILb0ELi64ELi4ELi33ELi32ELi16Ei19rocblas_complex_numIfEPKPKS1_PS1_EviT6_lT7_lT5_lS8_lS9_lS7_lT8_i.num_vgpr, 217
	.set _ZL26rocblas_hemvn_kernel_upperILb0ELi64ELi4ELi33ELi32ELi16Ei19rocblas_complex_numIfEPKPKS1_PS1_EviT6_lT7_lT5_lS8_lS9_lS7_lT8_i.num_agpr, 0
	.set _ZL26rocblas_hemvn_kernel_upperILb0ELi64ELi4ELi33ELi32ELi16Ei19rocblas_complex_numIfEPKPKS1_PS1_EviT6_lT7_lT5_lS8_lS9_lS7_lT8_i.numbered_sgpr, 87
	.set _ZL26rocblas_hemvn_kernel_upperILb0ELi64ELi4ELi33ELi32ELi16Ei19rocblas_complex_numIfEPKPKS1_PS1_EviT6_lT7_lT5_lS8_lS9_lS7_lT8_i.num_named_barrier, 0
	.set _ZL26rocblas_hemvn_kernel_upperILb0ELi64ELi4ELi33ELi32ELi16Ei19rocblas_complex_numIfEPKPKS1_PS1_EviT6_lT7_lT5_lS8_lS9_lS7_lT8_i.private_seg_size, 0
	.set _ZL26rocblas_hemvn_kernel_upperILb0ELi64ELi4ELi33ELi32ELi16Ei19rocblas_complex_numIfEPKPKS1_PS1_EviT6_lT7_lT5_lS8_lS9_lS7_lT8_i.uses_vcc, 1
	.set _ZL26rocblas_hemvn_kernel_upperILb0ELi64ELi4ELi33ELi32ELi16Ei19rocblas_complex_numIfEPKPKS1_PS1_EviT6_lT7_lT5_lS8_lS9_lS7_lT8_i.uses_flat_scratch, 1
	.set _ZL26rocblas_hemvn_kernel_upperILb0ELi64ELi4ELi33ELi32ELi16Ei19rocblas_complex_numIfEPKPKS1_PS1_EviT6_lT7_lT5_lS8_lS9_lS7_lT8_i.has_dyn_sized_stack, 0
	.set _ZL26rocblas_hemvn_kernel_upperILb0ELi64ELi4ELi33ELi32ELi16Ei19rocblas_complex_numIfEPKPKS1_PS1_EviT6_lT7_lT5_lS8_lS9_lS7_lT8_i.has_recursion, 0
	.set _ZL26rocblas_hemvn_kernel_upperILb0ELi64ELi4ELi33ELi32ELi16Ei19rocblas_complex_numIfEPKPKS1_PS1_EviT6_lT7_lT5_lS8_lS9_lS7_lT8_i.has_indirect_call, 0
	.section	.AMDGPU.csdata,"",@progbits
; Kernel info:
; codeLenInByte = 11336
; TotalNumSgprs: 89
; NumVgprs: 217
; ScratchSize: 0
; MemoryBound: 1
; FloatMode: 240
; IeeeMode: 1
; LDSByteSize: 9600 bytes/workgroup (compile time only)
; SGPRBlocks: 0
; VGPRBlocks: 27
; NumSGPRsForWavesPerEU: 89
; NumVGPRsForWavesPerEU: 217
; Occupancy: 6
; WaveLimiterHint : 1
; COMPUTE_PGM_RSRC2:SCRATCH_EN: 0
; COMPUTE_PGM_RSRC2:USER_SGPR: 2
; COMPUTE_PGM_RSRC2:TRAP_HANDLER: 0
; COMPUTE_PGM_RSRC2:TGID_X_EN: 1
; COMPUTE_PGM_RSRC2:TGID_Y_EN: 0
; COMPUTE_PGM_RSRC2:TGID_Z_EN: 1
; COMPUTE_PGM_RSRC2:TIDIG_COMP_CNT: 1
	.section	.text._ZL26rocblas_hemvn_kernel_lowerILb0ELi64ELi4ELi33ELi32ELi16ElPK19rocblas_complex_numIfEPKS3_PS1_EviT6_lT7_lT5_lS8_lS9_lS7_lT8_i,"axG",@progbits,_ZL26rocblas_hemvn_kernel_lowerILb0ELi64ELi4ELi33ELi32ELi16ElPK19rocblas_complex_numIfEPKS3_PS1_EviT6_lT7_lT5_lS8_lS9_lS7_lT8_i,comdat
	.globl	_ZL26rocblas_hemvn_kernel_lowerILb0ELi64ELi4ELi33ELi32ELi16ElPK19rocblas_complex_numIfEPKS3_PS1_EviT6_lT7_lT5_lS8_lS9_lS7_lT8_i ; -- Begin function _ZL26rocblas_hemvn_kernel_lowerILb0ELi64ELi4ELi33ELi32ELi16ElPK19rocblas_complex_numIfEPKS3_PS1_EviT6_lT7_lT5_lS8_lS9_lS7_lT8_i
	.p2align	8
	.type	_ZL26rocblas_hemvn_kernel_lowerILb0ELi64ELi4ELi33ELi32ELi16ElPK19rocblas_complex_numIfEPKS3_PS1_EviT6_lT7_lT5_lS8_lS9_lS7_lT8_i,@function
_ZL26rocblas_hemvn_kernel_lowerILb0ELi64ELi4ELi33ELi32ELi16ElPK19rocblas_complex_numIfEPKS3_PS1_EviT6_lT7_lT5_lS8_lS9_lS7_lT8_i: ; @_ZL26rocblas_hemvn_kernel_lowerILb0ELi64ELi4ELi33ELi32ELi16ElPK19rocblas_complex_numIfEPKS3_PS1_EviT6_lT7_lT5_lS8_lS9_lS7_lT8_i
; %bb.0:
	s_clause 0x1
	s_load_b64 s[2:3], s[0:1], 0x84
	s_load_b32 s33, s[0:1], 0x70
	s_lshr_b32 s34, ttmp7, 16
	s_wait_kmcnt 0x0
	s_lshr_b32 s4, s2, 16
	s_and_b32 s2, s2, 0xffff
	s_and_b32 s3, s3, 0xffff
	s_mul_i32 s2, s4, s2
	s_delay_alu instid0(SALU_CYCLE_1) | instskip(NEXT) | instid1(SALU_CYCLE_1)
	s_mul_i32 s2, s2, s3
	s_cmp_lg_u32 s2, 0x100
	s_cselect_b32 s2, -1, 0
	s_cmp_ge_u32 s34, s33
	s_cselect_b32 s3, -1, 0
	s_delay_alu instid0(SALU_CYCLE_1) | instskip(NEXT) | instid1(SALU_CYCLE_1)
	s_or_b32 s2, s2, s3
	s_and_b32 vcc_lo, exec_lo, s2
	s_cbranch_vccnz .LBB184_105
; %bb.1:
	s_clause 0x1
	s_load_b32 s2, s[0:1], 0x0
	s_load_b64 s[40:41], s[0:1], 0x48
	s_add_nc_u64 s[4:5], s[0:1], 0x78
	v_dual_mov_b32 v33, 0 :: v_dual_and_b32 v82, 0x3ff, v0
	s_load_b32 s42, s[4:5], 0x0
	v_bfe_u32 v14, v0, 10, 10
	s_clause 0x4
	s_load_b64 s[90:91], s[0:1], 0x28
	s_load_b128 s[28:31], s[0:1], 0x38
	s_load_b64 s[4:5], s[0:1], 0x68
	s_load_b256 s[20:27], s[0:1], 0x8
	s_load_b128 s[36:39], s[0:1], 0x58
	s_lshl_b32 s92, ttmp9, 6
	v_lshl_add_u32 v15, v14, 6, v82
	v_and_b32_e32 v32, 31, v0
	v_add_nc_u32_e32 v1, s92, v82
	s_mov_b32 s43, 0
	v_lshlrev_b32_e32 v83, 3, v82
	v_lshrrev_b32_e32 v12, 5, v15
	v_mul_u32_u24_e32 v22, 33, v32
	v_ashrrev_i32_e32 v2, 31, v1
	v_lshlrev_b32_e32 v16, 3, v32
	s_wait_kmcnt 0x0
	s_ashr_i32 s3, s2, 31
	s_mul_i32 s6, s2, ttmp9
	s_lshr_b32 s0, s3, 26
	v_lshlrev_b32_e32 v13, 2, v12
	s_add_co_i32 s0, s2, s0
	s_add_co_i32 s1, s42, -1
	s_and_not1_b32 s0, s0, 63
	v_mul_lo_u32 v7, s40, v2
	s_sub_co_i32 s0, s2, s0
	s_cmp_eq_u32 ttmp9, s1
	v_or_b32_e32 v21, 1, v13
	s_cselect_b32 s44, s0, 0
	v_or_b32_e32 v23, 2, v13
	s_cmp_eq_u32 s44, 0
	v_mul_lo_u32 v8, s41, v1
	s_cselect_b32 s102, -1, 0
	s_cmp_lg_u32 s44, 0
	v_mad_co_u64_u32 v[3:4], null, s40, v1, 0
	s_cselect_b32 s1, -1, 0
	s_ashr_i32 s7, s6, 31
	v_mad_co_u64_u32 v[5:6], null, s90, v12, v[32:33]
	s_lshl_b64 s[6:7], s[6:7], 3
	v_add_nc_u32_e32 v10, 8, v12
	s_add_nc_u64 s[48:49], s[4:5], s[6:7]
	v_cmp_lt_u32_e64 s7, v13, v32
	v_or_b32_e32 v13, 3, v13
	v_add_nc_u32_e32 v11, 16, v12
	v_lshlrev_b32_e32 v24, 3, v12
	v_lshlrev_b32_e32 v86, 3, v22
	s_sub_co_i32 s16, s44, 32
	v_cmp_lt_u32_e64 s10, v13, v32
	v_or_b32_e32 v13, 32, v32
	v_cmp_le_i32_e64 s4, s44, v10
	v_cmp_le_i32_e64 s5, s44, v11
	;; [unrolled: 1-line block ×4, first 2 shown]
	v_cmp_gt_i32_e64 s12, s44, v13
	v_lshlrev_b32_e32 v13, 2, v14
	v_lshl_or_b32 v19, v32, 8, v16
	v_and_b32_e32 v20, 0x7fe0, v15
	v_add3_u32 v4, v4, v7, v8
	v_mad_co_u64_u32 v[7:8], null, s91, v12, v[6:7]
	v_mad_co_u64_u32 v[10:11], null, s90, v13, 0
	v_add_nc_u32_e32 v18, 24, v12
	v_add_nc_u32_e32 v88, v86, v24
	v_cmp_le_i32_e32 vcc_lo, s44, v82
	s_mul_u64 s[46:47], s[42:43], s[2:3]
	v_sub_co_u32 v8, s3, 0, v32
	v_add_nc_u32_e32 v85, v19, v20
	v_add_nc_u32_e32 v87, 0x2380, v20
	v_lshrrev_b32_e32 v20, 4, v15
	v_mul_u32_u24_e32 v17, 0x108, v12
	v_sub_co_ci_u32_e64 v9, null, 0, 0, s3
	v_cmp_le_i32_e64 s3, s44, v12
	v_cmp_le_i32_e64 s6, s44, v18
	v_mul_u32_u24_e32 v19, 0x420, v12
	v_cmp_le_i32_e64 s13, s16, v12
	v_cmp_le_i32_e64 s16, s16, v18
	v_cmp_eq_u32_e64 s17, 1, v12
	v_mul_i32_i24_e32 v18, 0xffffffe8, v12
	v_mad_u32_u24 v89, v12, 24, v88
	v_mad_co_u64_u32 v[11:12], null, s91, v13, v[11:12]
	s_and_b32 s1, s1, vcc_lo
	v_sub_co_u32 v12, vcc_lo, 0, v5
	v_mov_b32_e32 v6, v7
	v_and_b32_e32 v22, 15, v0
	v_sub_co_ci_u32_e64 v13, null, 0, v7, vcc_lo
	v_and_b32_e32 v0, 48, v0
	v_lshlrev_b32_e32 v7, 5, v20
	v_cmp_lt_u32_e64 s8, v21, v32
	v_mul_u32_u24_e32 v21, 0x108, v21
	v_cmp_lt_u32_e64 s9, v23, v32
	v_lshlrev_b32_e32 v0, 3, v0
	v_or_b32_e32 v23, 0x78, v83
	v_mad_u32_u24 v93, 0x218, v22, v7
	v_mul_i32_i24_e32 v7, 0xffffffe8, v20
	s_ashr_i32 s93, s92, 31
	v_cmp_eq_u32_e64 s0, 0, v14
	s_wait_alu 0xfffe
	s_mul_u64 s[18:19], s[40:41], s[92:93]
	s_mul_u64 s[50:51], s[90:91], s[92:93]
	s_lshl_b64 s[58:59], s[90:91], 5
	v_lshlrev_b64_e32 v[34:35], 3, v[3:4]
	v_lshlrev_b64_e32 v[36:37], 3, v[5:6]
	;; [unrolled: 1-line block ×6, first 2 shown]
	v_add_nc_u32_e32 v84, 0x2380, v83
	s_lshl_b64 s[52:53], s[90:91], 6
	s_lshl_b64 s[54:55], s[90:91], 7
	v_cmp_gt_i32_e64 s2, s44, v32
	s_ashr_i32 s45, s44, 31
	v_cmp_gt_u32_e64 s11, 32, v15
	s_xor_b32 s35, s1, -1
	s_sub_nc_u64 s[96:97], 0, s[18:19]
	v_add_nc_u32_e32 v90, 0x2180, v83
	v_lshl_add_u32 v91, v14, 5, 0x2180
	v_mad_u32_u24 v92, 0x860, v14, v83
	v_cmp_gt_u32_e64 s18, 64, v15
	v_mad_u32_u24 v94, 0x218, v22, v0
	v_mad_u32_u24 v95, 0x218, v22, v23
	;; [unrolled: 1-line block ×3, first 2 shown]
	v_add_nc_u32_e32 v97, 0x2380, v24
	v_add_nc_u32_e32 v98, v16, v17
	;; [unrolled: 1-line block ×6, first 2 shown]
	v_lshlrev_b32_e32 v103, 3, v32
	s_sub_nc_u64 s[94:95], 0, s[58:59]
	s_cmp_gt_i32 ttmp9, 0
	s_sub_nc_u64 s[98:99], 0, s[50:51]
	s_mul_u64 s[56:57], s[90:91], 0xc0
	s_cselect_b32 s103, -1, 0
	s_and_b32 s104, s0, s35
	s_wait_alu 0xfffe
	s_sub_nc_u64 s[60:61], 0, s[44:45]
	s_lshl_b64 s[62:63], s[90:91], 3
	s_lshl_b64 s[64:65], s[90:91], 4
	;; [unrolled: 1-line block ×3, first 2 shown]
	s_mul_u64 s[68:69], s[90:91], 24
	s_mul_u64 s[70:71], s[90:91], 0x90
	;; [unrolled: 1-line block ×3, first 2 shown]
	s_lshl_b64 s[74:75], s[90:91], 8
	s_mul_u64 s[76:77], s[90:91], 0x110
	s_mul_u64 s[78:79], s[90:91], 0x118
	;; [unrolled: 1-line block ×8, first 2 shown]
	s_lshl_b64 s[30:31], s[30:31], 3
	s_lshl_b64 s[92:93], s[92:93], 3
	s_lshl_b64 s[94:95], s[94:95], 3
	s_lshl_b64 s[96:97], s[96:97], 3
	s_lshl_b64 s[98:99], s[98:99], 3
	s_lshl_b64 s[26:27], s[26:27], 3
	s_branch .LBB184_4
.LBB184_2:                              ;   in Loop: Header=BB184_4 Depth=1
	s_or_b32 exec_lo, exec_lo, s19
.LBB184_3:                              ;   in Loop: Header=BB184_4 Depth=1
	s_add_co_i32 s34, s34, 0x10000
	s_delay_alu instid0(SALU_CYCLE_1)
	s_cmp_lt_u32 s34, s33
	s_cbranch_scc0 .LBB184_105
.LBB184_4:                              ; =>This Loop Header: Depth=1
                                        ;     Child Loop BB184_75 Depth 2
	s_mov_b32 s35, s43
	s_mov_b32 s19, -1
	s_mul_u64 s[100:101], s[22:23], s[34:35]
	s_wait_alu 0xfffe
	s_lshl_b64 s[100:101], s[100:101], 3
	s_wait_alu 0xfffe
	s_add_nc_u64 s[100:101], s[20:21], s[100:101]
	global_load_b64 v[0:1], v33, s[100:101]
	s_wait_loadcnt 0x0
	v_or_b32_e32 v0, v0, v1
	s_delay_alu instid0(VALU_DEP_1) | instskip(NEXT) | instid1(VALU_DEP_1)
	v_and_b32_e32 v0, 0x7fffffff, v0
	v_cmp_ne_u32_e32 vcc_lo, 0, v0
	s_cbranch_vccz .LBB184_6
; %bb.5:                                ;   in Loop: Header=BB184_4 Depth=1
	s_and_not1_b32 vcc_lo, exec_lo, s19
	s_wait_alu 0xfffe
	s_cbranch_vccnz .LBB184_3
	s_branch .LBB184_7
.LBB184_6:                              ;   in Loop: Header=BB184_4 Depth=1
	s_mul_u64 s[100:101], s[38:39], s[34:35]
	s_wait_alu 0xfffe
	s_lshl_b64 s[100:101], s[100:101], 3
	s_wait_alu 0xfffe
	s_add_nc_u64 s[100:101], s[36:37], s[100:101]
	global_load_b64 v[0:1], v33, s[100:101]
	s_wait_loadcnt 0x0
	v_cmp_eq_f32_e32 vcc_lo, 1.0, v0
	v_cmp_eq_f32_e64 s19, 0, v1
	s_and_b32 s19, vcc_lo, s19
	s_delay_alu instid0(SALU_CYCLE_1)
	s_and_not1_b32 vcc_lo, exec_lo, s19
	s_cbranch_execnz .LBB184_3
.LBB184_7:                              ;   in Loop: Header=BB184_4 Depth=1
	s_lshl_b64 s[100:101], s[34:35], 3
	s_wait_alu 0xfffe
	s_add_nc_u64 vcc, s[28:29], s[100:101]
	s_add_nc_u64 s[100:101], s[24:25], s[100:101]
	s_clause 0x1
	global_load_b64 v[2:3], v33, vcc
	global_load_b64 v[0:1], v33, s[100:101]
	s_wait_loadcnt 0x1
	v_add_co_u32 v2, vcc_lo, v2, s30
	s_wait_alu 0xfffd
	v_add_co_ci_u32_e64 v3, null, s31, v3, vcc_lo
	s_delay_alu instid0(VALU_DEP_2) | instskip(SKIP_1) | instid1(VALU_DEP_2)
	v_add_co_u32 v16, vcc_lo, v2, v34
	s_wait_alu 0xfffd
	v_add_co_ci_u32_e64 v17, null, v3, v35, vcc_lo
	s_and_saveexec_b32 s19, s0
	s_cbranch_execz .LBB184_12
; %bb.8:                                ;   in Loop: Header=BB184_4 Depth=1
	s_and_saveexec_b32 s42, s1
	s_wait_alu 0xfffe
	s_xor_b32 s42, exec_lo, s42
; %bb.9:                                ;   in Loop: Header=BB184_4 Depth=1
	v_mov_b32_e32 v32, v33
	ds_store_b64 v84, v[32:33]
; %bb.10:                               ;   in Loop: Header=BB184_4 Depth=1
	s_wait_alu 0xfffe
	s_and_not1_saveexec_b32 s42, s42
	s_cbranch_execz .LBB184_12
; %bb.11:                               ;   in Loop: Header=BB184_4 Depth=1
	flat_load_b64 v[2:3], v[16:17]
	s_wait_loadcnt_dscnt 0x0
	ds_store_b64 v84, v[2:3]
.LBB184_12:                             ;   in Loop: Header=BB184_4 Depth=1
	s_or_b32 exec_lo, exec_lo, s19
	s_wait_loadcnt 0x0
	v_add_co_u32 v0, vcc_lo, v0, s26
	s_wait_alu 0xfffd
	v_add_co_ci_u32_e64 v1, null, s27, v1, vcc_lo
	s_lshl_b64 s[100:101], s[50:51], 3
	s_wait_alu 0xfffe
	v_add_co_u32 v0, vcc_lo, v0, s92
	s_wait_alu 0xfffd
	v_add_co_ci_u32_e64 v1, null, s93, v1, vcc_lo
	s_mov_b32 s19, -1
	v_add_co_u32 v0, vcc_lo, v0, v36
	s_wait_alu 0xfffd
	v_add_co_ci_u32_e64 v1, null, v1, v37, vcc_lo
	s_delay_alu instid0(VALU_DEP_2) | instskip(SKIP_1) | instid1(VALU_DEP_2)
	v_add_co_u32 v0, vcc_lo, v0, s100
	s_wait_alu 0xfffd
	v_add_co_ci_u32_e64 v1, null, s101, v1, vcc_lo
	s_and_not1_b32 vcc_lo, exec_lo, s102
	s_wait_alu 0xfffe
	s_cbranch_vccnz .LBB184_14
; %bb.13:                               ;   in Loop: Header=BB184_4 Depth=1
	v_add_co_u32 v2, vcc_lo, v0, s52
	s_wait_alu 0xfffd
	v_add_co_ci_u32_e64 v3, null, s53, v1, vcc_lo
	s_mov_b32 s19, 0
	v_add_co_u32 v4, vcc_lo, v2, s52
	s_wait_alu 0xfffd
	v_add_co_ci_u32_e64 v5, null, s53, v3, vcc_lo
	s_delay_alu instid0(VALU_DEP_2) | instskip(SKIP_1) | instid1(VALU_DEP_2)
	v_add_co_u32 v6, vcc_lo, v4, s52
	s_wait_alu 0xfffd
	v_add_co_ci_u32_e64 v7, null, s53, v5, vcc_lo
	s_clause 0x3
	flat_load_b64 v[8:9], v[0:1]
	flat_load_b64 v[2:3], v[2:3]
	;; [unrolled: 1-line block ×4, first 2 shown]
	s_wait_loadcnt_dscnt 0x303
	ds_store_b64 v98, v[8:9]
	s_wait_loadcnt_dscnt 0x203
	ds_store_b64 v98, v[2:3] offset:2112
	s_wait_loadcnt_dscnt 0x103
	ds_store_b64 v98, v[4:5] offset:4224
	;; [unrolled: 2-line block ×3, first 2 shown]
.LBB184_14:                             ;   in Loop: Header=BB184_4 Depth=1
	s_and_not1_b32 vcc_lo, exec_lo, s19
	s_wait_alu 0xfffe
	s_cbranch_vccnz .LBB184_26
; %bb.15:                               ;   in Loop: Header=BB184_4 Depth=1
	s_and_saveexec_b32 s19, s3
	s_delay_alu instid0(SALU_CYCLE_1)
	s_xor_b32 s19, exec_lo, s19
; %bb.16:                               ;   in Loop: Header=BB184_4 Depth=1
	v_mov_b32_e32 v32, v33
	ds_store_b64 v98, v[32:33]
; %bb.17:                               ;   in Loop: Header=BB184_4 Depth=1
	s_or_saveexec_b32 s19, s19
	v_add_co_u32 v2, vcc_lo, v0, v38
	s_wait_alu 0xfffd
	v_add_co_ci_u32_e64 v3, null, v1, v39, vcc_lo
	s_lshl_b64 s[100:101], s[44:45], 3
	s_wait_alu 0xfffe
	v_add_co_u32 v2, vcc_lo, v2, s100
	s_wait_alu 0xfffd
	v_add_co_ci_u32_e64 v3, null, s101, v3, vcc_lo
	s_delay_alu instid0(VALU_DEP_2) | instskip(SKIP_1) | instid1(VALU_DEP_2)
	v_add_co_u32 v2, vcc_lo, v2, -8
	s_wait_alu 0xfffd
	v_add_co_ci_u32_e64 v3, null, -1, v3, vcc_lo
	s_delay_alu instid0(VALU_DEP_2) | instskip(NEXT) | instid1(VALU_DEP_2)
	v_cndmask_b32_e64 v2, v2, v0, s2
	v_cndmask_b32_e64 v3, v3, v1, s2
	s_xor_b32 exec_lo, exec_lo, s19
	s_cbranch_execnz .LBB184_87
; %bb.18:                               ;   in Loop: Header=BB184_4 Depth=1
	s_or_b32 exec_lo, exec_lo, s19
	s_and_saveexec_b32 s19, s4
	s_delay_alu instid0(SALU_CYCLE_1)
	s_xor_b32 s19, exec_lo, s19
	s_cbranch_execnz .LBB184_88
.LBB184_19:                             ;   in Loop: Header=BB184_4 Depth=1
	s_and_not1_saveexec_b32 s19, s19
	s_cbranch_execnz .LBB184_89
.LBB184_20:                             ;   in Loop: Header=BB184_4 Depth=1
	s_or_b32 exec_lo, exec_lo, s19
	s_and_saveexec_b32 s19, s5
	s_delay_alu instid0(SALU_CYCLE_1)
	s_xor_b32 s19, exec_lo, s19
	s_cbranch_execnz .LBB184_90
.LBB184_21:                             ;   in Loop: Header=BB184_4 Depth=1
	s_and_not1_saveexec_b32 s19, s19
	s_cbranch_execnz .LBB184_91
.LBB184_22:                             ;   in Loop: Header=BB184_4 Depth=1
	s_or_b32 exec_lo, exec_lo, s19
	s_and_saveexec_b32 s19, s6
	s_delay_alu instid0(SALU_CYCLE_1)
	s_xor_b32 s19, exec_lo, s19
	s_cbranch_execnz .LBB184_92
.LBB184_23:                             ;   in Loop: Header=BB184_4 Depth=1
	s_and_not1_saveexec_b32 s19, s19
	s_cbranch_execz .LBB184_25
.LBB184_24:                             ;   in Loop: Header=BB184_4 Depth=1
	v_add_co_u32 v4, vcc_lo, v2, s56
	s_wait_alu 0xfffd
	v_add_co_ci_u32_e64 v5, null, s57, v3, vcc_lo
	flat_load_b64 v[4:5], v[4:5]
	s_wait_loadcnt_dscnt 0x0
	ds_store_b64 v98, v[4:5] offset:6336
.LBB184_25:                             ;   in Loop: Header=BB184_4 Depth=1
	s_or_b32 exec_lo, exec_lo, s19
	v_add_co_u32 v2, vcc_lo, v2, v103
	s_wait_alu 0xfffd
	v_add_co_ci_u32_e64 v3, null, 0, v3, vcc_lo
	s_lshl_b64 s[100:101], s[60:61], 3
	s_wait_alu 0xfffe
	v_add_co_u32 v2, vcc_lo, v2, s100
	s_wait_alu 0xfffd
	v_add_co_ci_u32_e64 v3, null, s101, v3, vcc_lo
	s_delay_alu instid0(VALU_DEP_2) | instskip(SKIP_1) | instid1(VALU_DEP_2)
	v_add_co_u32 v2, vcc_lo, v2, 8
	s_wait_alu 0xfffd
	v_add_co_ci_u32_e64 v3, null, 0, v3, vcc_lo
	s_delay_alu instid0(VALU_DEP_2) | instskip(NEXT) | instid1(VALU_DEP_2)
	v_cndmask_b32_e64 v0, v2, v0, s2
	v_cndmask_b32_e64 v1, v3, v1, s2
.LBB184_26:                             ;   in Loop: Header=BB184_4 Depth=1
	s_wait_dscnt 0x0
	s_barrier_signal -1
	s_barrier_wait -1
	global_inv scope:SCOPE_SE
	s_and_saveexec_b32 s19, s7
	s_cbranch_execnz .LBB184_81
; %bb.27:                               ;   in Loop: Header=BB184_4 Depth=1
	s_or_b32 exec_lo, exec_lo, s19
	s_and_saveexec_b32 s19, s8
	s_cbranch_execnz .LBB184_82
.LBB184_28:                             ;   in Loop: Header=BB184_4 Depth=1
	s_or_b32 exec_lo, exec_lo, s19
	s_and_saveexec_b32 s19, s9
	s_cbranch_execnz .LBB184_83
.LBB184_29:                             ;   in Loop: Header=BB184_4 Depth=1
	s_or_b32 exec_lo, exec_lo, s19
	s_and_saveexec_b32 s19, s10
	s_cbranch_execz .LBB184_31
.LBB184_30:                             ;   in Loop: Header=BB184_4 Depth=1
	ds_load_b64 v[2:3], v100 offset:528
	s_wait_dscnt 0x0
	ds_store_b64 v85, v[2:3] offset:24
.LBB184_31:                             ;   in Loop: Header=BB184_4 Depth=1
	s_or_b32 exec_lo, exec_lo, s19
	s_wait_loadcnt_dscnt 0x0
	s_barrier_signal -1
	s_barrier_wait -1
	global_inv scope:SCOPE_SE
	ds_load_b64 v[14:15], v99
	ds_load_b128 v[2:5], v87
	ds_load_2addr_b64 v[6:9], v100 offset1:33
	ds_load_b128 v[10:13], v87 offset:16
	ds_load_b64 v[18:19], v100 offset:528
	s_wait_loadcnt_dscnt 0x0
	s_barrier_signal -1
	s_barrier_wait -1
	global_inv scope:SCOPE_SE
	v_dual_mov_b32 v47, 0 :: v_dual_mul_f32 v20, v3, v15
	v_dual_mul_f32 v15, v2, v15 :: v_dual_mul_f32 v22, v11, v9
	v_mul_f32_e32 v9, v10, v9
	s_delay_alu instid0(VALU_DEP_3) | instskip(SKIP_1) | instid1(VALU_DEP_4)
	v_fma_f32 v2, v2, v14, -v20
	v_mul_f32_e32 v21, v5, v7
	v_fmac_f32_e32 v15, v3, v14
	s_delay_alu instid0(VALU_DEP_4) | instskip(SKIP_3) | instid1(VALU_DEP_1)
	v_fmac_f32_e32 v9, v11, v8
	v_fma_f32 v10, v10, v8, -v22
	v_dual_add_f32 v2, 0, v2 :: v_dual_mul_f32 v7, v4, v7
	v_fma_f32 v4, v4, v6, -v21
	v_dual_add_f32 v2, v2, v4 :: v_dual_fmac_f32 v7, v5, v6
	v_mul_f32_e32 v6, v12, v19
	v_add_f32_e32 v5, 0, v15
	s_delay_alu instid0(VALU_DEP_3) | instskip(NEXT) | instid1(VALU_DEP_3)
	v_dual_mul_f32 v3, v13, v19 :: v_dual_add_f32 v2, v2, v10
	v_fmac_f32_e32 v6, v13, v18
	s_delay_alu instid0(VALU_DEP_3) | instskip(NEXT) | instid1(VALU_DEP_3)
	v_add_f32_e32 v4, v5, v7
	v_fma_f32 v3, v12, v18, -v3
	s_delay_alu instid0(VALU_DEP_2) | instskip(SKIP_1) | instid1(VALU_DEP_2)
	v_add_f32_e32 v4, v4, v9
	v_mov_b32_e32 v46, 0
	v_dual_add_f32 v2, v2, v3 :: v_dual_add_f32 v3, v4, v6
	ds_store_b64 v88, v[2:3]
	s_wait_loadcnt_dscnt 0x0
	s_barrier_signal -1
	s_barrier_wait -1
	global_inv scope:SCOPE_SE
	s_and_saveexec_b32 s19, s11
	s_cbranch_execz .LBB184_33
; %bb.32:                               ;   in Loop: Header=BB184_4 Depth=1
	ds_load_2addr_b64 v[2:5], v86 offset1:7
	ds_load_2addr_b64 v[6:9], v86 offset0:1 offset1:2
	ds_load_2addr_b64 v[10:13], v86 offset0:3 offset1:4
	;; [unrolled: 1-line block ×3, first 2 shown]
	s_wait_dscnt 0x2
	v_dual_add_f32 v2, v6, v2 :: v_dual_add_f32 v3, v7, v3
	s_delay_alu instid0(VALU_DEP_1) | instskip(SKIP_1) | instid1(VALU_DEP_1)
	v_dual_add_f32 v2, v8, v2 :: v_dual_add_f32 v3, v9, v3
	s_wait_dscnt 0x1
	v_dual_add_f32 v2, v2, v10 :: v_dual_add_f32 v3, v3, v11
	s_delay_alu instid0(VALU_DEP_1) | instskip(SKIP_1) | instid1(VALU_DEP_1)
	v_dual_add_f32 v2, v2, v12 :: v_dual_add_f32 v3, v3, v13
	s_wait_dscnt 0x0
	v_dual_add_f32 v2, v2, v18 :: v_dual_add_f32 v3, v3, v19
	s_delay_alu instid0(VALU_DEP_1) | instskip(NEXT) | instid1(VALU_DEP_1)
	v_dual_add_f32 v2, v2, v20 :: v_dual_add_f32 v3, v3, v21
	v_dual_add_f32 v46, v2, v4 :: v_dual_add_f32 v47, v3, v5
.LBB184_33:                             ;   in Loop: Header=BB184_4 Depth=1
	s_or_b32 exec_lo, exec_lo, s19
	s_lshl_b64 s[100:101], s[58:59], 3
	s_mov_b32 s19, -1
	s_wait_alu 0xfffe
	v_add_co_u32 v0, vcc_lo, v0, s100
	s_wait_alu 0xfffd
	v_add_co_ci_u32_e64 v1, null, s101, v1, vcc_lo
	s_and_not1_b32 vcc_lo, exec_lo, s102
	s_wait_loadcnt 0x0
	s_barrier_signal -1
	s_barrier_wait -1
	global_inv scope:SCOPE_SE
	s_wait_alu 0xfffe
	s_cbranch_vccnz .LBB184_35
; %bb.34:                               ;   in Loop: Header=BB184_4 Depth=1
	v_add_co_u32 v2, vcc_lo, v0, s52
	s_wait_alu 0xfffd
	v_add_co_ci_u32_e64 v3, null, s53, v1, vcc_lo
	s_mov_b32 s19, 0
	v_add_co_u32 v4, vcc_lo, v2, s52
	s_wait_alu 0xfffd
	v_add_co_ci_u32_e64 v5, null, s53, v3, vcc_lo
	s_delay_alu instid0(VALU_DEP_2) | instskip(SKIP_1) | instid1(VALU_DEP_2)
	v_add_co_u32 v6, vcc_lo, v4, s52
	s_wait_alu 0xfffd
	v_add_co_ci_u32_e64 v7, null, s53, v5, vcc_lo
	s_clause 0x3
	flat_load_b64 v[8:9], v[0:1] offset:256
	flat_load_b64 v[2:3], v[2:3] offset:256
	;; [unrolled: 1-line block ×4, first 2 shown]
	s_wait_loadcnt_dscnt 0x303
	ds_store_b64 v98, v[8:9]
	s_wait_loadcnt_dscnt 0x203
	ds_store_b64 v98, v[2:3] offset:2112
	s_wait_loadcnt_dscnt 0x103
	ds_store_b64 v98, v[4:5] offset:4224
	;; [unrolled: 2-line block ×3, first 2 shown]
.LBB184_35:                             ;   in Loop: Header=BB184_4 Depth=1
	v_add_co_u32 v2, vcc_lo, 0x100, v0
	s_wait_alu 0xfffd
	v_add_co_ci_u32_e64 v3, null, 0, v1, vcc_lo
	s_and_not1_b32 vcc_lo, exec_lo, s19
	s_wait_alu 0xfffe
	s_cbranch_vccnz .LBB184_47
; %bb.36:                               ;   in Loop: Header=BB184_4 Depth=1
	s_and_saveexec_b32 s19, s13
	s_delay_alu instid0(SALU_CYCLE_1)
	s_xor_b32 s19, exec_lo, s19
; %bb.37:                               ;   in Loop: Header=BB184_4 Depth=1
	v_mov_b32_e32 v32, v33
	ds_store_b64 v98, v[32:33]
; %bb.38:                               ;   in Loop: Header=BB184_4 Depth=1
	s_or_saveexec_b32 s19, s19
	v_add_co_u32 v0, vcc_lo, v0, v38
	s_wait_alu 0xfffd
	v_add_co_ci_u32_e64 v1, null, v1, v39, vcc_lo
	s_lshl_b64 s[100:101], s[44:45], 3
	s_wait_alu 0xfffe
	v_add_co_u32 v0, vcc_lo, v0, s100
	s_wait_alu 0xfffd
	v_add_co_ci_u32_e64 v1, null, s101, v1, vcc_lo
	s_delay_alu instid0(VALU_DEP_2) | instskip(SKIP_1) | instid1(VALU_DEP_2)
	v_add_co_u32 v0, vcc_lo, v0, -8
	s_wait_alu 0xfffd
	v_add_co_ci_u32_e64 v1, null, -1, v1, vcc_lo
	s_delay_alu instid0(VALU_DEP_2) | instskip(NEXT) | instid1(VALU_DEP_2)
	v_cndmask_b32_e64 v0, v0, v2, s12
	v_cndmask_b32_e64 v1, v1, v3, s12
	s_xor_b32 exec_lo, exec_lo, s19
	s_cbranch_execnz .LBB184_93
; %bb.39:                               ;   in Loop: Header=BB184_4 Depth=1
	s_or_b32 exec_lo, exec_lo, s19
	s_and_saveexec_b32 s19, s14
	s_delay_alu instid0(SALU_CYCLE_1)
	s_xor_b32 s19, exec_lo, s19
	s_cbranch_execnz .LBB184_94
.LBB184_40:                             ;   in Loop: Header=BB184_4 Depth=1
	s_and_not1_saveexec_b32 s19, s19
	s_cbranch_execnz .LBB184_95
.LBB184_41:                             ;   in Loop: Header=BB184_4 Depth=1
	s_or_b32 exec_lo, exec_lo, s19
	s_and_saveexec_b32 s19, s15
	s_delay_alu instid0(SALU_CYCLE_1)
	s_xor_b32 s19, exec_lo, s19
	s_cbranch_execnz .LBB184_96
.LBB184_42:                             ;   in Loop: Header=BB184_4 Depth=1
	s_and_not1_saveexec_b32 s19, s19
	s_cbranch_execnz .LBB184_97
.LBB184_43:                             ;   in Loop: Header=BB184_4 Depth=1
	s_or_b32 exec_lo, exec_lo, s19
	s_and_saveexec_b32 s19, s16
	s_delay_alu instid0(SALU_CYCLE_1)
	s_xor_b32 s19, exec_lo, s19
	s_cbranch_execnz .LBB184_98
.LBB184_44:                             ;   in Loop: Header=BB184_4 Depth=1
	s_and_not1_saveexec_b32 s19, s19
	s_cbranch_execz .LBB184_46
.LBB184_45:                             ;   in Loop: Header=BB184_4 Depth=1
	v_add_co_u32 v4, vcc_lo, v0, s56
	s_wait_alu 0xfffd
	v_add_co_ci_u32_e64 v5, null, s57, v1, vcc_lo
	flat_load_b64 v[4:5], v[4:5]
	s_wait_loadcnt_dscnt 0x0
	ds_store_b64 v98, v[4:5] offset:6336
.LBB184_46:                             ;   in Loop: Header=BB184_4 Depth=1
	s_or_b32 exec_lo, exec_lo, s19
	v_add_co_u32 v0, vcc_lo, v0, v103
	s_wait_alu 0xfffd
	v_add_co_ci_u32_e64 v1, null, 0, v1, vcc_lo
	s_lshl_b64 s[100:101], s[60:61], 3
	s_wait_alu 0xfffe
	v_add_co_u32 v0, vcc_lo, v0, s100
	s_wait_alu 0xfffd
	v_add_co_ci_u32_e64 v1, null, s101, v1, vcc_lo
	s_delay_alu instid0(VALU_DEP_2) | instskip(SKIP_1) | instid1(VALU_DEP_2)
	v_add_co_u32 v0, vcc_lo, 0x108, v0
	s_wait_alu 0xfffd
	v_add_co_ci_u32_e64 v1, null, 0, v1, vcc_lo
	s_delay_alu instid0(VALU_DEP_2) | instskip(NEXT) | instid1(VALU_DEP_2)
	v_cndmask_b32_e64 v2, v0, v2, s12
	v_cndmask_b32_e64 v3, v1, v3, s12
.LBB184_47:                             ;   in Loop: Header=BB184_4 Depth=1
	s_wait_loadcnt_dscnt 0x0
	s_barrier_signal -1
	s_barrier_wait -1
	global_inv scope:SCOPE_SE
	s_and_saveexec_b32 s19, s7
	s_cbranch_execnz .LBB184_84
; %bb.48:                               ;   in Loop: Header=BB184_4 Depth=1
	s_or_b32 exec_lo, exec_lo, s19
	s_and_saveexec_b32 s19, s8
	s_cbranch_execnz .LBB184_85
.LBB184_49:                             ;   in Loop: Header=BB184_4 Depth=1
	s_or_b32 exec_lo, exec_lo, s19
	s_and_saveexec_b32 s19, s9
	s_cbranch_execnz .LBB184_86
.LBB184_50:                             ;   in Loop: Header=BB184_4 Depth=1
	s_or_b32 exec_lo, exec_lo, s19
	s_and_saveexec_b32 s19, s10
	s_cbranch_execz .LBB184_52
.LBB184_51:                             ;   in Loop: Header=BB184_4 Depth=1
	ds_load_b64 v[0:1], v100 offset:528
	s_wait_dscnt 0x0
	ds_store_b64 v85, v[0:1] offset:24
.LBB184_52:                             ;   in Loop: Header=BB184_4 Depth=1
	s_or_b32 exec_lo, exec_lo, s19
	s_wait_loadcnt_dscnt 0x0
	s_barrier_signal -1
	s_barrier_wait -1
	global_inv scope:SCOPE_SE
	ds_load_b64 v[0:1], v99
	ds_load_b128 v[4:7], v87 offset:256
	ds_load_2addr_b64 v[8:11], v100 offset1:33
	ds_load_b128 v[12:15], v87 offset:272
	ds_load_b64 v[18:19], v100 offset:528
	s_wait_loadcnt_dscnt 0x0
	s_barrier_signal -1
	s_barrier_wait -1
	global_inv scope:SCOPE_SE
	v_mul_f32_e32 v20, v5, v1
	v_dual_mul_f32 v1, v4, v1 :: v_dual_mul_f32 v22, v13, v11
	v_mul_f32_e32 v11, v12, v11
	s_delay_alu instid0(VALU_DEP_3) | instskip(SKIP_3) | instid1(VALU_DEP_4)
	v_fma_f32 v4, v4, v0, -v20
	v_mul_f32_e32 v21, v7, v9
	v_mul_f32_e32 v9, v6, v9
	v_dual_fmac_f32 v1, v5, v0 :: v_dual_mul_f32 v0, v15, v19
	v_add_f32_e32 v4, 0, v4
	s_delay_alu instid0(VALU_DEP_4) | instskip(NEXT) | instid1(VALU_DEP_4)
	v_fma_f32 v5, v6, v8, -v21
	v_dual_fmac_f32 v9, v7, v8 :: v_dual_mul_f32 v6, v14, v19
	s_delay_alu instid0(VALU_DEP_4) | instskip(SKIP_1) | instid1(VALU_DEP_4)
	v_add_f32_e32 v1, 0, v1
	v_fma_f32 v7, v12, v10, -v22
	v_dual_add_f32 v4, v4, v5 :: v_dual_fmac_f32 v11, v13, v10
	v_fma_f32 v0, v14, v18, -v0
	v_fmac_f32_e32 v6, v15, v18
	s_delay_alu instid0(VALU_DEP_3) | instskip(NEXT) | instid1(VALU_DEP_1)
	v_dual_add_f32 v4, v4, v7 :: v_dual_add_f32 v1, v1, v9
	v_dual_add_f32 v0, v4, v0 :: v_dual_add_f32 v1, v1, v11
	s_delay_alu instid0(VALU_DEP_1)
	v_add_f32_e32 v1, v1, v6
	ds_store_b64 v88, v[0:1]
	s_wait_loadcnt_dscnt 0x0
	s_barrier_signal -1
	s_barrier_wait -1
	global_inv scope:SCOPE_SE
	s_and_saveexec_b32 s19, s17
	s_cbranch_execz .LBB184_54
; %bb.53:                               ;   in Loop: Header=BB184_4 Depth=1
	ds_load_2addr_b64 v[4:7], v86 offset1:7
	ds_load_2addr_b64 v[8:11], v86 offset0:1 offset1:2
	ds_load_2addr_b64 v[12:15], v86 offset0:3 offset1:4
	ds_load_2addr_b64 v[18:21], v86 offset0:5 offset1:6
	s_wait_dscnt 0x2
	v_dual_add_f32 v0, v8, v4 :: v_dual_add_f32 v1, v9, v5
	s_delay_alu instid0(VALU_DEP_1) | instskip(SKIP_1) | instid1(VALU_DEP_1)
	v_dual_add_f32 v0, v10, v0 :: v_dual_add_f32 v1, v11, v1
	s_wait_dscnt 0x1
	v_dual_add_f32 v0, v0, v12 :: v_dual_add_f32 v1, v1, v13
	s_delay_alu instid0(VALU_DEP_1) | instskip(SKIP_1) | instid1(VALU_DEP_1)
	v_dual_add_f32 v0, v0, v14 :: v_dual_add_f32 v1, v1, v15
	s_wait_dscnt 0x0
	v_dual_add_f32 v0, v0, v18 :: v_dual_add_f32 v1, v1, v19
	s_delay_alu instid0(VALU_DEP_1) | instskip(NEXT) | instid1(VALU_DEP_1)
	v_dual_add_f32 v0, v0, v20 :: v_dual_add_f32 v1, v1, v21
	v_dual_add_f32 v46, v0, v6 :: v_dual_add_f32 v47, v1, v7
.LBB184_54:                             ;   in Loop: Header=BB184_4 Depth=1
	s_or_b32 exec_lo, exec_lo, s19
	v_add_co_u32 v18, vcc_lo, v2, s94
	s_wait_alu 0xfffd
	v_add_co_ci_u32_e64 v19, null, s95, v3, vcc_lo
	s_and_not1_b32 vcc_lo, exec_lo, s102
	s_mov_b32 s19, -1
	s_wait_loadcnt 0x0
	s_barrier_signal -1
	s_barrier_wait -1
	global_inv scope:SCOPE_SE
	s_wait_alu 0xfffe
	s_cbranch_vccnz .LBB184_56
; %bb.55:                               ;   in Loop: Header=BB184_4 Depth=1
	v_add_co_u32 v0, vcc_lo, v18, s52
	s_wait_alu 0xfffd
	v_add_co_ci_u32_e64 v1, null, s53, v19, vcc_lo
	s_mov_b32 s19, 0
	v_add_co_u32 v2, vcc_lo, v0, s52
	s_wait_alu 0xfffd
	v_add_co_ci_u32_e64 v3, null, s53, v1, vcc_lo
	s_delay_alu instid0(VALU_DEP_2) | instskip(SKIP_1) | instid1(VALU_DEP_2)
	v_add_co_u32 v4, vcc_lo, v2, s52
	s_wait_alu 0xfffd
	v_add_co_ci_u32_e64 v5, null, s53, v3, vcc_lo
	s_clause 0x3
	flat_load_b64 v[6:7], v[18:19]
	flat_load_b64 v[0:1], v[0:1]
	flat_load_b64 v[2:3], v[2:3]
	flat_load_b64 v[4:5], v[4:5]
	s_wait_loadcnt_dscnt 0x303
	ds_store_b64 v98, v[6:7]
	s_wait_loadcnt_dscnt 0x203
	ds_store_b64 v98, v[0:1] offset:2112
	s_wait_loadcnt_dscnt 0x103
	ds_store_b64 v98, v[2:3] offset:4224
	;; [unrolled: 2-line block ×3, first 2 shown]
.LBB184_56:                             ;   in Loop: Header=BB184_4 Depth=1
	s_and_not1_b32 vcc_lo, exec_lo, s19
	s_wait_alu 0xfffe
	s_cbranch_vccnz .LBB184_68
; %bb.57:                               ;   in Loop: Header=BB184_4 Depth=1
	s_and_saveexec_b32 s19, s3
	s_delay_alu instid0(SALU_CYCLE_1)
	s_xor_b32 s19, exec_lo, s19
; %bb.58:                               ;   in Loop: Header=BB184_4 Depth=1
	v_mov_b32_e32 v32, v33
	ds_store_b64 v98, v[32:33]
; %bb.59:                               ;   in Loop: Header=BB184_4 Depth=1
	s_or_saveexec_b32 s19, s19
	v_add_co_u32 v0, vcc_lo, v18, v38
	s_wait_alu 0xfffd
	v_add_co_ci_u32_e64 v1, null, v19, v39, vcc_lo
	s_lshl_b64 s[100:101], s[44:45], 3
	s_wait_alu 0xfffe
	v_add_co_u32 v0, vcc_lo, v0, s100
	s_wait_alu 0xfffd
	v_add_co_ci_u32_e64 v1, null, s101, v1, vcc_lo
	s_delay_alu instid0(VALU_DEP_2) | instskip(SKIP_1) | instid1(VALU_DEP_2)
	v_add_co_u32 v0, vcc_lo, 0xfffffef8, v0
	s_wait_alu 0xfffd
	v_add_co_ci_u32_e64 v1, null, -1, v1, vcc_lo
	s_delay_alu instid0(VALU_DEP_2) | instskip(NEXT) | instid1(VALU_DEP_2)
	v_cndmask_b32_e64 v0, v0, v18, s12
	v_cndmask_b32_e64 v1, v1, v19, s12
	s_xor_b32 exec_lo, exec_lo, s19
	s_cbranch_execnz .LBB184_99
; %bb.60:                               ;   in Loop: Header=BB184_4 Depth=1
	s_or_b32 exec_lo, exec_lo, s19
	s_and_saveexec_b32 s19, s4
	s_delay_alu instid0(SALU_CYCLE_1)
	s_xor_b32 s19, exec_lo, s19
	s_cbranch_execnz .LBB184_100
.LBB184_61:                             ;   in Loop: Header=BB184_4 Depth=1
	s_and_not1_saveexec_b32 s19, s19
	s_cbranch_execnz .LBB184_101
.LBB184_62:                             ;   in Loop: Header=BB184_4 Depth=1
	s_or_b32 exec_lo, exec_lo, s19
	s_and_saveexec_b32 s19, s5
	s_delay_alu instid0(SALU_CYCLE_1)
	s_xor_b32 s19, exec_lo, s19
	s_cbranch_execnz .LBB184_102
.LBB184_63:                             ;   in Loop: Header=BB184_4 Depth=1
	s_and_not1_saveexec_b32 s19, s19
	s_cbranch_execnz .LBB184_103
.LBB184_64:                             ;   in Loop: Header=BB184_4 Depth=1
	s_or_b32 exec_lo, exec_lo, s19
	s_and_saveexec_b32 s19, s6
	s_delay_alu instid0(SALU_CYCLE_1)
	s_xor_b32 s19, exec_lo, s19
	s_cbranch_execnz .LBB184_104
.LBB184_65:                             ;   in Loop: Header=BB184_4 Depth=1
	s_and_not1_saveexec_b32 s19, s19
	s_cbranch_execz .LBB184_67
.LBB184_66:                             ;   in Loop: Header=BB184_4 Depth=1
	v_add_co_u32 v2, vcc_lo, v0, s56
	s_wait_alu 0xfffd
	v_add_co_ci_u32_e64 v3, null, s57, v1, vcc_lo
	flat_load_b64 v[2:3], v[2:3]
	s_wait_loadcnt_dscnt 0x0
	ds_store_b64 v98, v[2:3] offset:6336
.LBB184_67:                             ;   in Loop: Header=BB184_4 Depth=1
	s_or_b32 exec_lo, exec_lo, s19
	v_add_co_u32 v0, vcc_lo, v0, v103
	s_wait_alu 0xfffd
	v_add_co_ci_u32_e64 v1, null, 0, v1, vcc_lo
	s_lshl_b64 s[100:101], s[60:61], 3
	s_wait_alu 0xfffe
	v_add_co_u32 v0, vcc_lo, v0, s100
	s_wait_alu 0xfffd
	v_add_co_ci_u32_e64 v1, null, s101, v1, vcc_lo
	s_delay_alu instid0(VALU_DEP_2) | instskip(SKIP_1) | instid1(VALU_DEP_2)
	v_add_co_u32 v0, vcc_lo, 0x108, v0
	s_wait_alu 0xfffd
	v_add_co_ci_u32_e64 v1, null, 0, v1, vcc_lo
	s_delay_alu instid0(VALU_DEP_2) | instskip(NEXT) | instid1(VALU_DEP_2)
	v_cndmask_b32_e64 v18, v0, v18, s12
	v_cndmask_b32_e64 v19, v1, v19, s12
.LBB184_68:                             ;   in Loop: Header=BB184_4 Depth=1
	s_wait_loadcnt_dscnt 0x0
	s_barrier_signal -1
	s_barrier_wait -1
	global_inv scope:SCOPE_SE
	ds_load_b64 v[24:25], v101
	ds_load_b64 v[26:27], v98
	ds_load_b64 v[28:29], v98 offset:2112
	ds_load_2addr_b64 v[20:23], v97 offset0:8 offset1:16
	ds_load_b64 v[30:31], v98 offset:6336
	ds_load_b64 v[48:49], v98 offset:4224
	;; [unrolled: 1-line block ×3, first 2 shown]
	ds_load_b128 v[8:11], v87 offset:256
	ds_load_b128 v[0:3], v87 offset:272
	ds_load_2addr_b64 v[12:15], v89 offset1:1
	ds_load_2addr_b64 v[4:7], v89 offset0:2 offset1:3
	s_wait_loadcnt_dscnt 0x0
	s_barrier_signal -1
	s_barrier_wait -1
	global_inv scope:SCOPE_SE
	v_mul_f32_e32 v32, v25, v27
	v_dual_mul_f32 v27, v24, v27 :: v_dual_mul_f32 v52, v21, v29
	v_mul_f32_e32 v29, v20, v29
	v_mul_f32_e32 v53, v23, v49
	;; [unrolled: 1-line block ×3, first 2 shown]
	v_fma_f32 v24, v24, v26, -v32
	v_dual_fmac_f32 v27, v25, v26 :: v_dual_mul_f32 v26, v50, v31
	v_mul_f32_e32 v25, v22, v49
	v_fma_f32 v20, v20, v28, -v52
	v_fmac_f32_e32 v29, v21, v28
	v_fma_f32 v22, v22, v48, -v53
	v_dual_add_f32 v21, 0, v24 :: v_dual_add_f32 v24, 0, v27
	v_fmac_f32_e32 v26, v51, v30
	s_delay_alu instid0(VALU_DEP_2) | instskip(NEXT) | instid1(VALU_DEP_1)
	v_dual_add_f32 v20, v21, v20 :: v_dual_add_f32 v21, v24, v29
	v_dual_add_f32 v20, v20, v22 :: v_dual_fmac_f32 v25, v23, v48
	v_fma_f32 v23, v50, v30, -v54
	s_delay_alu instid0(VALU_DEP_1) | instskip(NEXT) | instid1(VALU_DEP_1)
	v_dual_add_f32 v20, v20, v23 :: v_dual_add_f32 v21, v21, v25
	v_add_f32_e32 v21, v21, v26
	ds_store_b64 v88, v[20:21]
	s_wait_loadcnt_dscnt 0x0
	s_barrier_signal -1
	s_barrier_wait -1
	global_inv scope:SCOPE_SE
	s_and_saveexec_b32 s19, s17
	s_cbranch_execz .LBB184_70
; %bb.69:                               ;   in Loop: Header=BB184_4 Depth=1
	ds_load_2addr_b64 v[20:23], v86 offset1:1
	ds_load_2addr_b64 v[24:27], v86 offset0:2 offset1:3
	ds_load_2addr_b64 v[28:31], v86 offset0:4 offset1:5
	s_wait_dscnt 0x2
	v_dual_add_f32 v20, v46, v20 :: v_dual_add_f32 v21, v47, v21
	s_delay_alu instid0(VALU_DEP_1) | instskip(NEXT) | instid1(VALU_DEP_2)
	v_add_f32_e32 v46, v21, v23
	v_add_f32_e32 v32, v20, v22
	ds_load_2addr_b64 v[20:23], v86 offset0:6 offset1:7
	s_wait_dscnt 0x2
	v_dual_add_f32 v25, v46, v25 :: v_dual_add_f32 v24, v32, v24
	s_delay_alu instid0(VALU_DEP_1) | instskip(SKIP_1) | instid1(VALU_DEP_1)
	v_dual_add_f32 v25, v25, v27 :: v_dual_add_f32 v24, v24, v26
	s_wait_dscnt 0x1
	v_dual_add_f32 v25, v25, v29 :: v_dual_add_f32 v24, v24, v28
	s_delay_alu instid0(VALU_DEP_1) | instskip(SKIP_1) | instid1(VALU_DEP_1)
	v_dual_add_f32 v25, v25, v31 :: v_dual_add_f32 v24, v24, v30
	s_wait_dscnt 0x0
	v_dual_add_f32 v21, v25, v21 :: v_dual_add_f32 v20, v24, v20
	s_delay_alu instid0(VALU_DEP_1)
	v_dual_add_f32 v47, v21, v23 :: v_dual_add_f32 v46, v20, v22
.LBB184_70:                             ;   in Loop: Header=BB184_4 Depth=1
	s_or_b32 exec_lo, exec_lo, s19
	v_dual_mul_f32 v20, v9, v13 :: v_dual_mul_f32 v21, v11, v15
	v_mul_f32_e32 v13, v8, v13
	v_dual_mul_f32 v15, v10, v15 :: v_dual_mul_f32 v22, v1, v5
	s_delay_alu instid0(VALU_DEP_3) | instskip(NEXT) | instid1(VALU_DEP_4)
	v_fma_f32 v8, v8, v12, -v20
	v_fma_f32 v10, v10, v14, -v21
	v_mul_f32_e32 v5, v0, v5
	s_delay_alu instid0(VALU_DEP_4)
	v_fmac_f32_e32 v15, v11, v14
	v_fma_f32 v0, v0, v4, -v22
	v_add_f32_e32 v8, 0, v8
	v_fmac_f32_e32 v13, v9, v12
	v_fmac_f32_e32 v5, v1, v4
	s_wait_loadcnt 0x0
	s_barrier_signal -1
	v_dual_add_f32 v8, v8, v10 :: v_dual_mul_f32 v9, v3, v7
	v_mul_f32_e32 v7, v2, v7
	s_barrier_wait -1
	global_inv scope:SCOPE_SE
	v_add_f32_e32 v0, v8, v0
	v_fma_f32 v2, v2, v6, -v9
	v_add_f32_e32 v11, 0, v13
	v_fmac_f32_e32 v7, v3, v6
	s_delay_alu instid0(VALU_DEP_2) | instskip(NEXT) | instid1(VALU_DEP_1)
	v_dual_add_f32 v0, v0, v2 :: v_dual_add_f32 v1, v11, v15
	v_add_f32_e32 v1, v1, v5
	s_delay_alu instid0(VALU_DEP_1)
	v_add_f32_e32 v1, v1, v7
	ds_store_b64 v88, v[0:1]
	s_wait_loadcnt_dscnt 0x0
	s_barrier_signal -1
	s_barrier_wait -1
	global_inv scope:SCOPE_SE
	s_and_saveexec_b32 s19, s11
	s_cbranch_execz .LBB184_72
; %bb.71:                               ;   in Loop: Header=BB184_4 Depth=1
	ds_load_2addr_b64 v[0:3], v86 offset1:1
	ds_load_2addr_b64 v[4:7], v86 offset0:2 offset1:3
	ds_load_2addr_b64 v[8:11], v86 offset0:4 offset1:5
	s_wait_dscnt 0x2
	v_dual_add_f32 v0, v46, v0 :: v_dual_add_f32 v1, v47, v1
	s_delay_alu instid0(VALU_DEP_1) | instskip(SKIP_3) | instid1(VALU_DEP_1)
	v_dual_add_f32 v12, v0, v2 :: v_dual_add_f32 v13, v1, v3
	ds_load_2addr_b64 v[0:3], v86 offset0:6 offset1:7
	s_wait_dscnt 0x2
	v_dual_add_f32 v4, v12, v4 :: v_dual_add_f32 v5, v13, v5
	v_dual_add_f32 v4, v4, v6 :: v_dual_add_f32 v5, v5, v7
	s_wait_dscnt 0x1
	s_delay_alu instid0(VALU_DEP_1) | instskip(NEXT) | instid1(VALU_DEP_1)
	v_dual_add_f32 v4, v4, v8 :: v_dual_add_f32 v5, v5, v9
	v_dual_add_f32 v4, v4, v10 :: v_dual_add_f32 v5, v5, v11
	s_wait_dscnt 0x0
	s_delay_alu instid0(VALU_DEP_1) | instskip(NEXT) | instid1(VALU_DEP_1)
	v_dual_add_f32 v0, v4, v0 :: v_dual_add_f32 v1, v5, v1
	v_dual_add_f32 v46, v0, v2 :: v_dual_add_f32 v47, v1, v3
.LBB184_72:                             ;   in Loop: Header=BB184_4 Depth=1
	s_or_b32 exec_lo, exec_lo, s19
	s_mul_u64 s[100:101], s[46:47], s[34:35]
	s_and_not1_b32 vcc_lo, exec_lo, s103
	s_wait_alu 0xfffe
	s_lshl_b64 s[100:101], s[100:101], 3
	s_wait_loadcnt 0x0
	s_wait_alu 0xfffe
	s_add_nc_u64 s[100:101], s[48:49], s[100:101]
	s_barrier_signal -1
	s_barrier_wait -1
	global_inv scope:SCOPE_SE
	s_cbranch_vccnz .LBB184_79
; %bb.73:                               ;   in Loop: Header=BB184_4 Depth=1
	v_add_co_u32 v0, vcc_lo, v18, s98
	s_wait_alu 0xfffd
	v_add_co_ci_u32_e64 v1, null, s99, v19, vcc_lo
	v_lshlrev_b32_e32 v2, 3, v82
	s_delay_alu instid0(VALU_DEP_3) | instskip(SKIP_1) | instid1(VALU_DEP_3)
	v_add_co_u32 v0, vcc_lo, v0, v40
	s_wait_alu 0xfffd
	v_add_co_ci_u32_e64 v1, null, v1, v41, vcc_lo
	s_mov_b32 s19, ttmp9
	v_add_co_u32 v0, vcc_lo, v0, v42
	s_wait_alu 0xfffd
	v_add_co_ci_u32_e64 v1, null, v1, v43, vcc_lo
	s_lshl_b64 vcc, s[44:45], 3
	s_mov_b32 s42, 0
	s_wait_alu 0xfffe
	v_add_co_u32 v3, vcc_lo, v0, vcc_lo
	s_wait_alu 0xfffd
	v_add_co_ci_u32_e64 v4, null, vcc_hi, v1, vcc_lo
	v_add_co_u32 v0, vcc_lo, v0, v2
	s_wait_alu 0xfffd
	v_add_co_ci_u32_e64 v1, null, 0, v1, vcc_lo
	v_add_co_u32 v2, vcc_lo, 0xfffffef8, v3
	s_wait_alu 0xfffd
	v_add_co_ci_u32_e64 v3, null, -1, v4, vcc_lo
	v_add_co_u32 v0, vcc_lo, 0xffffff00, v0
	s_wait_alu 0xfffd
	v_add_co_ci_u32_e64 v1, null, -1, v1, vcc_lo
	v_add_co_u32 v104, vcc_lo, v16, s96
	s_wait_alu 0xfffd
	v_add_co_ci_u32_e64 v105, null, s97, v17, vcc_lo
	s_delay_alu instid0(VALU_DEP_3)
	v_cndmask_b32_e64 v49, v1, v3, s1
	v_cndmask_b32_e64 v48, v0, v2, s1
	s_branch .LBB184_75
.LBB184_74:                             ;   in Loop: Header=BB184_75 Depth=2
	s_or_b32 exec_lo, exec_lo, s35
	v_mul_f32_e32 v32, v5, v51
	v_dual_mul_f32 v5, v5, v50 :: v_dual_mul_f32 v106, v7, v57
	v_mul_f32_e32 v7, v7, v56
	v_mul_f32_e32 v107, v1, v55
	s_delay_alu instid0(VALU_DEP_4) | instskip(SKIP_3) | instid1(VALU_DEP_4)
	v_fma_f32 v32, v4, v50, -v32
	v_mul_f32_e32 v1, v1, v54
	v_fma_f32 v56, v6, v56, -v106
	v_dual_mul_f32 v50, v3, v53 :: v_dual_fmac_f32 v5, v4, v51
	v_add_f32_e32 v32, v46, v32
	v_fma_f32 v4, v0, v54, -v107
	v_dual_mul_f32 v3, v3, v52 :: v_dual_mul_f32 v46, v13, v65
	v_fmac_f32_e32 v1, v0, v55
	s_delay_alu instid0(VALU_DEP_4) | instskip(SKIP_2) | instid1(VALU_DEP_3)
	v_dual_add_f32 v32, v32, v56 :: v_dual_mul_f32 v51, v15, v63
	v_fmac_f32_e32 v7, v6, v57
	v_fma_f32 v6, v2, v52, -v50
	v_dual_fmac_f32 v3, v2, v53 :: v_dual_add_f32 v4, v32, v4
	v_mul_f32_e32 v13, v13, v64
	v_add_co_u32 v48, vcc_lo, v48, s66
	s_wait_alu 0xfffd
	v_add_co_ci_u32_e64 v49, null, s67, v49, vcc_lo
	v_add_f32_e32 v4, v4, v6
	v_mul_f32_e32 v6, v9, v61
	v_add_f32_e32 v5, v47, v5
	v_mul_f32_e32 v15, v15, v62
	v_fmac_f32_e32 v13, v12, v65
	s_add_co_i32 s19, s19, -1
	s_wait_alu 0xfffe
	s_add_co_i32 s42, s42, 64
	v_add_f32_e32 v0, v5, v7
	v_fma_f32 v5, v12, v64, -v46
	v_fmac_f32_e32 v15, v14, v63
	s_cmp_eq_u32 s19, 0
	s_wait_loadcnt 0x0
	s_wait_storecnt 0x0
	v_add_f32_e32 v0, v0, v1
	v_fma_f32 v1, v14, v62, -v51
	v_add_f32_e32 v2, v4, v5
	v_mul_f32_e32 v4, v11, v59
	s_barrier_signal -1
	v_add_f32_e32 v0, v0, v3
	v_fma_f32 v3, v8, v60, -v6
	v_dual_add_f32 v1, v2, v1 :: v_dual_mul_f32 v2, v9, v60
	v_fma_f32 v4, v10, v58, -v4
	s_barrier_wait -1
	global_inv scope:SCOPE_SE
	v_dual_add_f32 v1, v1, v3 :: v_dual_fmac_f32 v2, v8, v61
	v_mul_f32_e32 v5, v11, v58
	s_delay_alu instid0(VALU_DEP_2) | instskip(NEXT) | instid1(VALU_DEP_2)
	v_dual_add_f32 v1, v1, v4 :: v_dual_mul_f32 v4, v19, v71
	v_dual_add_f32 v0, v0, v13 :: v_dual_fmac_f32 v5, v10, v59
	s_delay_alu instid0(VALU_DEP_1) | instskip(NEXT) | instid1(VALU_DEP_1)
	v_dual_add_f32 v0, v0, v15 :: v_dual_mul_f32 v3, v17, v73
	v_add_f32_e32 v0, v0, v2
	s_delay_alu instid0(VALU_DEP_2) | instskip(SKIP_1) | instid1(VALU_DEP_2)
	v_fma_f32 v3, v16, v72, -v3
	v_mul_f32_e32 v2, v17, v72
	v_dual_add_f32 v0, v0, v5 :: v_dual_add_f32 v1, v1, v3
	v_fma_f32 v3, v18, v70, -v4
	v_dual_mul_f32 v4, v21, v69 :: v_dual_mul_f32 v5, v19, v70
	s_delay_alu instid0(VALU_DEP_2) | instskip(NEXT) | instid1(VALU_DEP_2)
	v_dual_fmac_f32 v2, v16, v73 :: v_dual_add_f32 v1, v1, v3
	v_fma_f32 v3, v20, v68, -v4
	v_mul_f32_e32 v4, v23, v67
	s_delay_alu instid0(VALU_DEP_3) | instskip(SKIP_1) | instid1(VALU_DEP_4)
	v_dual_add_f32 v0, v0, v2 :: v_dual_fmac_f32 v5, v18, v71
	v_mul_f32_e32 v2, v21, v68
	v_add_f32_e32 v1, v1, v3
	s_delay_alu instid0(VALU_DEP_4) | instskip(SKIP_2) | instid1(VALU_DEP_3)
	v_fma_f32 v3, v22, v66, -v4
	v_mul_f32_e32 v4, v25, v81
	v_dual_add_f32 v0, v0, v5 :: v_dual_mul_f32 v5, v23, v66
	v_dual_fmac_f32 v2, v20, v69 :: v_dual_add_f32 v1, v1, v3
	v_mul_f32_e32 v3, v27, v79
	s_delay_alu instid0(VALU_DEP_2) | instskip(SKIP_2) | instid1(VALU_DEP_2)
	v_dual_fmac_f32 v5, v22, v67 :: v_dual_add_f32 v0, v0, v2
	v_fma_f32 v2, v24, v80, -v4
	v_mul_f32_e32 v4, v25, v80
	v_add_f32_e32 v1, v1, v2
	v_fma_f32 v2, v26, v78, -v3
	v_dual_add_f32 v0, v0, v5 :: v_dual_mul_f32 v3, v27, v78
	s_delay_alu instid0(VALU_DEP_2) | instskip(NEXT) | instid1(VALU_DEP_2)
	v_dual_fmac_f32 v4, v24, v81 :: v_dual_add_f32 v1, v1, v2
	v_dual_mul_f32 v2, v29, v76 :: v_dual_fmac_f32 v3, v26, v79
	s_delay_alu instid0(VALU_DEP_2) | instskip(NEXT) | instid1(VALU_DEP_1)
	v_dual_mul_f32 v5, v29, v77 :: v_dual_add_f32 v0, v0, v4
	v_fma_f32 v4, v28, v76, -v5
	v_mul_f32_e32 v5, v31, v75
	v_mul_f32_e32 v6, v31, v74
	v_fmac_f32_e32 v2, v28, v77
	s_delay_alu instid0(VALU_DEP_4) | instskip(NEXT) | instid1(VALU_DEP_4)
	v_dual_add_f32 v0, v0, v3 :: v_dual_add_f32 v1, v1, v4
	v_fma_f32 v3, v30, v74, -v5
	s_delay_alu instid0(VALU_DEP_4) | instskip(NEXT) | instid1(VALU_DEP_3)
	v_fmac_f32_e32 v6, v30, v75
	v_add_f32_e32 v0, v0, v2
	s_delay_alu instid0(VALU_DEP_1)
	v_dual_add_f32 v46, v1, v3 :: v_dual_add_f32 v47, v0, v6
	s_cbranch_scc1 .LBB184_79
.LBB184_75:                             ;   Parent Loop BB184_4 Depth=1
                                        ; =>  This Inner Loop Header: Depth=2
	s_and_saveexec_b32 s35, s0
	s_cbranch_execz .LBB184_77
; %bb.76:                               ;   in Loop: Header=BB184_75 Depth=2
	s_wait_alu 0xfffe
	s_mul_u64 vcc, s[40:41], s[42:43]
	s_wait_alu 0xfffe
	s_lshl_b64 vcc, vcc, 3
	s_wait_alu 0xfffe
	v_add_co_u32 v0, vcc_lo, v104, vcc_lo
	s_wait_alu 0xfffd
	v_add_co_ci_u32_e64 v1, null, vcc_hi, v105, vcc_lo
	flat_load_b64 v[0:1], v[0:1]
	s_wait_loadcnt_dscnt 0x0
	ds_store_b64 v90, v[0:1]
.LBB184_77:                             ;   in Loop: Header=BB184_75 Depth=2
	s_or_b32 exec_lo, exec_lo, s35
	v_add_co_u32 v0, vcc_lo, v48, s62
	s_wait_alu 0xfffd
	v_add_co_ci_u32_e64 v1, null, s63, v49, vcc_lo
	v_add_co_u32 v2, vcc_lo, v48, s64
	s_wait_loadcnt_dscnt 0x0
	s_barrier_signal -1
	s_barrier_wait -1
	global_inv scope:SCOPE_SE
	flat_load_b64 v[50:51], v[48:49]
	s_wait_alu 0xfffd
	v_add_co_ci_u32_e64 v3, null, s65, v49, vcc_lo
	v_add_co_u32 v4, vcc_lo, v48, s68
	s_wait_alu 0xfffd
	v_add_co_ci_u32_e64 v5, null, s69, v49, vcc_lo
	s_clause 0x2
	flat_load_b64 v[56:57], v[0:1]
	flat_load_b64 v[54:55], v[2:3]
	;; [unrolled: 1-line block ×3, first 2 shown]
	ds_load_b64 v[8:9], v84
	ds_load_b128 v[4:7], v91
	ds_load_b128 v[0:3], v91 offset:16
	v_add_co_u32 v10, vcc_lo, v48, s54
	s_wait_alu 0xfffd
	v_add_co_ci_u32_e64 v11, null, s55, v49, vcc_lo
	v_add_co_u32 v14, vcc_lo, v48, s90
	s_wait_alu 0xfffd
	v_add_co_ci_u32_e64 v15, null, s91, v49, vcc_lo
	s_wait_loadcnt_dscnt 0x302
	v_mul_f32_e32 v13, v9, v50
	v_mul_f32_e32 v12, v9, v51
	s_wait_loadcnt 0x2
	s_delay_alu instid0(VALU_DEP_2)
	v_dual_fmac_f32 v13, v8, v51 :: v_dual_mul_f32 v16, v9, v57
	v_mul_f32_e32 v17, v9, v56
	s_wait_loadcnt 0x1
	v_mul_f32_e32 v18, v9, v55
	v_mul_f32_e32 v19, v9, v54
	s_wait_loadcnt 0x0
	v_mul_f32_e32 v20, v9, v53
	v_mul_f32_e32 v21, v8, v53
	v_fma_f32 v12, v8, v50, -v12
	v_fma_f32 v16, v8, v56, -v16
	v_fmac_f32_e32 v17, v8, v57
	v_fma_f32 v18, v8, v54, -v18
	v_fmac_f32_e32 v19, v8, v55
	;; [unrolled: 2-line block ×3, first 2 shown]
	v_add_co_u32 v8, vcc_lo, v48, s70
	s_wait_alu 0xfffd
	v_add_co_ci_u32_e64 v9, null, s71, v49, vcc_lo
	ds_store_2addr_b64 v92, v[12:13], v[16:17] offset1:67
	ds_store_2addr_b64 v92, v[18:19], v[20:21] offset0:134 offset1:201
	s_wait_dscnt 0x0
	s_barrier_signal -1
	s_barrier_wait -1
	global_inv scope:SCOPE_SE
	ds_load_2addr_b64 v[106:109], v93 offset1:1
	ds_load_2addr_b64 v[110:113], v93 offset0:2 offset1:3
	s_wait_loadcnt_dscnt 0x0
	s_barrier_signal -1
	s_barrier_wait -1
	global_inv scope:SCOPE_SE
	flat_load_b64 v[64:65], v[10:11]
	v_add_co_u32 v10, vcc_lo, v48, s72
	s_wait_alu 0xfffd
	v_add_co_ci_u32_e64 v11, null, s73, v49, vcc_lo
	s_clause 0x2
	flat_load_b64 v[62:63], v[14:15]
	flat_load_b64 v[60:61], v[8:9]
	;; [unrolled: 1-line block ×3, first 2 shown]
	ds_load_b64 v[8:9], v84
	ds_load_b128 v[12:15], v91 offset:128
	v_add_co_u32 v16, vcc_lo, v48, s74
	s_wait_alu 0xfffd
	v_add_co_ci_u32_e64 v17, null, s75, v49, vcc_lo
	v_add_co_u32 v18, vcc_lo, v48, s88
	s_wait_alu 0xfffd
	v_add_co_ci_u32_e64 v19, null, s89, v49, vcc_lo
	v_add_co_u32 v28, vcc_lo, v48, s76
	s_wait_alu 0xfffd
	v_add_co_ci_u32_e64 v29, null, s77, v49, vcc_lo
	s_wait_loadcnt_dscnt 0x301
	v_mul_f32_e32 v10, v9, v65
	v_mul_f32_e32 v21, v9, v64
	s_wait_loadcnt 0x2
	v_mul_f32_e32 v11, v9, v63
	v_mul_f32_e32 v23, v9, v62
	s_wait_loadcnt 0x1
	;; [unrolled: 3-line block ×3, first 2 shown]
	v_dual_mul_f32 v26, v9, v59 :: v_dual_fmac_f32 v21, v8, v65
	v_mul_f32_e32 v27, v8, v59
	v_fma_f32 v20, v8, v64, -v10
	v_fma_f32 v22, v8, v62, -v11
	v_fmac_f32_e32 v23, v8, v63
	v_fma_f32 v24, v8, v60, -v24
	v_fmac_f32_e32 v25, v8, v61
	;; [unrolled: 2-line block ×3, first 2 shown]
	ds_load_b128 v[8:11], v91 offset:144
	ds_store_2addr_b64 v92, v[20:21], v[22:23] offset1:67
	ds_store_2addr_b64 v92, v[24:25], v[26:27] offset0:134 offset1:201
	s_wait_dscnt 0x0
	s_barrier_signal -1
	s_barrier_wait -1
	global_inv scope:SCOPE_SE
	ds_load_2addr_b64 v[114:117], v93 offset1:1
	ds_load_2addr_b64 v[118:121], v93 offset0:2 offset1:3
	s_wait_loadcnt_dscnt 0x0
	s_barrier_signal -1
	s_barrier_wait -1
	global_inv scope:SCOPE_SE
	flat_load_b64 v[72:73], v[16:17]
	v_add_co_u32 v16, vcc_lo, v48, s78
	s_wait_alu 0xfffd
	v_add_co_ci_u32_e64 v17, null, s79, v49, vcc_lo
	s_clause 0x2
	flat_load_b64 v[70:71], v[18:19]
	flat_load_b64 v[68:69], v[28:29]
	flat_load_b64 v[66:67], v[16:17]
	ds_load_b64 v[20:21], v84
	ds_load_b128 v[16:19], v91 offset:256
	v_add_co_u32 v24, vcc_lo, v48, s80
	s_wait_alu 0xfffd
	v_add_co_ci_u32_e64 v25, null, s81, v49, vcc_lo
	v_add_co_u32 v26, vcc_lo, v48, s86
	v_add_f32_e32 v114, 0, v114
	s_wait_alu 0xfffd
	v_add_co_ci_u32_e64 v27, null, s87, v49, vcc_lo
	v_add_co_u32 v130, vcc_lo, v48, s82
	s_delay_alu instid0(VALU_DEP_3)
	v_add_f32_e32 v114, v114, v116
	s_wait_alu 0xfffd
	v_add_co_ci_u32_e64 v131, null, s83, v49, vcc_lo
	s_wait_loadcnt_dscnt 0x301
	v_dual_add_f32 v115, 0, v115 :: v_dual_mul_f32 v22, v21, v73
	v_mul_f32_e32 v29, v21, v72
	s_wait_loadcnt 0x2
	v_mul_f32_e32 v23, v21, v71
	v_mul_f32_e32 v31, v21, v70
	s_wait_loadcnt 0x1
	v_mul_f32_e32 v32, v21, v69
	;; [unrolled: 3-line block ×3, first 2 shown]
	v_mul_f32_e32 v77, v20, v67
	v_fma_f32 v28, v20, v72, -v22
	v_fmac_f32_e32 v29, v20, v73
	v_fma_f32 v30, v20, v70, -v23
	v_fmac_f32_e32 v31, v20, v71
	v_fma_f32 v74, v20, v68, -v32
	v_fmac_f32_e32 v75, v20, v69
	v_fma_f32 v76, v20, v66, -v76
	v_fmac_f32_e32 v77, v21, v66
	ds_load_b128 v[20:23], v91 offset:272
	ds_store_2addr_b64 v92, v[28:29], v[30:31] offset1:67
	ds_store_2addr_b64 v92, v[74:75], v[76:77] offset0:134 offset1:201
	s_wait_dscnt 0x0
	s_barrier_signal -1
	s_barrier_wait -1
	global_inv scope:SCOPE_SE
	ds_load_2addr_b64 v[122:125], v93 offset1:1
	ds_load_2addr_b64 v[126:129], v93 offset0:2 offset1:3
	s_wait_loadcnt_dscnt 0x0
	s_barrier_signal -1
	s_barrier_wait -1
	global_inv scope:SCOPE_SE
	flat_load_b64 v[80:81], v[24:25]
	v_add_co_u32 v24, vcc_lo, v48, s84
	s_wait_alu 0xfffd
	v_add_co_ci_u32_e64 v25, null, s85, v49, vcc_lo
	s_clause 0x2
	flat_load_b64 v[78:79], v[26:27]
	flat_load_b64 v[76:77], v[130:131]
	;; [unrolled: 1-line block ×3, first 2 shown]
	ds_load_b64 v[28:29], v84
	ds_load_b128 v[24:27], v91 offset:384
	s_wait_loadcnt_dscnt 0x301
	v_mul_f32_e32 v30, v29, v81
	v_mul_f32_e32 v131, v29, v80
	s_wait_loadcnt 0x2
	v_mul_f32_e32 v133, v29, v78
	s_wait_loadcnt 0x1
	v_mul_f32_e32 v32, v29, v77
	v_mul_f32_e32 v31, v29, v79
	;; [unrolled: 1-line block ×3, first 2 shown]
	s_wait_loadcnt 0x0
	v_dual_mul_f32 v136, v29, v75 :: v_dual_fmac_f32 v131, v28, v81
	v_fmac_f32_e32 v133, v28, v79
	v_fma_f32 v134, v28, v76, -v32
	v_add_f32_e32 v32, 0, v106
	v_add_f32_e32 v106, 0, v107
	v_mul_f32_e32 v137, v28, v75
	v_fma_f32 v130, v28, v80, -v30
	v_fma_f32 v132, v28, v78, -v31
	v_add_f32_e32 v32, v32, v108
	v_add_f32_e32 v106, v106, v109
	v_fma_f32 v136, v28, v74, -v136
	v_fmac_f32_e32 v137, v29, v74
	s_delay_alu instid0(VALU_DEP_3) | instskip(NEXT) | instid1(VALU_DEP_1)
	v_dual_add_f32 v32, v32, v110 :: v_dual_add_f32 v111, v106, v111
	v_dual_add_f32 v110, v32, v112 :: v_dual_add_f32 v111, v111, v113
	;; [unrolled: 1-line block ×3, first 2 shown]
	v_add_f32_e32 v112, v114, v118
	s_delay_alu instid0(VALU_DEP_2) | instskip(NEXT) | instid1(VALU_DEP_3)
	v_dual_add_f32 v114, 0, v123 :: v_dual_add_f32 v113, v113, v124
	v_add_f32_e32 v32, v32, v119
	s_delay_alu instid0(VALU_DEP_3) | instskip(NEXT) | instid1(VALU_DEP_3)
	v_add_f32_e32 v112, v112, v120
	v_dual_add_f32 v114, v114, v125 :: v_dual_add_f32 v117, v113, v126
	v_fmac_f32_e32 v135, v28, v77
	ds_load_b128 v[28:31], v91 offset:400
	ds_store_2addr_b64 v92, v[130:131], v[132:133] offset1:67
	ds_store_2addr_b64 v92, v[134:135], v[136:137] offset0:134 offset1:201
	s_wait_dscnt 0x0
	s_barrier_signal -1
	s_barrier_wait -1
	global_inv scope:SCOPE_SE
	ds_load_2addr_b64 v[130:133], v93 offset1:1
	ds_load_2addr_b64 v[106:109], v93 offset0:2 offset1:3
	v_dual_add_f32 v114, v114, v127 :: v_dual_add_f32 v113, v32, v121
	s_wait_loadcnt_dscnt 0x0
	s_barrier_signal -1
	s_barrier_wait -1
	global_inv scope:SCOPE_SE
	v_dual_add_f32 v115, 0, v130 :: v_dual_add_f32 v116, 0, v131
	s_delay_alu instid0(VALU_DEP_1) | instskip(NEXT) | instid1(VALU_DEP_1)
	v_dual_add_f32 v115, v115, v132 :: v_dual_add_f32 v116, v116, v133
	v_dual_add_f32 v32, v115, v106 :: v_dual_add_f32 v115, v116, v107
	;; [unrolled: 1-line block ×3, first 2 shown]
	s_delay_alu instid0(VALU_DEP_2)
	v_dual_add_f32 v108, v32, v108 :: v_dual_add_f32 v109, v115, v109
	ds_store_2addr_b64 v102, v[110:111], v[112:113] offset1:16
	ds_store_2addr_b64 v102, v[106:107], v[108:109] offset0:32 offset1:48
	s_wait_loadcnt_dscnt 0x0
	s_barrier_signal -1
	s_barrier_wait -1
	global_inv scope:SCOPE_SE
	s_and_saveexec_b32 s35, s18
	s_cbranch_execz .LBB184_74
; %bb.78:                               ;   in Loop: Header=BB184_75 Depth=2
	ds_load_b64 v[118:119], v94
	ds_load_2addr_b64 v[106:109], v94 offset0:1 offset1:2
	ds_load_2addr_b64 v[110:113], v94 offset0:3 offset1:4
	;; [unrolled: 1-line block ×3, first 2 shown]
	s_wait_dscnt 0x2
	v_add_f32_e32 v32, v106, v118
	v_add_f32_e32 v106, v107, v119
	s_delay_alu instid0(VALU_DEP_2) | instskip(NEXT) | instid1(VALU_DEP_2)
	v_add_f32_e32 v32, v108, v32
	v_add_f32_e32 v118, v109, v106
	ds_load_2addr_b64 v[106:109], v94 offset0:7 offset1:8
	s_wait_dscnt 0x2
	v_add_f32_e32 v32, v32, v110
	v_add_f32_e32 v110, v118, v111
	s_delay_alu instid0(VALU_DEP_2) | instskip(NEXT) | instid1(VALU_DEP_2)
	v_add_f32_e32 v32, v32, v112
	v_add_f32_e32 v118, v110, v113
	ds_load_2addr_b64 v[110:113], v94 offset0:9 offset1:10
	;; [unrolled: 7-line block ×4, first 2 shown]
	s_wait_dscnt 0x2
	v_add_f32_e32 v32, v32, v110
	v_add_f32_e32 v110, v118, v111
	s_delay_alu instid0(VALU_DEP_2) | instskip(NEXT) | instid1(VALU_DEP_2)
	v_add_f32_e32 v32, v32, v112
	v_add_f32_e32 v112, v110, v113
	ds_load_b64 v[110:111], v95
	s_wait_dscnt 0x2
	v_add_f32_e32 v32, v32, v114
	v_add_f32_e32 v112, v112, v115
	s_delay_alu instid0(VALU_DEP_2) | instskip(NEXT) | instid1(VALU_DEP_2)
	v_add_f32_e32 v32, v32, v116
	v_add_f32_e32 v112, v112, v117
	s_wait_dscnt 0x1
	s_delay_alu instid0(VALU_DEP_2) | instskip(SKIP_1) | instid1(VALU_DEP_2)
	v_add_f32_e32 v106, v32, v106
	s_wait_alu 0xfffe
	v_dual_add_f32 v107, v112, v107 :: v_dual_add_nc_u32 v32, s42, v82
	s_delay_alu instid0(VALU_DEP_1) | instskip(NEXT) | instid1(VALU_DEP_2)
	v_dual_add_f32 v108, v106, v108 :: v_dual_add_f32 v109, v107, v109
	v_lshlrev_b64_e32 v[106:107], 3, v[32:33]
	s_wait_dscnt 0x0
	s_delay_alu instid0(VALU_DEP_2) | instskip(NEXT) | instid1(VALU_DEP_2)
	v_dual_add_f32 v108, v108, v110 :: v_dual_add_f32 v109, v109, v111
	v_add_co_u32 v106, vcc_lo, s100, v106
	s_wait_alu 0xfffd
	s_delay_alu instid0(VALU_DEP_3)
	v_add_co_ci_u32_e64 v107, null, s101, v107, vcc_lo
	global_store_b64 v[106:107], v[108:109], off
	s_branch .LBB184_74
.LBB184_79:                             ;   in Loop: Header=BB184_4 Depth=1
	ds_store_b64 v96, v[46:47]
	s_wait_loadcnt_dscnt 0x0
	s_barrier_signal -1
	s_barrier_wait -1
	global_inv scope:SCOPE_SE
	s_and_saveexec_b32 s19, s104
	s_cbranch_execz .LBB184_2
; %bb.80:                               ;   in Loop: Header=BB184_4 Depth=1
	ds_load_2addr_b64 v[0:3], v83 offset1:67
	ds_load_2addr_b64 v[4:7], v83 offset0:134 offset1:201
	s_wait_dscnt 0x1
	v_dual_add_f32 v0, v2, v0 :: v_dual_add_f32 v1, v3, v1
	s_wait_alu 0xfffe
	v_add_co_u32 v2, vcc_lo, s100, v44
	s_wait_alu 0xfffd
	v_add_co_ci_u32_e64 v3, null, s101, v45, vcc_lo
	s_wait_dscnt 0x0
	v_dual_add_f32 v0, v4, v0 :: v_dual_add_f32 v1, v5, v1
	s_delay_alu instid0(VALU_DEP_1)
	v_dual_add_f32 v0, v0, v6 :: v_dual_add_f32 v1, v1, v7
	global_store_b64 v[2:3], v[0:1], off
	s_branch .LBB184_2
.LBB184_81:                             ;   in Loop: Header=BB184_4 Depth=1
	ds_load_b64 v[2:3], v99
	s_wait_dscnt 0x0
	ds_store_b64 v85, v[2:3]
	s_or_b32 exec_lo, exec_lo, s19
	s_and_saveexec_b32 s19, s8
	s_cbranch_execz .LBB184_28
.LBB184_82:                             ;   in Loop: Header=BB184_4 Depth=1
	ds_load_b64 v[2:3], v100
	s_wait_dscnt 0x0
	ds_store_b64 v85, v[2:3] offset:8
	s_or_b32 exec_lo, exec_lo, s19
	s_and_saveexec_b32 s19, s9
	s_cbranch_execz .LBB184_29
.LBB184_83:                             ;   in Loop: Header=BB184_4 Depth=1
	ds_load_b64 v[2:3], v100 offset:264
	s_wait_dscnt 0x0
	ds_store_b64 v85, v[2:3] offset:16
	s_or_b32 exec_lo, exec_lo, s19
	s_and_saveexec_b32 s19, s10
	s_cbranch_execnz .LBB184_30
	s_branch .LBB184_31
.LBB184_84:                             ;   in Loop: Header=BB184_4 Depth=1
	ds_load_b64 v[0:1], v99
	s_wait_dscnt 0x0
	ds_store_b64 v85, v[0:1]
	s_or_b32 exec_lo, exec_lo, s19
	s_and_saveexec_b32 s19, s8
	s_cbranch_execz .LBB184_49
.LBB184_85:                             ;   in Loop: Header=BB184_4 Depth=1
	ds_load_b64 v[0:1], v100
	s_wait_dscnt 0x0
	ds_store_b64 v85, v[0:1] offset:8
	s_or_b32 exec_lo, exec_lo, s19
	s_and_saveexec_b32 s19, s9
	s_cbranch_execz .LBB184_50
.LBB184_86:                             ;   in Loop: Header=BB184_4 Depth=1
	ds_load_b64 v[0:1], v100 offset:264
	s_wait_dscnt 0x0
	ds_store_b64 v85, v[0:1] offset:16
	s_or_b32 exec_lo, exec_lo, s19
	s_and_saveexec_b32 s19, s10
	s_cbranch_execnz .LBB184_51
	s_branch .LBB184_52
.LBB184_87:                             ;   in Loop: Header=BB184_4 Depth=1
	flat_load_b64 v[4:5], v[2:3]
	s_wait_loadcnt_dscnt 0x0
	ds_store_b64 v98, v[4:5]
	s_or_b32 exec_lo, exec_lo, s19
	s_and_saveexec_b32 s19, s4
	s_delay_alu instid0(SALU_CYCLE_1)
	s_xor_b32 s19, exec_lo, s19
	s_cbranch_execz .LBB184_19
.LBB184_88:                             ;   in Loop: Header=BB184_4 Depth=1
	v_mov_b32_e32 v32, v33
	ds_store_b64 v98, v[32:33] offset:2112
	s_and_not1_saveexec_b32 s19, s19
	s_cbranch_execz .LBB184_20
.LBB184_89:                             ;   in Loop: Header=BB184_4 Depth=1
	v_add_co_u32 v4, vcc_lo, v2, s52
	s_wait_alu 0xfffd
	v_add_co_ci_u32_e64 v5, null, s53, v3, vcc_lo
	flat_load_b64 v[4:5], v[4:5]
	s_wait_loadcnt_dscnt 0x0
	ds_store_b64 v98, v[4:5] offset:2112
	s_or_b32 exec_lo, exec_lo, s19
	s_and_saveexec_b32 s19, s5
	s_delay_alu instid0(SALU_CYCLE_1)
	s_xor_b32 s19, exec_lo, s19
	s_cbranch_execz .LBB184_21
.LBB184_90:                             ;   in Loop: Header=BB184_4 Depth=1
	v_mov_b32_e32 v32, v33
	ds_store_b64 v98, v[32:33] offset:4224
	s_and_not1_saveexec_b32 s19, s19
	s_cbranch_execz .LBB184_22
.LBB184_91:                             ;   in Loop: Header=BB184_4 Depth=1
	v_add_co_u32 v4, vcc_lo, v2, s54
	s_wait_alu 0xfffd
	v_add_co_ci_u32_e64 v5, null, s55, v3, vcc_lo
	flat_load_b64 v[4:5], v[4:5]
	s_wait_loadcnt_dscnt 0x0
	ds_store_b64 v98, v[4:5] offset:4224
	s_or_b32 exec_lo, exec_lo, s19
	s_and_saveexec_b32 s19, s6
	s_delay_alu instid0(SALU_CYCLE_1)
	s_xor_b32 s19, exec_lo, s19
	s_cbranch_execz .LBB184_23
.LBB184_92:                             ;   in Loop: Header=BB184_4 Depth=1
	v_mov_b32_e32 v32, v33
	ds_store_b64 v98, v[32:33] offset:6336
	s_and_not1_saveexec_b32 s19, s19
	s_cbranch_execnz .LBB184_24
	s_branch .LBB184_25
.LBB184_93:                             ;   in Loop: Header=BB184_4 Depth=1
	flat_load_b64 v[4:5], v[0:1]
	s_wait_loadcnt_dscnt 0x0
	ds_store_b64 v98, v[4:5]
	s_or_b32 exec_lo, exec_lo, s19
	s_and_saveexec_b32 s19, s14
	s_delay_alu instid0(SALU_CYCLE_1)
	s_xor_b32 s19, exec_lo, s19
	s_cbranch_execz .LBB184_40
.LBB184_94:                             ;   in Loop: Header=BB184_4 Depth=1
	v_mov_b32_e32 v32, v33
	ds_store_b64 v98, v[32:33] offset:2112
	s_and_not1_saveexec_b32 s19, s19
	s_cbranch_execz .LBB184_41
.LBB184_95:                             ;   in Loop: Header=BB184_4 Depth=1
	v_add_co_u32 v4, vcc_lo, v0, s52
	s_wait_alu 0xfffd
	v_add_co_ci_u32_e64 v5, null, s53, v1, vcc_lo
	flat_load_b64 v[4:5], v[4:5]
	s_wait_loadcnt_dscnt 0x0
	ds_store_b64 v98, v[4:5] offset:2112
	s_or_b32 exec_lo, exec_lo, s19
	s_and_saveexec_b32 s19, s15
	s_delay_alu instid0(SALU_CYCLE_1)
	s_xor_b32 s19, exec_lo, s19
	s_cbranch_execz .LBB184_42
.LBB184_96:                             ;   in Loop: Header=BB184_4 Depth=1
	v_mov_b32_e32 v32, v33
	ds_store_b64 v98, v[32:33] offset:4224
	s_and_not1_saveexec_b32 s19, s19
	s_cbranch_execz .LBB184_43
.LBB184_97:                             ;   in Loop: Header=BB184_4 Depth=1
	v_add_co_u32 v4, vcc_lo, v0, s54
	s_wait_alu 0xfffd
	v_add_co_ci_u32_e64 v5, null, s55, v1, vcc_lo
	flat_load_b64 v[4:5], v[4:5]
	s_wait_loadcnt_dscnt 0x0
	ds_store_b64 v98, v[4:5] offset:4224
	s_or_b32 exec_lo, exec_lo, s19
	s_and_saveexec_b32 s19, s16
	s_delay_alu instid0(SALU_CYCLE_1)
	s_xor_b32 s19, exec_lo, s19
	s_cbranch_execz .LBB184_44
.LBB184_98:                             ;   in Loop: Header=BB184_4 Depth=1
	v_mov_b32_e32 v32, v33
	ds_store_b64 v98, v[32:33] offset:6336
	s_and_not1_saveexec_b32 s19, s19
	s_cbranch_execnz .LBB184_45
	s_branch .LBB184_46
.LBB184_99:                             ;   in Loop: Header=BB184_4 Depth=1
	flat_load_b64 v[2:3], v[0:1]
	s_wait_loadcnt_dscnt 0x0
	ds_store_b64 v98, v[2:3]
	s_or_b32 exec_lo, exec_lo, s19
	s_and_saveexec_b32 s19, s4
	s_delay_alu instid0(SALU_CYCLE_1)
	s_xor_b32 s19, exec_lo, s19
	s_cbranch_execz .LBB184_61
.LBB184_100:                            ;   in Loop: Header=BB184_4 Depth=1
	v_mov_b32_e32 v32, v33
	ds_store_b64 v98, v[32:33] offset:2112
	s_and_not1_saveexec_b32 s19, s19
	s_cbranch_execz .LBB184_62
.LBB184_101:                            ;   in Loop: Header=BB184_4 Depth=1
	v_add_co_u32 v2, vcc_lo, v0, s52
	s_wait_alu 0xfffd
	v_add_co_ci_u32_e64 v3, null, s53, v1, vcc_lo
	flat_load_b64 v[2:3], v[2:3]
	s_wait_loadcnt_dscnt 0x0
	ds_store_b64 v98, v[2:3] offset:2112
	s_or_b32 exec_lo, exec_lo, s19
	s_and_saveexec_b32 s19, s5
	s_delay_alu instid0(SALU_CYCLE_1)
	s_xor_b32 s19, exec_lo, s19
	s_cbranch_execz .LBB184_63
.LBB184_102:                            ;   in Loop: Header=BB184_4 Depth=1
	v_mov_b32_e32 v32, v33
	ds_store_b64 v98, v[32:33] offset:4224
	s_and_not1_saveexec_b32 s19, s19
	s_cbranch_execz .LBB184_64
.LBB184_103:                            ;   in Loop: Header=BB184_4 Depth=1
	v_add_co_u32 v2, vcc_lo, v0, s54
	s_wait_alu 0xfffd
	v_add_co_ci_u32_e64 v3, null, s55, v1, vcc_lo
	flat_load_b64 v[2:3], v[2:3]
	s_wait_loadcnt_dscnt 0x0
	ds_store_b64 v98, v[2:3] offset:4224
	s_or_b32 exec_lo, exec_lo, s19
	s_and_saveexec_b32 s19, s6
	s_delay_alu instid0(SALU_CYCLE_1)
	s_xor_b32 s19, exec_lo, s19
	s_cbranch_execz .LBB184_65
.LBB184_104:                            ;   in Loop: Header=BB184_4 Depth=1
	v_mov_b32_e32 v32, v33
	ds_store_b64 v98, v[32:33] offset:6336
	s_and_not1_saveexec_b32 s19, s19
	s_cbranch_execnz .LBB184_66
	s_branch .LBB184_67
.LBB184_105:
	s_nop 0
	s_sendmsg sendmsg(MSG_DEALLOC_VGPRS)
	s_endpgm
	.section	.rodata,"a",@progbits
	.p2align	6, 0x0
	.amdhsa_kernel _ZL26rocblas_hemvn_kernel_lowerILb0ELi64ELi4ELi33ELi32ELi16ElPK19rocblas_complex_numIfEPKS3_PS1_EviT6_lT7_lT5_lS8_lS9_lS7_lT8_i
		.amdhsa_group_segment_fixed_size 9600
		.amdhsa_private_segment_fixed_size 0
		.amdhsa_kernarg_size 376
		.amdhsa_user_sgpr_count 2
		.amdhsa_user_sgpr_dispatch_ptr 0
		.amdhsa_user_sgpr_queue_ptr 0
		.amdhsa_user_sgpr_kernarg_segment_ptr 1
		.amdhsa_user_sgpr_dispatch_id 0
		.amdhsa_user_sgpr_private_segment_size 0
		.amdhsa_wavefront_size32 1
		.amdhsa_uses_dynamic_stack 0
		.amdhsa_enable_private_segment 0
		.amdhsa_system_sgpr_workgroup_id_x 1
		.amdhsa_system_sgpr_workgroup_id_y 0
		.amdhsa_system_sgpr_workgroup_id_z 1
		.amdhsa_system_sgpr_workgroup_info 0
		.amdhsa_system_vgpr_workitem_id 1
		.amdhsa_next_free_vgpr 138
		.amdhsa_next_free_sgpr 105
		.amdhsa_reserve_vcc 1
		.amdhsa_float_round_mode_32 0
		.amdhsa_float_round_mode_16_64 0
		.amdhsa_float_denorm_mode_32 3
		.amdhsa_float_denorm_mode_16_64 3
		.amdhsa_fp16_overflow 0
		.amdhsa_workgroup_processor_mode 1
		.amdhsa_memory_ordered 1
		.amdhsa_forward_progress 1
		.amdhsa_inst_pref_size 69
		.amdhsa_round_robin_scheduling 0
		.amdhsa_exception_fp_ieee_invalid_op 0
		.amdhsa_exception_fp_denorm_src 0
		.amdhsa_exception_fp_ieee_div_zero 0
		.amdhsa_exception_fp_ieee_overflow 0
		.amdhsa_exception_fp_ieee_underflow 0
		.amdhsa_exception_fp_ieee_inexact 0
		.amdhsa_exception_int_div_zero 0
	.end_amdhsa_kernel
	.section	.text._ZL26rocblas_hemvn_kernel_lowerILb0ELi64ELi4ELi33ELi32ELi16ElPK19rocblas_complex_numIfEPKS3_PS1_EviT6_lT7_lT5_lS8_lS9_lS7_lT8_i,"axG",@progbits,_ZL26rocblas_hemvn_kernel_lowerILb0ELi64ELi4ELi33ELi32ELi16ElPK19rocblas_complex_numIfEPKS3_PS1_EviT6_lT7_lT5_lS8_lS9_lS7_lT8_i,comdat
.Lfunc_end184:
	.size	_ZL26rocblas_hemvn_kernel_lowerILb0ELi64ELi4ELi33ELi32ELi16ElPK19rocblas_complex_numIfEPKS3_PS1_EviT6_lT7_lT5_lS8_lS9_lS7_lT8_i, .Lfunc_end184-_ZL26rocblas_hemvn_kernel_lowerILb0ELi64ELi4ELi33ELi32ELi16ElPK19rocblas_complex_numIfEPKS3_PS1_EviT6_lT7_lT5_lS8_lS9_lS7_lT8_i
                                        ; -- End function
	.set _ZL26rocblas_hemvn_kernel_lowerILb0ELi64ELi4ELi33ELi32ELi16ElPK19rocblas_complex_numIfEPKS3_PS1_EviT6_lT7_lT5_lS8_lS9_lS7_lT8_i.num_vgpr, 138
	.set _ZL26rocblas_hemvn_kernel_lowerILb0ELi64ELi4ELi33ELi32ELi16ElPK19rocblas_complex_numIfEPKS3_PS1_EviT6_lT7_lT5_lS8_lS9_lS7_lT8_i.num_agpr, 0
	.set _ZL26rocblas_hemvn_kernel_lowerILb0ELi64ELi4ELi33ELi32ELi16ElPK19rocblas_complex_numIfEPKS3_PS1_EviT6_lT7_lT5_lS8_lS9_lS7_lT8_i.numbered_sgpr, 105
	.set _ZL26rocblas_hemvn_kernel_lowerILb0ELi64ELi4ELi33ELi32ELi16ElPK19rocblas_complex_numIfEPKS3_PS1_EviT6_lT7_lT5_lS8_lS9_lS7_lT8_i.num_named_barrier, 0
	.set _ZL26rocblas_hemvn_kernel_lowerILb0ELi64ELi4ELi33ELi32ELi16ElPK19rocblas_complex_numIfEPKS3_PS1_EviT6_lT7_lT5_lS8_lS9_lS7_lT8_i.private_seg_size, 0
	.set _ZL26rocblas_hemvn_kernel_lowerILb0ELi64ELi4ELi33ELi32ELi16ElPK19rocblas_complex_numIfEPKS3_PS1_EviT6_lT7_lT5_lS8_lS9_lS7_lT8_i.uses_vcc, 1
	.set _ZL26rocblas_hemvn_kernel_lowerILb0ELi64ELi4ELi33ELi32ELi16ElPK19rocblas_complex_numIfEPKS3_PS1_EviT6_lT7_lT5_lS8_lS9_lS7_lT8_i.uses_flat_scratch, 1
	.set _ZL26rocblas_hemvn_kernel_lowerILb0ELi64ELi4ELi33ELi32ELi16ElPK19rocblas_complex_numIfEPKS3_PS1_EviT6_lT7_lT5_lS8_lS9_lS7_lT8_i.has_dyn_sized_stack, 0
	.set _ZL26rocblas_hemvn_kernel_lowerILb0ELi64ELi4ELi33ELi32ELi16ElPK19rocblas_complex_numIfEPKS3_PS1_EviT6_lT7_lT5_lS8_lS9_lS7_lT8_i.has_recursion, 0
	.set _ZL26rocblas_hemvn_kernel_lowerILb0ELi64ELi4ELi33ELi32ELi16ElPK19rocblas_complex_numIfEPKS3_PS1_EviT6_lT7_lT5_lS8_lS9_lS7_lT8_i.has_indirect_call, 0
	.section	.AMDGPU.csdata,"",@progbits
; Kernel info:
; codeLenInByte = 8788
; TotalNumSgprs: 107
; NumVgprs: 138
; ScratchSize: 0
; MemoryBound: 1
; FloatMode: 240
; IeeeMode: 1
; LDSByteSize: 9600 bytes/workgroup (compile time only)
; SGPRBlocks: 0
; VGPRBlocks: 17
; NumSGPRsForWavesPerEU: 107
; NumVGPRsForWavesPerEU: 138
; Occupancy: 10
; WaveLimiterHint : 1
; COMPUTE_PGM_RSRC2:SCRATCH_EN: 0
; COMPUTE_PGM_RSRC2:USER_SGPR: 2
; COMPUTE_PGM_RSRC2:TRAP_HANDLER: 0
; COMPUTE_PGM_RSRC2:TGID_X_EN: 1
; COMPUTE_PGM_RSRC2:TGID_Y_EN: 0
; COMPUTE_PGM_RSRC2:TGID_Z_EN: 1
; COMPUTE_PGM_RSRC2:TIDIG_COMP_CNT: 1
	.section	.text._ZL26rocblas_hemvn_kernel_lowerILb0ELi64ELi4ELi33ELi32ELi16EiPK19rocblas_complex_numIfEPKS3_PS1_EviT6_lT7_lT5_lS8_lS9_lS7_lT8_i,"axG",@progbits,_ZL26rocblas_hemvn_kernel_lowerILb0ELi64ELi4ELi33ELi32ELi16EiPK19rocblas_complex_numIfEPKS3_PS1_EviT6_lT7_lT5_lS8_lS9_lS7_lT8_i,comdat
	.globl	_ZL26rocblas_hemvn_kernel_lowerILb0ELi64ELi4ELi33ELi32ELi16EiPK19rocblas_complex_numIfEPKS3_PS1_EviT6_lT7_lT5_lS8_lS9_lS7_lT8_i ; -- Begin function _ZL26rocblas_hemvn_kernel_lowerILb0ELi64ELi4ELi33ELi32ELi16EiPK19rocblas_complex_numIfEPKS3_PS1_EviT6_lT7_lT5_lS8_lS9_lS7_lT8_i
	.p2align	8
	.type	_ZL26rocblas_hemvn_kernel_lowerILb0ELi64ELi4ELi33ELi32ELi16EiPK19rocblas_complex_numIfEPKS3_PS1_EviT6_lT7_lT5_lS8_lS9_lS7_lT8_i,@function
_ZL26rocblas_hemvn_kernel_lowerILb0ELi64ELi4ELi33ELi32ELi16EiPK19rocblas_complex_numIfEPKS3_PS1_EviT6_lT7_lT5_lS8_lS9_lS7_lT8_i: ; @_ZL26rocblas_hemvn_kernel_lowerILb0ELi64ELi4ELi33ELi32ELi16EiPK19rocblas_complex_numIfEPKS3_PS1_EviT6_lT7_lT5_lS8_lS9_lS7_lT8_i
; %bb.0:
	s_clause 0x1
	s_load_b64 s[2:3], s[0:1], 0x84
	s_load_b32 s33, s[0:1], 0x70
	s_lshr_b32 s34, ttmp7, 16
	s_wait_kmcnt 0x0
	s_lshr_b32 s4, s2, 16
	s_and_b32 s2, s2, 0xffff
	s_and_b32 s3, s3, 0xffff
	s_mul_i32 s2, s4, s2
	s_delay_alu instid0(SALU_CYCLE_1) | instskip(NEXT) | instid1(SALU_CYCLE_1)
	s_mul_i32 s2, s2, s3
	s_cmp_lg_u32 s2, 0x100
	s_cselect_b32 s2, -1, 0
	s_cmp_ge_u32 s34, s33
	s_cselect_b32 s3, -1, 0
	s_delay_alu instid0(SALU_CYCLE_1) | instskip(NEXT) | instid1(SALU_CYCLE_1)
	s_or_b32 s2, s2, s3
	s_and_b32 vcc_lo, exec_lo, s2
	s_cbranch_vccnz .LBB185_105
; %bb.1:
	s_load_b32 s2, s[0:1], 0x0
	s_add_nc_u64 s[4:5], s[0:1], 0x78
	s_clause 0x1
	s_load_b256 s[20:27], s[0:1], 0x8
	s_load_b32 s86, s[0:1], 0x28
	s_load_b32 s4, s[4:5], 0x0
	s_clause 0x3
	s_load_b128 s[28:31], s[0:1], 0x38
	s_load_b32 s13, s[0:1], 0x48
	s_load_b64 s[6:7], s[0:1], 0x68
	s_load_b128 s[36:39], s[0:1], 0x58
	v_dual_mov_b32 v33, 0 :: v_dual_and_b32 v84, 0x3ff, v0
	v_bfe_u32 v3, v0, 10, 10
	v_and_b32_e32 v1, 31, v0
	s_lshl_b32 s88, ttmp9, 6
	s_mov_b32 s35, 0
                                        ; implicit-def: $vgpr122 : SGPR spill to VGPR lane
	v_add_nc_u32_e32 v2, s88, v84
	v_lshl_add_u32 v16, v3, 6, v84
	v_lshlrev_b32_e32 v17, 3, v1
	s_mov_b32 s5, s35
	v_lshlrev_b32_e32 v85, 3, v84
	v_and_b32_e32 v24, 15, v0
	v_and_b32_e32 v19, 0x7fe0, v16
	v_lshl_or_b32 v15, v1, 8, v17
	s_wait_kmcnt 0x0
	s_ashr_i32 s87, s86, 31
	s_add_co_i32 s8, s4, -1
	v_lshrrev_b32_e32 v10, 5, v16
	s_ashr_i32 s3, s2, 31
	v_add_nc_u32_e32 v87, v15, v19
	s_lshr_b32 s1, s3, 26
	v_mul_u32_u24_e32 v15, 33, v1
	s_add_co_i32 s1, s2, s1
	s_mul_u64 s[42:43], s[4:5], s[2:3]
	s_and_not1_b32 s1, s1, 63
	v_lshlrev_b32_e32 v23, 3, v10
	s_sub_co_i32 s1, s2, s1
	s_cmp_eq_u32 ttmp9, s8
	s_mul_i32 s8, s2, ttmp9
	s_cselect_b32 s40, s1, 0
	v_lshlrev_b32_e32 v88, 3, v15
	s_cmp_eq_u32 s40, 0
	v_add_nc_u32_e32 v11, 8, v10
	s_cselect_b32 s104, -1, 0
	s_cmp_lg_u32 s40, 0
	v_lshlrev_b32_e32 v14, 2, v10
	s_cselect_b32 s1, -1, 0
	s_lshl_b32 s2, s86, 4
	s_sub_co_i32 s14, s40, 32
	s_ashr_i32 s3, s2, 31
	v_writelane_b32 v122, s2, 0
	v_cmp_le_i32_e64 s15, s14, v10
	v_add_nc_u32_e32 v90, v88, v23
	s_ashr_i32 s9, s8, 31
	v_add_nc_u32_e32 v12, 16, v10
	v_writelane_b32 v122, s3, 1
	v_sub_co_u32 v8, s3, 0, v1
	s_lshl_b64 s[8:9], s[8:9], 3
	v_or_b32_e32 v22, 2, v14
	s_wait_alu 0xf1ff
	v_writelane_b32 v122, s15, 2
	v_cmp_le_i32_e64 s15, s14, v11
	v_mad_co_u64_u32 v[6:7], null, s86, v10, v[1:2]
	v_mul_u32_u24_e32 v18, 0x108, v10
	v_sub_co_ci_u32_e64 v9, null, 0, 0, s3
	v_cmp_le_i32_e64 s3, s40, v10
	v_add_nc_u32_e32 v13, 24, v10
	v_mul_u32_u24_e32 v21, 0x420, v10
	v_add_nc_u32_e32 v89, 0x2380, v19
	v_cmp_eq_u32_e64 s17, 1, v10
	v_mul_i32_i24_e32 v19, 0xffffffe8, v10
	v_mad_u32_u24 v91, v10, 24, v90
	v_mul_lo_u32 v10, v3, s86
	s_add_nc_u64 s[44:45], s[6:7], s[8:9]
	v_or_b32_e32 v20, 1, v14
	v_cmp_lt_u32_e64 s7, v14, v1
	v_or_b32_e32 v14, 3, v14
	v_cmp_lt_u32_e64 s9, v22, v1
	s_wait_alu 0xf1ff
	v_writelane_b32 v122, s15, 3
	v_cmp_le_i32_e64 s15, s14, v12
	v_lshrrev_b32_e32 v22, 4, v16
	v_mul_lo_u32 v4, s13, v2
	v_cmp_le_i32_e32 vcc_lo, s40, v84
	v_cmp_lt_u32_e64 s10, v14, v1
	v_or_b32_e32 v14, 32, v1
	v_cmp_le_i32_e64 s16, s14, v13
	s_mul_i32 s14, s13, s88
	v_ashrrev_i32_e32 v7, 31, v6
	v_lshl_add_u32 v10, v10, 2, v84
	v_writelane_b32 v122, s15, 4
	s_wait_alu 0xfffe
	s_ashr_i32 s15, s14, 31
	v_and_b32_e32 v0, 48, v0
	v_lshlrev_b32_e32 v25, 5, v22
	s_and_b32 s1, s1, vcc_lo
	v_cmp_le_i32_e64 s5, s40, v12
	v_cmp_gt_i32_e64 s12, s40, v14
	s_wait_alu 0xfffe
	s_sub_nc_u64 s[96:97], 0, s[14:15]
	v_sub_co_u32 v12, vcc_lo, 0, v6
	v_sub_co_u32 v14, s14, 0, v84
	v_cmp_eq_u32_e64 s0, 0, v3
	v_ashrrev_i32_e32 v5, 31, v4
	v_cmp_le_i32_e64 s4, s40, v11
	v_cmp_le_i32_e64 s6, s40, v13
	v_sub_co_ci_u32_e64 v13, null, 0, v7, vcc_lo
	v_ashrrev_i32_e32 v11, 31, v10
	s_wait_alu 0xf1ff
	v_sub_co_ci_u32_e64 v15, null, 0, 0, s14
	v_lshl_add_u32 v93, v3, 5, 0x2180
	v_mad_u32_u24 v94, 0x860, v3, v85
	v_mad_u32_u24 v98, 0x218, v3, v85
	v_ashrrev_i32_e32 v3, 31, v2
	v_cmp_lt_u32_e64 s8, v20, v1
	v_mul_u32_u24_e32 v20, 0x108, v20
	v_lshlrev_b32_e32 v0, 3, v0
	v_or_b32_e32 v26, 0x78, v85
	v_mad_u32_u24 v95, 0x218, v24, v25
	v_mul_i32_i24_e32 v22, 0xffffffe8, v22
	s_mul_i32 s90, s86, s88
	s_lshl_b32 s92, s86, 5
	s_lshl_b32 s46, s86, 3
	s_mul_i32 s50, s86, 24
	s_ashr_i32 s91, s90, 31
	s_ashr_i32 s93, s92, 31
	v_lshlrev_b64_e32 v[34:35], 3, v[4:5]
	v_lshlrev_b64_e32 v[36:37], 3, v[6:7]
	;; [unrolled: 1-line block ×7, first 2 shown]
	v_add_nc_u32_e32 v86, 0x2380, v85
	s_ashr_i32 s89, s88, 31
	s_ashr_i32 s47, s46, 31
	;; [unrolled: 1-line block ×3, first 2 shown]
	v_cmp_gt_i32_e64 s2, s40, v1
	s_ashr_i32 s41, s40, 31
	v_cmp_gt_u32_e64 s11, 32, v16
	s_xor_b32 s19, s1, -1
	v_add_nc_u32_e32 v92, 0x2180, v85
	v_cmp_gt_u32_e64 s18, 64, v16
	v_mad_u32_u24 v96, 0x218, v24, v0
	v_mad_u32_u24 v97, 0x218, v24, v26
	v_add_nc_u32_e32 v99, 0x2380, v23
	v_add_nc_u32_e32 v100, v17, v18
	;; [unrolled: 1-line block ×6, first 2 shown]
	v_lshlrev_b32_e32 v105, 3, v1
	s_sub_nc_u64 s[94:95], 0, s[92:93]
	s_cmp_gt_i32 ttmp9, 0
	s_sub_nc_u64 s[98:99], 0, s[90:91]
	s_cselect_b32 vcc_hi, -1, 0
	s_lshl_b32 s13, s13, 6
	s_and_b32 s14, s0, s19
	s_lshl_b64 s[52:53], s[86:87], 6
	s_wait_alu 0xfffe
	s_sub_nc_u64 s[54:55], 0, s[40:41]
	s_lshl_b64 s[56:57], s[86:87], 3
	s_lshl_b64 s[58:59], s[86:87], 4
	;; [unrolled: 1-line block ×3, first 2 shown]
	s_mul_u64 s[62:63], s[86:87], 24
	s_lshl_b64 s[64:65], s[86:87], 7
	s_mul_u64 s[66:67], s[86:87], 0x90
	s_mul_u64 s[68:69], s[86:87], 0x98
	s_lshl_b64 s[70:71], s[86:87], 8
	s_mul_u64 s[72:73], s[86:87], 0x110
	s_mul_u64 s[74:75], s[86:87], 0x118
	;; [unrolled: 1-line block ×8, first 2 shown]
	s_lshl_b64 s[88:89], s[88:89], 3
	s_lshl_b64 s[90:91], s[90:91], 3
	;; [unrolled: 1-line block ×8, first 2 shown]
	s_branch .LBB185_4
.LBB185_2:                              ;   in Loop: Header=BB185_4 Depth=1
	s_or_b32 exec_lo, exec_lo, s19
.LBB185_3:                              ;   in Loop: Header=BB185_4 Depth=1
	s_add_co_i32 s34, s34, 0x10000
	s_delay_alu instid0(SALU_CYCLE_1)
	s_cmp_lt_u32 s34, s33
	s_cbranch_scc0 .LBB185_105
.LBB185_4:                              ; =>This Loop Header: Depth=1
                                        ;     Child Loop BB185_78 Depth 2
	s_mul_u64 s[100:101], s[22:23], s[34:35]
	s_mov_b32 s15, -1
	s_wait_alu 0xfffe
	s_lshl_b64 s[100:101], s[100:101], 3
	s_wait_alu 0xfffe
	s_add_nc_u64 s[100:101], s[20:21], s[100:101]
	global_load_b64 v[0:1], v33, s[100:101]
	s_wait_loadcnt 0x0
	v_or_b32_e32 v0, v0, v1
	s_delay_alu instid0(VALU_DEP_1) | instskip(NEXT) | instid1(VALU_DEP_1)
	v_and_b32_e32 v0, 0x7fffffff, v0
	v_cmp_ne_u32_e32 vcc_lo, 0, v0
	s_cbranch_vccz .LBB185_6
; %bb.5:                                ;   in Loop: Header=BB185_4 Depth=1
	s_and_not1_b32 vcc_lo, exec_lo, s15
	s_wait_alu 0xfffe
	s_cbranch_vccnz .LBB185_3
	s_branch .LBB185_7
.LBB185_6:                              ;   in Loop: Header=BB185_4 Depth=1
	s_mul_u64 s[100:101], s[38:39], s[34:35]
	s_wait_alu 0xfffe
	s_lshl_b64 s[100:101], s[100:101], 3
	s_wait_alu 0xfffe
	s_add_nc_u64 s[100:101], s[36:37], s[100:101]
	global_load_b64 v[0:1], v33, s[100:101]
	s_wait_loadcnt 0x0
	v_cmp_eq_f32_e32 vcc_lo, 1.0, v0
	v_cmp_eq_f32_e64 s19, 0, v1
	s_and_b32 s15, vcc_lo, s19
	s_wait_alu 0xfffe
	s_and_not1_b32 vcc_lo, exec_lo, s15
	s_cbranch_execnz .LBB185_3
.LBB185_7:                              ;   in Loop: Header=BB185_4 Depth=1
	s_lshl_b64 s[100:101], s[34:35], 3
	s_wait_alu 0xfffe
	s_add_nc_u64 s[102:103], s[28:29], s[100:101]
	s_add_nc_u64 s[100:101], s[24:25], s[100:101]
	s_clause 0x1
	global_load_b64 v[2:3], v33, s[102:103]
	global_load_b64 v[0:1], v33, s[100:101]
	s_wait_loadcnt 0x1
	v_add_co_u32 v2, vcc_lo, v2, s30
	s_wait_alu 0xfffd
	v_add_co_ci_u32_e64 v3, null, s31, v3, vcc_lo
	s_delay_alu instid0(VALU_DEP_2) | instskip(SKIP_1) | instid1(VALU_DEP_2)
	v_add_co_u32 v16, vcc_lo, v2, v34
	s_wait_alu 0xfffd
	v_add_co_ci_u32_e64 v17, null, v3, v35, vcc_lo
	s_and_saveexec_b32 s19, s0
	s_cbranch_execz .LBB185_12
; %bb.8:                                ;   in Loop: Header=BB185_4 Depth=1
	s_and_saveexec_b32 s15, s1
	s_wait_alu 0xfffe
	s_xor_b32 s15, exec_lo, s15
; %bb.9:                                ;   in Loop: Header=BB185_4 Depth=1
	v_mov_b32_e32 v32, v33
	ds_store_b64 v86, v[32:33]
; %bb.10:                               ;   in Loop: Header=BB185_4 Depth=1
	s_wait_alu 0xfffe
	s_and_not1_saveexec_b32 s15, s15
	s_cbranch_execz .LBB185_12
; %bb.11:                               ;   in Loop: Header=BB185_4 Depth=1
	flat_load_b64 v[2:3], v[16:17]
	s_wait_loadcnt_dscnt 0x0
	ds_store_b64 v86, v[2:3]
.LBB185_12:                             ;   in Loop: Header=BB185_4 Depth=1
	s_or_b32 exec_lo, exec_lo, s19
	s_wait_loadcnt 0x0
	v_add_co_u32 v0, vcc_lo, v0, s26
	s_wait_alu 0xfffd
	v_add_co_ci_u32_e64 v1, null, s27, v1, vcc_lo
	s_mov_b32 s15, -1
	v_add_co_u32 v0, vcc_lo, v0, s88
	s_wait_alu 0xfffd
	v_add_co_ci_u32_e64 v1, null, s89, v1, vcc_lo
	s_delay_alu instid0(VALU_DEP_2) | instskip(SKIP_1) | instid1(VALU_DEP_2)
	v_add_co_u32 v0, vcc_lo, v0, v36
	s_wait_alu 0xfffd
	v_add_co_ci_u32_e64 v1, null, v1, v37, vcc_lo
	s_delay_alu instid0(VALU_DEP_2) | instskip(SKIP_1) | instid1(VALU_DEP_2)
	v_add_co_u32 v0, vcc_lo, v0, s90
	s_wait_alu 0xfffd
	v_add_co_ci_u32_e64 v1, null, s91, v1, vcc_lo
	s_and_not1_b32 vcc_lo, exec_lo, s104
	s_wait_alu 0xfffe
	s_cbranch_vccnz .LBB185_14
; %bb.13:                               ;   in Loop: Header=BB185_4 Depth=1
	s_lshl_b64 s[100:101], s[46:47], 3
	s_mov_b32 s15, 0
	s_wait_alu 0xfffe
	v_add_co_u32 v2, vcc_lo, v0, s100
	s_wait_alu 0xfffd
	v_add_co_ci_u32_e64 v3, null, s101, v1, vcc_lo
	s_delay_alu instid0(VALU_DEP_2) | instskip(SKIP_1) | instid1(VALU_DEP_2)
	v_add_co_u32 v4, vcc_lo, v2, s52
	s_wait_alu 0xfffd
	v_add_co_ci_u32_e64 v5, null, s53, v3, vcc_lo
	s_delay_alu instid0(VALU_DEP_2) | instskip(SKIP_1) | instid1(VALU_DEP_2)
	v_add_co_u32 v6, vcc_lo, v4, s52
	s_wait_alu 0xfffd
	v_add_co_ci_u32_e64 v7, null, s53, v5, vcc_lo
	s_clause 0x3
	flat_load_b64 v[8:9], v[0:1]
	flat_load_b64 v[2:3], v[2:3]
	;; [unrolled: 1-line block ×4, first 2 shown]
	s_wait_loadcnt_dscnt 0x303
	ds_store_b64 v100, v[8:9]
	s_wait_loadcnt_dscnt 0x203
	ds_store_b64 v100, v[2:3] offset:2112
	s_wait_loadcnt_dscnt 0x103
	ds_store_b64 v100, v[4:5] offset:4224
	;; [unrolled: 2-line block ×3, first 2 shown]
.LBB185_14:                             ;   in Loop: Header=BB185_4 Depth=1
	s_wait_alu 0xfffe
	s_and_not1_b32 vcc_lo, exec_lo, s15
	s_wait_alu 0xfffe
	s_cbranch_vccnz .LBB185_26
; %bb.15:                               ;   in Loop: Header=BB185_4 Depth=1
	s_and_saveexec_b32 s15, s3
	s_wait_alu 0xfffe
	s_xor_b32 s15, exec_lo, s15
; %bb.16:                               ;   in Loop: Header=BB185_4 Depth=1
	v_mov_b32_e32 v32, v33
	ds_store_b64 v100, v[32:33]
; %bb.17:                               ;   in Loop: Header=BB185_4 Depth=1
	s_wait_alu 0xfffe
	s_or_saveexec_b32 s19, s15
	v_add_co_u32 v2, vcc_lo, v0, v38
	s_wait_alu 0xfffd
	v_add_co_ci_u32_e64 v3, null, v1, v39, vcc_lo
	s_lshl_b64 s[100:101], s[40:41], 3
	s_wait_alu 0xfffe
	v_add_co_u32 v2, vcc_lo, v2, s100
	s_wait_alu 0xfffd
	v_add_co_ci_u32_e64 v3, null, s101, v3, vcc_lo
	s_delay_alu instid0(VALU_DEP_2) | instskip(SKIP_1) | instid1(VALU_DEP_2)
	v_add_co_u32 v2, vcc_lo, v2, -8
	s_wait_alu 0xfffd
	v_add_co_ci_u32_e64 v3, null, -1, v3, vcc_lo
	s_delay_alu instid0(VALU_DEP_2) | instskip(NEXT) | instid1(VALU_DEP_2)
	v_cndmask_b32_e64 v2, v2, v0, s2
	v_cndmask_b32_e64 v3, v3, v1, s2
	s_xor_b32 exec_lo, exec_lo, s19
	s_cbranch_execnz .LBB185_90
; %bb.18:                               ;   in Loop: Header=BB185_4 Depth=1
	s_or_b32 exec_lo, exec_lo, s19
	s_and_saveexec_b32 s15, s4
	s_wait_alu 0xfffe
	s_xor_b32 s15, exec_lo, s15
	s_cbranch_execnz .LBB185_91
.LBB185_19:                             ;   in Loop: Header=BB185_4 Depth=1
	s_wait_alu 0xfffe
	s_and_not1_saveexec_b32 s15, s15
	s_cbranch_execnz .LBB185_92
.LBB185_20:                             ;   in Loop: Header=BB185_4 Depth=1
	s_wait_alu 0xfffe
	s_or_b32 exec_lo, exec_lo, s15
	s_and_saveexec_b32 s15, s5
	s_wait_alu 0xfffe
	s_xor_b32 s15, exec_lo, s15
	s_cbranch_execnz .LBB185_93
.LBB185_21:                             ;   in Loop: Header=BB185_4 Depth=1
	s_wait_alu 0xfffe
	s_and_not1_saveexec_b32 s15, s15
	s_cbranch_execnz .LBB185_94
.LBB185_22:                             ;   in Loop: Header=BB185_4 Depth=1
	s_wait_alu 0xfffe
	s_or_b32 exec_lo, exec_lo, s15
	s_and_saveexec_b32 s15, s6
	s_wait_alu 0xfffe
	s_xor_b32 s15, exec_lo, s15
	s_cbranch_execnz .LBB185_95
.LBB185_23:                             ;   in Loop: Header=BB185_4 Depth=1
	s_wait_alu 0xfffe
	s_and_not1_saveexec_b32 s15, s15
	s_cbranch_execz .LBB185_25
.LBB185_24:                             ;   in Loop: Header=BB185_4 Depth=1
	s_lshl_b64 s[100:101], s[50:51], 3
	s_wait_alu 0xfffe
	v_add_co_u32 v4, vcc_lo, v2, s100
	s_wait_alu 0xfffd
	v_add_co_ci_u32_e64 v5, null, s101, v3, vcc_lo
	flat_load_b64 v[4:5], v[4:5]
	s_wait_loadcnt_dscnt 0x0
	ds_store_b64 v100, v[4:5] offset:6336
.LBB185_25:                             ;   in Loop: Header=BB185_4 Depth=1
	s_wait_alu 0xfffe
	s_or_b32 exec_lo, exec_lo, s15
	v_add_co_u32 v2, vcc_lo, v2, v105
	s_wait_alu 0xfffd
	v_add_co_ci_u32_e64 v3, null, 0, v3, vcc_lo
	s_lshl_b64 s[100:101], s[54:55], 3
	s_wait_alu 0xfffe
	v_add_co_u32 v2, vcc_lo, v2, s100
	s_wait_alu 0xfffd
	v_add_co_ci_u32_e64 v3, null, s101, v3, vcc_lo
	s_delay_alu instid0(VALU_DEP_2) | instskip(SKIP_1) | instid1(VALU_DEP_2)
	v_add_co_u32 v2, vcc_lo, v2, 8
	s_wait_alu 0xfffd
	v_add_co_ci_u32_e64 v3, null, 0, v3, vcc_lo
	s_delay_alu instid0(VALU_DEP_2) | instskip(NEXT) | instid1(VALU_DEP_2)
	v_cndmask_b32_e64 v0, v2, v0, s2
	v_cndmask_b32_e64 v1, v3, v1, s2
.LBB185_26:                             ;   in Loop: Header=BB185_4 Depth=1
	s_wait_dscnt 0x0
	s_barrier_signal -1
	s_barrier_wait -1
	global_inv scope:SCOPE_SE
	s_and_saveexec_b32 s15, s7
	s_cbranch_execnz .LBB185_84
; %bb.27:                               ;   in Loop: Header=BB185_4 Depth=1
	s_wait_alu 0xfffe
	s_or_b32 exec_lo, exec_lo, s15
	s_and_saveexec_b32 s15, s8
	s_cbranch_execnz .LBB185_85
.LBB185_28:                             ;   in Loop: Header=BB185_4 Depth=1
	s_wait_alu 0xfffe
	s_or_b32 exec_lo, exec_lo, s15
	s_and_saveexec_b32 s15, s9
	s_cbranch_execnz .LBB185_86
.LBB185_29:                             ;   in Loop: Header=BB185_4 Depth=1
	s_wait_alu 0xfffe
	s_or_b32 exec_lo, exec_lo, s15
	s_and_saveexec_b32 s15, s10
	s_cbranch_execz .LBB185_31
.LBB185_30:                             ;   in Loop: Header=BB185_4 Depth=1
	ds_load_b64 v[2:3], v102 offset:528
	s_wait_dscnt 0x0
	ds_store_b64 v87, v[2:3] offset:24
.LBB185_31:                             ;   in Loop: Header=BB185_4 Depth=1
	s_wait_alu 0xfffe
	s_or_b32 exec_lo, exec_lo, s15
	s_wait_loadcnt_dscnt 0x0
	s_barrier_signal -1
	s_barrier_wait -1
	global_inv scope:SCOPE_SE
	ds_load_b64 v[14:15], v101
	ds_load_b128 v[2:5], v89
	ds_load_2addr_b64 v[6:9], v102 offset1:33
	ds_load_b128 v[10:13], v89 offset:16
	ds_load_b64 v[18:19], v102 offset:528
	s_wait_loadcnt_dscnt 0x0
	s_barrier_signal -1
	s_barrier_wait -1
	global_inv scope:SCOPE_SE
	v_dual_mov_b32 v49, 0 :: v_dual_mul_f32 v20, v3, v15
	v_dual_mul_f32 v15, v2, v15 :: v_dual_mul_f32 v22, v11, v9
	v_mul_f32_e32 v9, v10, v9
	s_delay_alu instid0(VALU_DEP_3) | instskip(SKIP_1) | instid1(VALU_DEP_4)
	v_fma_f32 v2, v2, v14, -v20
	v_mul_f32_e32 v21, v5, v7
	v_fmac_f32_e32 v15, v3, v14
	s_delay_alu instid0(VALU_DEP_4) | instskip(SKIP_3) | instid1(VALU_DEP_1)
	v_fmac_f32_e32 v9, v11, v8
	v_fma_f32 v10, v10, v8, -v22
	v_dual_add_f32 v2, 0, v2 :: v_dual_mul_f32 v7, v4, v7
	v_fma_f32 v4, v4, v6, -v21
	v_dual_add_f32 v2, v2, v4 :: v_dual_fmac_f32 v7, v5, v6
	v_mul_f32_e32 v6, v12, v19
	v_add_f32_e32 v5, 0, v15
	s_delay_alu instid0(VALU_DEP_3) | instskip(NEXT) | instid1(VALU_DEP_3)
	v_dual_mul_f32 v3, v13, v19 :: v_dual_add_f32 v2, v2, v10
	v_fmac_f32_e32 v6, v13, v18
	s_delay_alu instid0(VALU_DEP_3) | instskip(NEXT) | instid1(VALU_DEP_3)
	v_add_f32_e32 v4, v5, v7
	v_fma_f32 v3, v12, v18, -v3
	s_delay_alu instid0(VALU_DEP_2) | instskip(SKIP_1) | instid1(VALU_DEP_2)
	v_add_f32_e32 v4, v4, v9
	v_mov_b32_e32 v48, 0
	v_dual_add_f32 v2, v2, v3 :: v_dual_add_f32 v3, v4, v6
	ds_store_b64 v90, v[2:3]
	s_wait_loadcnt_dscnt 0x0
	s_barrier_signal -1
	s_barrier_wait -1
	global_inv scope:SCOPE_SE
	s_and_saveexec_b32 s19, s11
	s_cbranch_execz .LBB185_33
; %bb.32:                               ;   in Loop: Header=BB185_4 Depth=1
	ds_load_2addr_b64 v[2:5], v88 offset1:7
	ds_load_2addr_b64 v[6:9], v88 offset0:1 offset1:2
	ds_load_2addr_b64 v[10:13], v88 offset0:3 offset1:4
	;; [unrolled: 1-line block ×3, first 2 shown]
	s_wait_dscnt 0x2
	v_dual_add_f32 v2, v6, v2 :: v_dual_add_f32 v3, v7, v3
	s_delay_alu instid0(VALU_DEP_1) | instskip(SKIP_1) | instid1(VALU_DEP_1)
	v_dual_add_f32 v2, v8, v2 :: v_dual_add_f32 v3, v9, v3
	s_wait_dscnt 0x1
	v_dual_add_f32 v2, v2, v10 :: v_dual_add_f32 v3, v3, v11
	s_delay_alu instid0(VALU_DEP_1) | instskip(SKIP_1) | instid1(VALU_DEP_1)
	v_dual_add_f32 v2, v2, v12 :: v_dual_add_f32 v3, v3, v13
	s_wait_dscnt 0x0
	v_dual_add_f32 v2, v2, v18 :: v_dual_add_f32 v3, v3, v19
	s_delay_alu instid0(VALU_DEP_1) | instskip(NEXT) | instid1(VALU_DEP_1)
	v_dual_add_f32 v2, v2, v20 :: v_dual_add_f32 v3, v3, v21
	v_dual_add_f32 v48, v2, v4 :: v_dual_add_f32 v49, v3, v5
.LBB185_33:                             ;   in Loop: Header=BB185_4 Depth=1
	s_or_b32 exec_lo, exec_lo, s19
	v_add_co_u32 v0, vcc_lo, v0, s92
	s_wait_alu 0xfffd
	v_add_co_ci_u32_e64 v1, null, s93, v1, vcc_lo
	s_and_not1_b32 vcc_lo, exec_lo, s104
	s_mov_b32 s19, -1
	s_wait_loadcnt 0x0
	s_barrier_signal -1
	s_barrier_wait -1
	global_inv scope:SCOPE_SE
	s_wait_alu 0xfffe
	s_cbranch_vccnz .LBB185_35
; %bb.34:                               ;   in Loop: Header=BB185_4 Depth=1
	s_lshl_b64 s[100:101], s[46:47], 3
	s_mov_b32 s19, 0
	s_wait_alu 0xfffe
	v_add_co_u32 v2, vcc_lo, v0, s100
	s_wait_alu 0xfffd
	v_add_co_ci_u32_e64 v3, null, s101, v1, vcc_lo
	s_delay_alu instid0(VALU_DEP_2) | instskip(SKIP_1) | instid1(VALU_DEP_2)
	v_add_co_u32 v4, vcc_lo, v2, s52
	s_wait_alu 0xfffd
	v_add_co_ci_u32_e64 v5, null, s53, v3, vcc_lo
	s_delay_alu instid0(VALU_DEP_2) | instskip(SKIP_1) | instid1(VALU_DEP_2)
	v_add_co_u32 v6, vcc_lo, v4, s52
	s_wait_alu 0xfffd
	v_add_co_ci_u32_e64 v7, null, s53, v5, vcc_lo
	s_clause 0x3
	flat_load_b64 v[8:9], v[0:1] offset:256
	flat_load_b64 v[2:3], v[2:3] offset:256
	;; [unrolled: 1-line block ×4, first 2 shown]
	s_wait_loadcnt_dscnt 0x303
	ds_store_b64 v100, v[8:9]
	s_wait_loadcnt_dscnt 0x203
	ds_store_b64 v100, v[2:3] offset:2112
	s_wait_loadcnt_dscnt 0x103
	ds_store_b64 v100, v[4:5] offset:4224
	;; [unrolled: 2-line block ×3, first 2 shown]
.LBB185_35:                             ;   in Loop: Header=BB185_4 Depth=1
	v_add_co_u32 v2, vcc_lo, 0x100, v0
	s_wait_alu 0xfffd
	v_add_co_ci_u32_e64 v3, null, 0, v1, vcc_lo
	s_and_not1_b32 vcc_lo, exec_lo, s19
	s_wait_alu 0xfffe
	s_cbranch_vccnz .LBB185_50
; %bb.36:                               ;   in Loop: Header=BB185_4 Depth=1
	s_mov_b32 s15, exec_lo
	v_readlane_b32 s19, v122, 2
	s_wait_alu 0xfffe
	s_and_b32 s19, s15, s19
	s_delay_alu instid0(SALU_CYCLE_1)
	s_xor_b32 s15, s19, s15
	s_mov_b32 exec_lo, s19
; %bb.37:                               ;   in Loop: Header=BB185_4 Depth=1
	v_mov_b32_e32 v32, v33
	ds_store_b64 v100, v[32:33]
; %bb.38:                               ;   in Loop: Header=BB185_4 Depth=1
	s_wait_alu 0xfffe
	s_or_saveexec_b32 s19, s15
	v_add_co_u32 v0, vcc_lo, v0, v38
	s_wait_alu 0xfffd
	v_add_co_ci_u32_e64 v1, null, v1, v39, vcc_lo
	s_lshl_b64 s[100:101], s[40:41], 3
	s_wait_alu 0xfffe
	v_add_co_u32 v0, vcc_lo, v0, s100
	s_wait_alu 0xfffd
	v_add_co_ci_u32_e64 v1, null, s101, v1, vcc_lo
	s_delay_alu instid0(VALU_DEP_2) | instskip(SKIP_1) | instid1(VALU_DEP_2)
	v_add_co_u32 v0, vcc_lo, v0, -8
	s_wait_alu 0xfffd
	v_add_co_ci_u32_e64 v1, null, -1, v1, vcc_lo
	s_delay_alu instid0(VALU_DEP_2) | instskip(NEXT) | instid1(VALU_DEP_2)
	v_cndmask_b32_e64 v0, v0, v2, s12
	v_cndmask_b32_e64 v1, v1, v3, s12
	s_xor_b32 exec_lo, exec_lo, s19
	s_cbranch_execz .LBB185_40
; %bb.39:                               ;   in Loop: Header=BB185_4 Depth=1
	flat_load_b64 v[4:5], v[0:1]
	s_wait_loadcnt_dscnt 0x0
	ds_store_b64 v100, v[4:5]
.LBB185_40:                             ;   in Loop: Header=BB185_4 Depth=1
	s_or_b32 exec_lo, exec_lo, s19
	s_delay_alu instid0(SALU_CYCLE_1) | instskip(SKIP_3) | instid1(SALU_CYCLE_1)
	s_mov_b32 s15, exec_lo
	v_readlane_b32 s19, v122, 3
	s_wait_alu 0xfffe
	s_and_b32 s19, s15, s19
	s_xor_b32 s15, s19, s15
	s_mov_b32 exec_lo, s19
; %bb.41:                               ;   in Loop: Header=BB185_4 Depth=1
	v_mov_b32_e32 v32, v33
	ds_store_b64 v100, v[32:33] offset:2112
; %bb.42:                               ;   in Loop: Header=BB185_4 Depth=1
	s_wait_alu 0xfffe
	s_and_not1_saveexec_b32 s15, s15
	s_cbranch_execz .LBB185_44
; %bb.43:                               ;   in Loop: Header=BB185_4 Depth=1
	s_lshl_b64 s[100:101], s[46:47], 3
	s_wait_alu 0xfffe
	v_add_co_u32 v4, vcc_lo, v0, s100
	s_wait_alu 0xfffd
	v_add_co_ci_u32_e64 v5, null, s101, v1, vcc_lo
	flat_load_b64 v[4:5], v[4:5]
	s_wait_loadcnt_dscnt 0x0
	ds_store_b64 v100, v[4:5] offset:2112
.LBB185_44:                             ;   in Loop: Header=BB185_4 Depth=1
	s_wait_alu 0xfffe
	s_or_b32 exec_lo, exec_lo, s15
	s_delay_alu instid0(SALU_CYCLE_1) | instskip(SKIP_3) | instid1(SALU_CYCLE_1)
	s_mov_b32 s15, exec_lo
	v_readlane_b32 s19, v122, 4
	s_wait_alu 0xfffe
	s_and_b32 s19, s15, s19
	s_xor_b32 s15, s19, s15
	s_mov_b32 exec_lo, s19
	s_cbranch_execnz .LBB185_96
; %bb.45:                               ;   in Loop: Header=BB185_4 Depth=1
	s_wait_alu 0xfffe
	s_and_not1_saveexec_b32 s15, s15
	s_cbranch_execnz .LBB185_97
.LBB185_46:                             ;   in Loop: Header=BB185_4 Depth=1
	s_wait_alu 0xfffe
	s_or_b32 exec_lo, exec_lo, s15
	s_and_saveexec_b32 s15, s16
	s_wait_alu 0xfffe
	s_xor_b32 s15, exec_lo, s15
	s_cbranch_execnz .LBB185_98
.LBB185_47:                             ;   in Loop: Header=BB185_4 Depth=1
	s_wait_alu 0xfffe
	s_and_not1_saveexec_b32 s15, s15
	s_cbranch_execz .LBB185_49
.LBB185_48:                             ;   in Loop: Header=BB185_4 Depth=1
	s_lshl_b64 s[100:101], s[50:51], 3
	s_wait_alu 0xfffe
	v_add_co_u32 v4, vcc_lo, v0, s100
	s_wait_alu 0xfffd
	v_add_co_ci_u32_e64 v5, null, s101, v1, vcc_lo
	flat_load_b64 v[4:5], v[4:5]
	s_wait_loadcnt_dscnt 0x0
	ds_store_b64 v100, v[4:5] offset:6336
.LBB185_49:                             ;   in Loop: Header=BB185_4 Depth=1
	s_wait_alu 0xfffe
	s_or_b32 exec_lo, exec_lo, s15
	v_add_co_u32 v0, vcc_lo, v0, v105
	s_wait_alu 0xfffd
	v_add_co_ci_u32_e64 v1, null, 0, v1, vcc_lo
	s_lshl_b64 s[100:101], s[54:55], 3
	s_wait_alu 0xfffe
	v_add_co_u32 v0, vcc_lo, v0, s100
	s_wait_alu 0xfffd
	v_add_co_ci_u32_e64 v1, null, s101, v1, vcc_lo
	s_delay_alu instid0(VALU_DEP_2) | instskip(SKIP_1) | instid1(VALU_DEP_2)
	v_add_co_u32 v0, vcc_lo, 0x108, v0
	s_wait_alu 0xfffd
	v_add_co_ci_u32_e64 v1, null, 0, v1, vcc_lo
	s_delay_alu instid0(VALU_DEP_2) | instskip(NEXT) | instid1(VALU_DEP_2)
	v_cndmask_b32_e64 v2, v0, v2, s12
	v_cndmask_b32_e64 v3, v1, v3, s12
.LBB185_50:                             ;   in Loop: Header=BB185_4 Depth=1
	s_wait_loadcnt_dscnt 0x0
	s_barrier_signal -1
	s_barrier_wait -1
	global_inv scope:SCOPE_SE
	s_and_saveexec_b32 s15, s7
	s_cbranch_execnz .LBB185_87
; %bb.51:                               ;   in Loop: Header=BB185_4 Depth=1
	s_wait_alu 0xfffe
	s_or_b32 exec_lo, exec_lo, s15
	s_and_saveexec_b32 s15, s8
	s_cbranch_execnz .LBB185_88
.LBB185_52:                             ;   in Loop: Header=BB185_4 Depth=1
	s_wait_alu 0xfffe
	s_or_b32 exec_lo, exec_lo, s15
	s_and_saveexec_b32 s15, s9
	s_cbranch_execnz .LBB185_89
.LBB185_53:                             ;   in Loop: Header=BB185_4 Depth=1
	s_wait_alu 0xfffe
	s_or_b32 exec_lo, exec_lo, s15
	s_and_saveexec_b32 s15, s10
	s_cbranch_execz .LBB185_55
.LBB185_54:                             ;   in Loop: Header=BB185_4 Depth=1
	ds_load_b64 v[0:1], v102 offset:528
	s_wait_dscnt 0x0
	ds_store_b64 v87, v[0:1] offset:24
.LBB185_55:                             ;   in Loop: Header=BB185_4 Depth=1
	s_wait_alu 0xfffe
	s_or_b32 exec_lo, exec_lo, s15
	s_wait_loadcnt_dscnt 0x0
	s_barrier_signal -1
	s_barrier_wait -1
	global_inv scope:SCOPE_SE
	ds_load_b64 v[0:1], v101
	ds_load_b128 v[4:7], v89 offset:256
	ds_load_2addr_b64 v[8:11], v102 offset1:33
	ds_load_b128 v[12:15], v89 offset:272
	ds_load_b64 v[18:19], v102 offset:528
	s_wait_loadcnt_dscnt 0x0
	s_barrier_signal -1
	s_barrier_wait -1
	global_inv scope:SCOPE_SE
	v_mul_f32_e32 v20, v5, v1
	v_dual_mul_f32 v1, v4, v1 :: v_dual_mul_f32 v22, v13, v11
	v_mul_f32_e32 v11, v12, v11
	s_delay_alu instid0(VALU_DEP_3) | instskip(SKIP_3) | instid1(VALU_DEP_4)
	v_fma_f32 v4, v4, v0, -v20
	v_mul_f32_e32 v21, v7, v9
	v_mul_f32_e32 v9, v6, v9
	v_dual_fmac_f32 v1, v5, v0 :: v_dual_mul_f32 v0, v15, v19
	v_add_f32_e32 v4, 0, v4
	s_delay_alu instid0(VALU_DEP_4) | instskip(NEXT) | instid1(VALU_DEP_4)
	v_fma_f32 v5, v6, v8, -v21
	v_dual_fmac_f32 v9, v7, v8 :: v_dual_mul_f32 v6, v14, v19
	s_delay_alu instid0(VALU_DEP_4) | instskip(SKIP_1) | instid1(VALU_DEP_4)
	v_add_f32_e32 v1, 0, v1
	v_fma_f32 v7, v12, v10, -v22
	v_dual_add_f32 v4, v4, v5 :: v_dual_fmac_f32 v11, v13, v10
	v_fma_f32 v0, v14, v18, -v0
	v_fmac_f32_e32 v6, v15, v18
	s_delay_alu instid0(VALU_DEP_3) | instskip(NEXT) | instid1(VALU_DEP_1)
	v_dual_add_f32 v4, v4, v7 :: v_dual_add_f32 v1, v1, v9
	v_dual_add_f32 v0, v4, v0 :: v_dual_add_f32 v1, v1, v11
	s_delay_alu instid0(VALU_DEP_1)
	v_add_f32_e32 v1, v1, v6
	ds_store_b64 v90, v[0:1]
	s_wait_loadcnt_dscnt 0x0
	s_barrier_signal -1
	s_barrier_wait -1
	global_inv scope:SCOPE_SE
	s_and_saveexec_b32 s19, s17
	s_cbranch_execz .LBB185_57
; %bb.56:                               ;   in Loop: Header=BB185_4 Depth=1
	ds_load_2addr_b64 v[4:7], v88 offset1:7
	ds_load_2addr_b64 v[8:11], v88 offset0:1 offset1:2
	ds_load_2addr_b64 v[12:15], v88 offset0:3 offset1:4
	;; [unrolled: 1-line block ×3, first 2 shown]
	s_wait_dscnt 0x2
	v_dual_add_f32 v0, v8, v4 :: v_dual_add_f32 v1, v9, v5
	s_delay_alu instid0(VALU_DEP_1) | instskip(SKIP_1) | instid1(VALU_DEP_1)
	v_dual_add_f32 v0, v10, v0 :: v_dual_add_f32 v1, v11, v1
	s_wait_dscnt 0x1
	v_dual_add_f32 v0, v0, v12 :: v_dual_add_f32 v1, v1, v13
	s_delay_alu instid0(VALU_DEP_1) | instskip(SKIP_1) | instid1(VALU_DEP_1)
	v_dual_add_f32 v0, v0, v14 :: v_dual_add_f32 v1, v1, v15
	s_wait_dscnt 0x0
	v_dual_add_f32 v0, v0, v18 :: v_dual_add_f32 v1, v1, v19
	s_delay_alu instid0(VALU_DEP_1) | instskip(NEXT) | instid1(VALU_DEP_1)
	v_dual_add_f32 v0, v0, v20 :: v_dual_add_f32 v1, v1, v21
	v_dual_add_f32 v48, v0, v6 :: v_dual_add_f32 v49, v1, v7
.LBB185_57:                             ;   in Loop: Header=BB185_4 Depth=1
	s_or_b32 exec_lo, exec_lo, s19
	v_add_co_u32 v18, vcc_lo, v2, s94
	s_wait_alu 0xfffd
	v_add_co_ci_u32_e64 v19, null, s95, v3, vcc_lo
	s_and_not1_b32 vcc_lo, exec_lo, s104
	s_mov_b32 s15, -1
	s_wait_loadcnt 0x0
	s_barrier_signal -1
	s_barrier_wait -1
	global_inv scope:SCOPE_SE
	s_wait_alu 0xfffe
	s_cbranch_vccnz .LBB185_59
; %bb.58:                               ;   in Loop: Header=BB185_4 Depth=1
	s_lshl_b64 s[100:101], s[46:47], 3
	s_mov_b32 s15, 0
	s_wait_alu 0xfffe
	v_add_co_u32 v0, vcc_lo, v18, s100
	s_wait_alu 0xfffd
	v_add_co_ci_u32_e64 v1, null, s101, v19, vcc_lo
	s_delay_alu instid0(VALU_DEP_2) | instskip(SKIP_1) | instid1(VALU_DEP_2)
	v_add_co_u32 v2, vcc_lo, v0, s52
	s_wait_alu 0xfffd
	v_add_co_ci_u32_e64 v3, null, s53, v1, vcc_lo
	s_delay_alu instid0(VALU_DEP_2) | instskip(SKIP_1) | instid1(VALU_DEP_2)
	v_add_co_u32 v4, vcc_lo, v2, s52
	s_wait_alu 0xfffd
	v_add_co_ci_u32_e64 v5, null, s53, v3, vcc_lo
	s_clause 0x3
	flat_load_b64 v[6:7], v[18:19]
	flat_load_b64 v[0:1], v[0:1]
	flat_load_b64 v[2:3], v[2:3]
	flat_load_b64 v[4:5], v[4:5]
	s_wait_loadcnt_dscnt 0x303
	ds_store_b64 v100, v[6:7]
	s_wait_loadcnt_dscnt 0x203
	ds_store_b64 v100, v[0:1] offset:2112
	s_wait_loadcnt_dscnt 0x103
	ds_store_b64 v100, v[2:3] offset:4224
	;; [unrolled: 2-line block ×3, first 2 shown]
.LBB185_59:                             ;   in Loop: Header=BB185_4 Depth=1
	s_and_not1_b32 vcc_lo, exec_lo, s15
	s_wait_alu 0xfffe
	s_cbranch_vccnz .LBB185_71
; %bb.60:                               ;   in Loop: Header=BB185_4 Depth=1
	s_and_saveexec_b32 s15, s3
	s_wait_alu 0xfffe
	s_xor_b32 s15, exec_lo, s15
; %bb.61:                               ;   in Loop: Header=BB185_4 Depth=1
	v_mov_b32_e32 v32, v33
	ds_store_b64 v100, v[32:33]
; %bb.62:                               ;   in Loop: Header=BB185_4 Depth=1
	s_wait_alu 0xfffe
	s_or_saveexec_b32 s19, s15
	v_add_co_u32 v0, vcc_lo, v18, v38
	s_wait_alu 0xfffd
	v_add_co_ci_u32_e64 v1, null, v19, v39, vcc_lo
	s_lshl_b64 s[100:101], s[40:41], 3
	s_wait_alu 0xfffe
	v_add_co_u32 v0, vcc_lo, v0, s100
	s_wait_alu 0xfffd
	v_add_co_ci_u32_e64 v1, null, s101, v1, vcc_lo
	s_delay_alu instid0(VALU_DEP_2) | instskip(SKIP_1) | instid1(VALU_DEP_2)
	v_add_co_u32 v0, vcc_lo, 0xfffffef8, v0
	s_wait_alu 0xfffd
	v_add_co_ci_u32_e64 v1, null, -1, v1, vcc_lo
	s_delay_alu instid0(VALU_DEP_2) | instskip(NEXT) | instid1(VALU_DEP_2)
	v_cndmask_b32_e64 v0, v0, v18, s12
	v_cndmask_b32_e64 v1, v1, v19, s12
	s_xor_b32 exec_lo, exec_lo, s19
	s_cbranch_execnz .LBB185_99
; %bb.63:                               ;   in Loop: Header=BB185_4 Depth=1
	s_or_b32 exec_lo, exec_lo, s19
	s_and_saveexec_b32 s15, s4
	s_wait_alu 0xfffe
	s_xor_b32 s15, exec_lo, s15
	s_cbranch_execnz .LBB185_100
.LBB185_64:                             ;   in Loop: Header=BB185_4 Depth=1
	s_wait_alu 0xfffe
	s_and_not1_saveexec_b32 s15, s15
	s_cbranch_execnz .LBB185_101
.LBB185_65:                             ;   in Loop: Header=BB185_4 Depth=1
	s_wait_alu 0xfffe
	s_or_b32 exec_lo, exec_lo, s15
	s_and_saveexec_b32 s15, s5
	s_wait_alu 0xfffe
	s_xor_b32 s15, exec_lo, s15
	s_cbranch_execnz .LBB185_102
.LBB185_66:                             ;   in Loop: Header=BB185_4 Depth=1
	s_wait_alu 0xfffe
	s_and_not1_saveexec_b32 s15, s15
	s_cbranch_execnz .LBB185_103
.LBB185_67:                             ;   in Loop: Header=BB185_4 Depth=1
	s_wait_alu 0xfffe
	s_or_b32 exec_lo, exec_lo, s15
	s_and_saveexec_b32 s15, s6
	s_wait_alu 0xfffe
	s_xor_b32 s15, exec_lo, s15
	s_cbranch_execnz .LBB185_104
.LBB185_68:                             ;   in Loop: Header=BB185_4 Depth=1
	s_wait_alu 0xfffe
	s_and_not1_saveexec_b32 s15, s15
	s_cbranch_execz .LBB185_70
.LBB185_69:                             ;   in Loop: Header=BB185_4 Depth=1
	s_lshl_b64 s[100:101], s[50:51], 3
	s_wait_alu 0xfffe
	v_add_co_u32 v2, vcc_lo, v0, s100
	s_wait_alu 0xfffd
	v_add_co_ci_u32_e64 v3, null, s101, v1, vcc_lo
	flat_load_b64 v[2:3], v[2:3]
	s_wait_loadcnt_dscnt 0x0
	ds_store_b64 v100, v[2:3] offset:6336
.LBB185_70:                             ;   in Loop: Header=BB185_4 Depth=1
	s_wait_alu 0xfffe
	s_or_b32 exec_lo, exec_lo, s15
	v_add_co_u32 v0, vcc_lo, v0, v105
	s_wait_alu 0xfffd
	v_add_co_ci_u32_e64 v1, null, 0, v1, vcc_lo
	s_lshl_b64 s[100:101], s[54:55], 3
	s_wait_alu 0xfffe
	v_add_co_u32 v0, vcc_lo, v0, s100
	s_wait_alu 0xfffd
	v_add_co_ci_u32_e64 v1, null, s101, v1, vcc_lo
	s_delay_alu instid0(VALU_DEP_2) | instskip(SKIP_1) | instid1(VALU_DEP_2)
	v_add_co_u32 v0, vcc_lo, 0x108, v0
	s_wait_alu 0xfffd
	v_add_co_ci_u32_e64 v1, null, 0, v1, vcc_lo
	s_delay_alu instid0(VALU_DEP_2) | instskip(NEXT) | instid1(VALU_DEP_2)
	v_cndmask_b32_e64 v18, v0, v18, s12
	v_cndmask_b32_e64 v19, v1, v19, s12
.LBB185_71:                             ;   in Loop: Header=BB185_4 Depth=1
	s_wait_loadcnt_dscnt 0x0
	s_barrier_signal -1
	s_barrier_wait -1
	global_inv scope:SCOPE_SE
	ds_load_b64 v[24:25], v103
	ds_load_b64 v[26:27], v100
	ds_load_b64 v[28:29], v100 offset:2112
	ds_load_2addr_b64 v[20:23], v99 offset0:8 offset1:16
	ds_load_b64 v[30:31], v100 offset:6336
	ds_load_b64 v[50:51], v100 offset:4224
	;; [unrolled: 1-line block ×3, first 2 shown]
	ds_load_b128 v[8:11], v89 offset:256
	ds_load_b128 v[0:3], v89 offset:272
	ds_load_2addr_b64 v[12:15], v91 offset1:1
	ds_load_2addr_b64 v[4:7], v91 offset0:2 offset1:3
	s_wait_loadcnt_dscnt 0x0
	s_barrier_signal -1
	s_barrier_wait -1
	global_inv scope:SCOPE_SE
	v_mul_f32_e32 v32, v25, v27
	v_dual_mul_f32 v27, v24, v27 :: v_dual_mul_f32 v54, v21, v29
	v_mul_f32_e32 v29, v20, v29
	s_delay_alu instid0(VALU_DEP_3) | instskip(SKIP_1) | instid1(VALU_DEP_4)
	v_fma_f32 v24, v24, v26, -v32
	v_mul_f32_e32 v56, v53, v31
	v_dual_fmac_f32 v27, v25, v26 :: v_dual_mul_f32 v26, v52, v31
	v_fma_f32 v20, v20, v28, -v54
	v_fmac_f32_e32 v29, v21, v28
	v_add_f32_e32 v21, 0, v24
	v_mul_f32_e32 v55, v23, v51
	v_dual_mul_f32 v25, v22, v51 :: v_dual_fmac_f32 v26, v53, v30
	v_add_f32_e32 v24, 0, v27
	s_delay_alu instid0(VALU_DEP_4) | instskip(NEXT) | instid1(VALU_DEP_4)
	v_add_f32_e32 v20, v21, v20
	v_fma_f32 v22, v22, v50, -v55
	s_delay_alu instid0(VALU_DEP_3) | instskip(NEXT) | instid1(VALU_DEP_2)
	v_add_f32_e32 v21, v24, v29
	v_add_f32_e32 v20, v20, v22
	v_fmac_f32_e32 v25, v23, v50
	v_fma_f32 v23, v52, v30, -v56
	s_delay_alu instid0(VALU_DEP_1) | instskip(NEXT) | instid1(VALU_DEP_1)
	v_dual_add_f32 v20, v20, v23 :: v_dual_add_f32 v21, v21, v25
	v_add_f32_e32 v21, v21, v26
	ds_store_b64 v90, v[20:21]
	s_wait_loadcnt_dscnt 0x0
	s_barrier_signal -1
	s_barrier_wait -1
	global_inv scope:SCOPE_SE
	s_and_saveexec_b32 s19, s17
	s_cbranch_execz .LBB185_73
; %bb.72:                               ;   in Loop: Header=BB185_4 Depth=1
	ds_load_2addr_b64 v[20:23], v88 offset1:1
	ds_load_2addr_b64 v[24:27], v88 offset0:2 offset1:3
	ds_load_2addr_b64 v[28:31], v88 offset0:4 offset1:5
	s_wait_dscnt 0x2
	v_dual_add_f32 v20, v48, v20 :: v_dual_add_f32 v21, v49, v21
	s_delay_alu instid0(VALU_DEP_1) | instskip(SKIP_1) | instid1(VALU_DEP_1)
	v_add_f32_e32 v48, v21, v23
	s_wait_dscnt 0x1
	v_add_f32_e32 v25, v48, v25
	s_delay_alu instid0(VALU_DEP_3) | instskip(SKIP_3) | instid1(VALU_DEP_1)
	v_add_f32_e32 v32, v20, v22
	ds_load_2addr_b64 v[20:23], v88 offset0:6 offset1:7
	v_dual_add_f32 v25, v25, v27 :: v_dual_add_f32 v24, v32, v24
	s_wait_dscnt 0x1
	v_dual_add_f32 v25, v25, v29 :: v_dual_add_f32 v24, v24, v26
	s_delay_alu instid0(VALU_DEP_1) | instskip(SKIP_1) | instid1(VALU_DEP_1)
	v_dual_add_f32 v25, v25, v31 :: v_dual_add_f32 v24, v24, v28
	s_wait_dscnt 0x0
	v_dual_add_f32 v21, v25, v21 :: v_dual_add_f32 v24, v24, v30
	s_delay_alu instid0(VALU_DEP_1) | instskip(NEXT) | instid1(VALU_DEP_1)
	v_dual_add_f32 v49, v21, v23 :: v_dual_add_f32 v20, v24, v20
	v_add_f32_e32 v48, v20, v22
.LBB185_73:                             ;   in Loop: Header=BB185_4 Depth=1
	s_or_b32 exec_lo, exec_lo, s19
	v_dual_mul_f32 v20, v9, v13 :: v_dual_mul_f32 v21, v11, v15
	v_mul_f32_e32 v13, v8, v13
	v_dual_mul_f32 v15, v10, v15 :: v_dual_mul_f32 v22, v1, v5
	s_delay_alu instid0(VALU_DEP_3) | instskip(NEXT) | instid1(VALU_DEP_4)
	v_fma_f32 v8, v8, v12, -v20
	v_fma_f32 v10, v10, v14, -v21
	v_mul_f32_e32 v5, v0, v5
	s_delay_alu instid0(VALU_DEP_4)
	v_fmac_f32_e32 v15, v11, v14
	v_fma_f32 v0, v0, v4, -v22
	v_add_f32_e32 v8, 0, v8
	v_fmac_f32_e32 v13, v9, v12
	v_fmac_f32_e32 v5, v1, v4
	s_wait_loadcnt 0x0
	s_barrier_signal -1
	v_dual_add_f32 v8, v8, v10 :: v_dual_mul_f32 v9, v3, v7
	v_mul_f32_e32 v7, v2, v7
	s_barrier_wait -1
	global_inv scope:SCOPE_SE
	v_add_f32_e32 v0, v8, v0
	v_fma_f32 v2, v2, v6, -v9
	v_add_f32_e32 v11, 0, v13
	v_fmac_f32_e32 v7, v3, v6
	s_delay_alu instid0(VALU_DEP_2) | instskip(NEXT) | instid1(VALU_DEP_1)
	v_dual_add_f32 v0, v0, v2 :: v_dual_add_f32 v1, v11, v15
	v_add_f32_e32 v1, v1, v5
	s_delay_alu instid0(VALU_DEP_1)
	v_add_f32_e32 v1, v1, v7
	ds_store_b64 v90, v[0:1]
	s_wait_loadcnt_dscnt 0x0
	s_barrier_signal -1
	s_barrier_wait -1
	global_inv scope:SCOPE_SE
	s_and_saveexec_b32 s19, s11
	s_cbranch_execz .LBB185_75
; %bb.74:                               ;   in Loop: Header=BB185_4 Depth=1
	ds_load_2addr_b64 v[0:3], v88 offset1:1
	ds_load_2addr_b64 v[4:7], v88 offset0:2 offset1:3
	ds_load_2addr_b64 v[8:11], v88 offset0:4 offset1:5
	s_wait_dscnt 0x2
	v_dual_add_f32 v0, v48, v0 :: v_dual_add_f32 v1, v49, v1
	s_delay_alu instid0(VALU_DEP_1) | instskip(SKIP_3) | instid1(VALU_DEP_1)
	v_dual_add_f32 v12, v0, v2 :: v_dual_add_f32 v13, v1, v3
	ds_load_2addr_b64 v[0:3], v88 offset0:6 offset1:7
	s_wait_dscnt 0x2
	v_dual_add_f32 v4, v12, v4 :: v_dual_add_f32 v5, v13, v5
	v_dual_add_f32 v4, v4, v6 :: v_dual_add_f32 v5, v5, v7
	s_wait_dscnt 0x1
	s_delay_alu instid0(VALU_DEP_1) | instskip(NEXT) | instid1(VALU_DEP_1)
	v_dual_add_f32 v4, v4, v8 :: v_dual_add_f32 v5, v5, v9
	v_dual_add_f32 v4, v4, v10 :: v_dual_add_f32 v5, v5, v11
	s_wait_dscnt 0x0
	s_delay_alu instid0(VALU_DEP_1) | instskip(NEXT) | instid1(VALU_DEP_1)
	v_dual_add_f32 v0, v4, v0 :: v_dual_add_f32 v1, v5, v1
	v_dual_add_f32 v48, v0, v2 :: v_dual_add_f32 v49, v1, v3
.LBB185_75:                             ;   in Loop: Header=BB185_4 Depth=1
	s_or_b32 exec_lo, exec_lo, s19
	s_mul_u64 s[100:101], s[42:43], s[34:35]
	s_and_not1_b32 vcc_lo, exec_lo, vcc_hi
	s_wait_alu 0xfffe
	s_lshl_b64 s[100:101], s[100:101], 3
	s_wait_loadcnt 0x0
	s_wait_alu 0xfffe
	s_add_nc_u64 s[100:101], s[44:45], s[100:101]
	s_barrier_signal -1
	s_barrier_wait -1
	global_inv scope:SCOPE_SE
	s_cbranch_vccnz .LBB185_82
; %bb.76:                               ;   in Loop: Header=BB185_4 Depth=1
	v_add_co_u32 v0, vcc_lo, v18, s98
	s_wait_alu 0xfffd
	v_add_co_ci_u32_e64 v1, null, s99, v19, vcc_lo
	s_lshl_b64 s[102:103], s[40:41], 3
	v_add_co_u32 v0, vcc_lo, v0, v40
	s_wait_alu 0xfffd
	v_add_co_ci_u32_e64 v1, null, v1, v41, vcc_lo
	v_mov_b32_e32 v32, v84
	s_delay_alu instid0(VALU_DEP_3) | instskip(SKIP_1) | instid1(VALU_DEP_3)
	v_add_co_u32 v0, vcc_lo, v0, v42
	s_wait_alu 0xfffd
	v_add_co_ci_u32_e64 v1, null, v1, v43, vcc_lo
	s_mov_b32 s19, ttmp9
	v_add_co_u32 v2, vcc_lo, v0, v44
	s_wait_alu 0xfffd
	v_add_co_ci_u32_e64 v3, null, v1, v45, vcc_lo
	s_wait_alu 0xfffe
	s_delay_alu instid0(VALU_DEP_2) | instskip(SKIP_1) | instid1(VALU_DEP_2)
	v_add_co_u32 v2, vcc_lo, v2, s102
	s_wait_alu 0xfffd
	v_add_co_ci_u32_e64 v3, null, s103, v3, vcc_lo
	v_add_co_u32 v0, vcc_lo, 0xffffff00, v0
	s_wait_alu 0xfffd
	v_add_co_ci_u32_e64 v1, null, -1, v1, vcc_lo
	v_add_co_u32 v2, vcc_lo, 0xfffffef8, v2
	s_wait_alu 0xfffd
	v_add_co_ci_u32_e64 v3, null, -1, v3, vcc_lo
	v_add_co_u32 v106, vcc_lo, v16, s96
	s_wait_alu 0xfffd
	v_add_co_ci_u32_e64 v107, null, s97, v17, vcc_lo
	s_delay_alu instid0(VALU_DEP_3)
	v_cndmask_b32_e64 v51, v1, v3, s1
	v_cndmask_b32_e64 v50, v0, v2, s1
	s_mov_b32 s102, 0
	s_branch .LBB185_78
.LBB185_77:                             ;   in Loop: Header=BB185_78 Depth=2
	s_wait_alu 0xfffe
	s_or_b32 exec_lo, exec_lo, s103
	v_dual_mul_f32 v108, v1, v53 :: v_dual_mul_f32 v109, v3, v59
	v_mul_f32_e32 v1, v1, v52
	v_dual_mul_f32 v3, v3, v58 :: v_dual_mul_f32 v110, v5, v57
	s_delay_alu instid0(VALU_DEP_3) | instskip(SKIP_3) | instid1(VALU_DEP_4)
	v_fma_f32 v52, v0, v52, -v108
	v_mul_f32_e32 v108, v7, v55
	v_mul_f32_e32 v7, v7, v54
	v_fma_f32 v58, v2, v58, -v109
	v_dual_fmac_f32 v3, v2, v59 :: v_dual_add_f32 v48, v48, v52
	v_mul_f32_e32 v5, v5, v56
	v_dual_mul_f32 v52, v13, v67 :: v_dual_fmac_f32 v1, v0, v53
	v_fma_f32 v0, v4, v56, -v110
	s_delay_alu instid0(VALU_DEP_4) | instskip(SKIP_3) | instid1(VALU_DEP_4)
	v_add_f32_e32 v48, v48, v58
	v_mul_f32_e32 v13, v13, v66
	v_fma_f32 v2, v6, v54, -v108
	v_fmac_f32_e32 v5, v4, v57
	v_dual_fmac_f32 v7, v6, v55 :: v_dual_add_f32 v0, v48, v0
	v_mul_f32_e32 v53, v15, v65
	v_mul_f32_e32 v15, v15, v64
	v_fmac_f32_e32 v13, v12, v67
	v_add_co_u32 v50, vcc_lo, v50, s60
	v_dual_add_f32 v0, v0, v2 :: v_dual_add_f32 v1, v49, v1
	v_mul_f32_e32 v2, v9, v63
	v_fma_f32 v4, v14, v64, -v53
	s_wait_alu 0xfffd
	v_add_co_ci_u32_e64 v51, null, s61, v51, vcc_lo
	s_add_co_i32 s19, s19, -1
	v_fma_f32 v2, v8, v62, -v2
	v_add_f32_e32 v1, v1, v3
	v_fma_f32 v3, v12, v66, -v52
	s_add_co_i32 s102, s102, s13
	s_cmp_eq_u32 s19, 0
	s_wait_loadcnt 0x0
	s_wait_storecnt 0x0
	s_barrier_signal -1
	v_dual_add_f32 v0, v0, v3 :: v_dual_mul_f32 v3, v11, v61
	s_barrier_wait -1
	global_inv scope:SCOPE_SE
	v_add_nc_u32_e32 v32, 64, v32
	v_add_f32_e32 v0, v0, v4
	v_mul_f32_e32 v4, v9, v62
	v_mul_f32_e32 v6, v31, v76
	s_delay_alu instid0(VALU_DEP_3) | instskip(NEXT) | instid1(VALU_DEP_3)
	v_dual_add_f32 v0, v0, v2 :: v_dual_add_f32 v1, v1, v5
	v_fmac_f32_e32 v4, v8, v63
	v_mul_f32_e32 v2, v17, v75
	v_fma_f32 v3, v10, v60, -v3
	v_fmac_f32_e32 v15, v14, v65
	v_fmac_f32_e32 v6, v30, v77
	s_delay_alu instid0(VALU_DEP_4) | instskip(NEXT) | instid1(VALU_DEP_4)
	v_fma_f32 v2, v16, v74, -v2
	v_add_f32_e32 v0, v0, v3
	v_add_f32_e32 v1, v1, v7
	s_delay_alu instid0(VALU_DEP_2) | instskip(NEXT) | instid1(VALU_DEP_2)
	v_dual_mul_f32 v3, v19, v73 :: v_dual_add_f32 v0, v0, v2
	v_add_f32_e32 v1, v1, v13
	s_delay_alu instid0(VALU_DEP_2) | instskip(SKIP_1) | instid1(VALU_DEP_2)
	v_fma_f32 v2, v18, v72, -v3
	v_mul_f32_e32 v3, v21, v71
	v_dual_add_f32 v1, v1, v15 :: v_dual_add_f32 v0, v0, v2
	s_delay_alu instid0(VALU_DEP_2) | instskip(SKIP_1) | instid1(VALU_DEP_2)
	v_fma_f32 v2, v20, v70, -v3
	v_mul_f32_e32 v3, v23, v69
	v_dual_mul_f32 v5, v11, v60 :: v_dual_add_f32 v0, v0, v2
	s_delay_alu instid0(VALU_DEP_2) | instskip(SKIP_2) | instid1(VALU_DEP_4)
	v_fma_f32 v2, v22, v68, -v3
	v_mul_f32_e32 v3, v25, v83
	v_add_f32_e32 v1, v1, v4
	v_dual_fmac_f32 v5, v10, v61 :: v_dual_mul_f32 v4, v17, v74
	s_delay_alu instid0(VALU_DEP_4) | instskip(NEXT) | instid1(VALU_DEP_4)
	v_add_f32_e32 v0, v0, v2
	v_fma_f32 v2, v24, v82, -v3
	v_mul_f32_e32 v3, v27, v81
	s_delay_alu instid0(VALU_DEP_4) | instskip(NEXT) | instid1(VALU_DEP_3)
	v_dual_add_f32 v1, v1, v5 :: v_dual_fmac_f32 v4, v16, v75
	v_add_f32_e32 v0, v0, v2
	s_delay_alu instid0(VALU_DEP_3) | instskip(SKIP_1) | instid1(VALU_DEP_2)
	v_fma_f32 v2, v26, v80, -v3
	v_mul_f32_e32 v5, v19, v72
	v_dual_mul_f32 v3, v27, v80 :: v_dual_add_f32 v0, v0, v2
	s_delay_alu instid0(VALU_DEP_2) | instskip(SKIP_1) | instid1(VALU_DEP_3)
	v_dual_fmac_f32 v5, v18, v73 :: v_dual_mul_f32 v2, v29, v78
	v_add_f32_e32 v1, v1, v4
	v_dual_mul_f32 v4, v21, v70 :: v_dual_fmac_f32 v3, v26, v81
	s_delay_alu instid0(VALU_DEP_2) | instskip(NEXT) | instid1(VALU_DEP_2)
	v_dual_fmac_f32 v2, v28, v79 :: v_dual_add_f32 v1, v1, v5
	v_dual_fmac_f32 v4, v20, v71 :: v_dual_mul_f32 v5, v23, v68
	s_delay_alu instid0(VALU_DEP_1) | instskip(NEXT) | instid1(VALU_DEP_2)
	v_add_f32_e32 v1, v1, v4
	v_dual_fmac_f32 v5, v22, v69 :: v_dual_mul_f32 v4, v25, v82
	s_delay_alu instid0(VALU_DEP_1) | instskip(SKIP_1) | instid1(VALU_DEP_2)
	v_dual_add_f32 v1, v1, v5 :: v_dual_fmac_f32 v4, v24, v83
	v_mul_f32_e32 v5, v29, v79
	v_add_f32_e32 v1, v1, v4
	s_delay_alu instid0(VALU_DEP_2) | instskip(SKIP_1) | instid1(VALU_DEP_2)
	v_fma_f32 v4, v28, v78, -v5
	v_mul_f32_e32 v5, v31, v77
	v_dual_add_f32 v1, v1, v3 :: v_dual_add_f32 v0, v0, v4
	s_delay_alu instid0(VALU_DEP_2) | instskip(NEXT) | instid1(VALU_DEP_1)
	v_fma_f32 v3, v30, v76, -v5
	v_dual_add_f32 v1, v1, v2 :: v_dual_add_f32 v48, v0, v3
	s_delay_alu instid0(VALU_DEP_1)
	v_add_f32_e32 v49, v1, v6
	s_cbranch_scc1 .LBB185_82
.LBB185_78:                             ;   Parent Loop BB185_4 Depth=1
                                        ; =>  This Inner Loop Header: Depth=2
	s_and_saveexec_b32 s15, s0
	s_cbranch_execz .LBB185_80
; %bb.79:                               ;   in Loop: Header=BB185_78 Depth=2
	s_wait_alu 0xfffe
	s_ashr_i32 s103, s102, 31
	s_wait_alu 0xfffe
	s_lshl_b64 s[48:49], s[102:103], 3
	s_wait_alu 0xfffe
	v_add_co_u32 v0, vcc_lo, v106, s48
	s_wait_alu 0xfffd
	v_add_co_ci_u32_e64 v1, null, s49, v107, vcc_lo
	flat_load_b64 v[0:1], v[0:1]
	s_wait_loadcnt_dscnt 0x0
	ds_store_b64 v92, v[0:1]
.LBB185_80:                             ;   in Loop: Header=BB185_78 Depth=2
	s_wait_alu 0xfffe
	s_or_b32 exec_lo, exec_lo, s15
	v_add_co_u32 v0, vcc_lo, v50, s56
	s_wait_alu 0xfffd
	v_add_co_ci_u32_e64 v1, null, s57, v51, vcc_lo
	s_wait_loadcnt_dscnt 0x0
	s_barrier_signal -1
	s_barrier_wait -1
	global_inv scope:SCOPE_SE
	s_clause 0x1
	flat_load_b64 v[52:53], v[50:51]
	flat_load_b64 v[58:59], v[0:1]
	v_add_co_u32 v0, vcc_lo, v50, s58
	s_wait_alu 0xfffd
	v_add_co_ci_u32_e64 v1, null, s59, v51, vcc_lo
	flat_load_b64 v[56:57], v[0:1]
	v_add_co_u32 v0, vcc_lo, v50, s62
	s_wait_alu 0xfffd
	v_add_co_ci_u32_e64 v1, null, s63, v51, vcc_lo
	flat_load_b64 v[54:55], v[0:1]
	ds_load_b64 v[4:5], v86
	ds_load_b128 v[0:3], v93
	s_wait_loadcnt_dscnt 0x301
	v_mul_f32_e32 v7, v5, v52
	s_wait_loadcnt 0x2
	v_mul_f32_e32 v8, v5, v59
	v_mul_f32_e32 v9, v5, v58
	;; [unrolled: 1-line block ×3, first 2 shown]
	v_fmac_f32_e32 v7, v4, v53
	s_delay_alu instid0(VALU_DEP_4) | instskip(NEXT) | instid1(VALU_DEP_4)
	v_fma_f32 v8, v4, v58, -v8
	v_fmac_f32_e32 v9, v4, v59
	s_delay_alu instid0(VALU_DEP_4)
	v_fma_f32 v6, v4, v52, -v6
	ds_store_2addr_b64 v94, v[6:7], v[8:9] offset1:67
	s_wait_loadcnt 0x1
	v_mul_f32_e32 v6, v5, v57
	v_mul_f32_e32 v7, v5, v56
	s_wait_loadcnt 0x0
	v_mul_f32_e32 v8, v5, v55
	v_mul_f32_e32 v9, v4, v55
	v_fma_f32 v6, v4, v56, -v6
	v_fmac_f32_e32 v7, v4, v57
	s_delay_alu instid0(VALU_DEP_4) | instskip(NEXT) | instid1(VALU_DEP_4)
	v_fma_f32 v8, v4, v54, -v8
	v_fmac_f32_e32 v9, v5, v54
	ds_store_2addr_b64 v94, v[6:7], v[8:9] offset0:134 offset1:201
	ds_load_b128 v[4:7], v93 offset:16
	s_wait_dscnt 0x0
	s_barrier_signal -1
	s_barrier_wait -1
	global_inv scope:SCOPE_SE
	ds_load_2addr_b64 v[8:11], v95 offset1:1
	ds_load_2addr_b64 v[12:15], v95 offset0:2 offset1:3
	s_wait_loadcnt_dscnt 0x0
	s_barrier_signal -1
	s_barrier_wait -1
	global_inv scope:SCOPE_SE
	v_dual_add_f32 v8, 0, v8 :: v_dual_add_f32 v9, 0, v9
	s_delay_alu instid0(VALU_DEP_1) | instskip(NEXT) | instid1(VALU_DEP_1)
	v_dual_add_f32 v8, v8, v10 :: v_dual_add_f32 v9, v9, v11
	v_dual_add_f32 v8, v8, v12 :: v_dual_add_f32 v9, v9, v13
	s_delay_alu instid0(VALU_DEP_1) | instskip(SKIP_1) | instid1(VALU_DEP_3)
	v_add_f32_e32 v116, v8, v14
	v_add_co_u32 v8, vcc_lo, v50, s64
	v_add_f32_e32 v117, v9, v15
	s_wait_alu 0xfffd
	v_add_co_ci_u32_e64 v9, null, s65, v51, vcc_lo
	flat_load_b64 v[66:67], v[8:9]
	v_add_co_u32 v8, vcc_lo, v50, s86
	s_wait_alu 0xfffd
	v_add_co_ci_u32_e64 v9, null, s87, v51, vcc_lo
	flat_load_b64 v[64:65], v[8:9]
	v_add_co_u32 v8, vcc_lo, v50, s66
	;; [unrolled: 4-line block ×3, first 2 shown]
	s_wait_alu 0xfffd
	v_add_co_ci_u32_e64 v9, null, s69, v51, vcc_lo
	flat_load_b64 v[60:61], v[8:9]
	ds_load_b64 v[8:9], v86
	ds_load_b128 v[12:15], v93 offset:128
	s_wait_loadcnt_dscnt 0x301
	v_mul_f32_e32 v11, v9, v66
	s_wait_loadcnt 0x2
	s_delay_alu instid0(VALU_DEP_1) | instskip(SKIP_2) | instid1(VALU_DEP_3)
	v_dual_fmac_f32 v11, v8, v67 :: v_dual_mul_f32 v16, v9, v65
	v_mul_f32_e32 v17, v9, v64
	v_mul_f32_e32 v10, v9, v67
	v_fma_f32 v16, v8, v64, -v16
	s_delay_alu instid0(VALU_DEP_3) | instskip(NEXT) | instid1(VALU_DEP_3)
	v_fmac_f32_e32 v17, v8, v65
	v_fma_f32 v10, v8, v66, -v10
	ds_store_2addr_b64 v94, v[10:11], v[16:17] offset1:67
	s_wait_loadcnt 0x1
	v_mul_f32_e32 v10, v9, v63
	v_mul_f32_e32 v11, v9, v62
	s_wait_loadcnt 0x0
	v_mul_f32_e32 v16, v9, v61
	v_mul_f32_e32 v17, v8, v61
	v_fma_f32 v10, v8, v62, -v10
	v_fmac_f32_e32 v11, v8, v63
	s_delay_alu instid0(VALU_DEP_4) | instskip(NEXT) | instid1(VALU_DEP_4)
	v_fma_f32 v16, v8, v60, -v16
	v_fmac_f32_e32 v17, v9, v60
	ds_store_2addr_b64 v94, v[10:11], v[16:17] offset0:134 offset1:201
	ds_load_b128 v[8:11], v93 offset:144
	s_wait_dscnt 0x0
	s_barrier_signal -1
	s_barrier_wait -1
	global_inv scope:SCOPE_SE
	ds_load_2addr_b64 v[16:19], v95 offset1:1
	ds_load_2addr_b64 v[20:23], v95 offset0:2 offset1:3
	s_wait_loadcnt_dscnt 0x0
	s_barrier_signal -1
	s_barrier_wait -1
	global_inv scope:SCOPE_SE
	v_dual_add_f32 v16, 0, v16 :: v_dual_add_f32 v17, 0, v17
	s_delay_alu instid0(VALU_DEP_1) | instskip(NEXT) | instid1(VALU_DEP_1)
	v_dual_add_f32 v16, v16, v18 :: v_dual_add_f32 v17, v17, v19
	v_dual_add_f32 v16, v16, v20 :: v_dual_add_f32 v17, v17, v21
	s_delay_alu instid0(VALU_DEP_1) | instskip(SKIP_1) | instid1(VALU_DEP_3)
	v_add_f32_e32 v118, v16, v22
	v_add_co_u32 v16, vcc_lo, v50, s70
	v_add_f32_e32 v119, v17, v23
	s_wait_alu 0xfffd
	v_add_co_ci_u32_e64 v17, null, s71, v51, vcc_lo
	flat_load_b64 v[74:75], v[16:17]
	v_add_co_u32 v16, vcc_lo, v50, s84
	s_wait_alu 0xfffd
	v_add_co_ci_u32_e64 v17, null, s85, v51, vcc_lo
	flat_load_b64 v[72:73], v[16:17]
	v_add_co_u32 v16, vcc_lo, v50, s72
	;; [unrolled: 4-line block ×3, first 2 shown]
	s_wait_alu 0xfffd
	v_add_co_ci_u32_e64 v17, null, s75, v51, vcc_lo
	flat_load_b64 v[68:69], v[16:17]
	ds_load_b64 v[20:21], v86
	ds_load_b128 v[16:19], v93 offset:256
	s_wait_loadcnt_dscnt 0x301
	v_mul_f32_e32 v22, v21, v75
	v_mul_f32_e32 v23, v21, v74
	s_delay_alu instid0(VALU_DEP_2) | instskip(SKIP_1) | instid1(VALU_DEP_2)
	v_fma_f32 v22, v20, v74, -v22
	s_wait_loadcnt 0x2
	v_dual_fmac_f32 v23, v20, v75 :: v_dual_mul_f32 v24, v21, v73
	v_mul_f32_e32 v25, v21, v72
	s_delay_alu instid0(VALU_DEP_2) | instskip(NEXT) | instid1(VALU_DEP_2)
	v_fma_f32 v24, v20, v72, -v24
	v_fmac_f32_e32 v25, v20, v73
	ds_store_2addr_b64 v94, v[22:23], v[24:25] offset1:67
	s_wait_loadcnt 0x1
	v_mul_f32_e32 v22, v21, v71
	v_mul_f32_e32 v23, v21, v70
	s_wait_loadcnt 0x0
	v_mul_f32_e32 v24, v21, v69
	v_mul_f32_e32 v25, v20, v69
	v_fma_f32 v22, v20, v70, -v22
	v_fmac_f32_e32 v23, v20, v71
	s_delay_alu instid0(VALU_DEP_4) | instskip(NEXT) | instid1(VALU_DEP_4)
	v_fma_f32 v24, v20, v68, -v24
	v_fmac_f32_e32 v25, v21, v68
	ds_store_2addr_b64 v94, v[22:23], v[24:25] offset0:134 offset1:201
	ds_load_b128 v[20:23], v93 offset:272
	s_wait_dscnt 0x0
	s_barrier_signal -1
	s_barrier_wait -1
	global_inv scope:SCOPE_SE
	ds_load_2addr_b64 v[24:27], v95 offset1:1
	ds_load_2addr_b64 v[28:31], v95 offset0:2 offset1:3
	s_wait_loadcnt_dscnt 0x0
	s_barrier_signal -1
	s_barrier_wait -1
	global_inv scope:SCOPE_SE
	v_dual_add_f32 v24, 0, v24 :: v_dual_add_f32 v25, 0, v25
	s_delay_alu instid0(VALU_DEP_1) | instskip(NEXT) | instid1(VALU_DEP_1)
	v_dual_add_f32 v24, v24, v26 :: v_dual_add_f32 v25, v25, v27
	v_dual_add_f32 v24, v24, v28 :: v_dual_add_f32 v25, v25, v29
	s_delay_alu instid0(VALU_DEP_1) | instskip(SKIP_1) | instid1(VALU_DEP_3)
	v_add_f32_e32 v120, v24, v30
	v_add_co_u32 v24, vcc_lo, v50, s76
	v_add_f32_e32 v121, v25, v31
	s_wait_alu 0xfffd
	v_add_co_ci_u32_e64 v25, null, s77, v51, vcc_lo
	flat_load_b64 v[82:83], v[24:25]
	v_add_co_u32 v24, vcc_lo, v50, s82
	s_wait_alu 0xfffd
	v_add_co_ci_u32_e64 v25, null, s83, v51, vcc_lo
	flat_load_b64 v[80:81], v[24:25]
	v_add_co_u32 v24, vcc_lo, v50, s78
	s_wait_alu 0xfffd
	v_add_co_ci_u32_e64 v25, null, s79, v51, vcc_lo
	flat_load_b64 v[78:79], v[24:25]
	v_add_co_u32 v24, vcc_lo, v50, s80
	s_wait_alu 0xfffd
	v_add_co_ci_u32_e64 v25, null, s81, v51, vcc_lo
	flat_load_b64 v[76:77], v[24:25]
	ds_load_b64 v[28:29], v86
	ds_load_b128 v[24:27], v93 offset:384
	s_wait_loadcnt_dscnt 0x301
	v_mul_f32_e32 v30, v29, v83
	v_mul_f32_e32 v31, v29, v82
	s_delay_alu instid0(VALU_DEP_2) | instskip(SKIP_1) | instid1(VALU_DEP_2)
	v_fma_f32 v30, v28, v82, -v30
	s_wait_loadcnt 0x2
	v_dual_fmac_f32 v31, v28, v83 :: v_dual_mul_f32 v108, v29, v81
	v_mul_f32_e32 v109, v29, v80
	s_delay_alu instid0(VALU_DEP_2) | instskip(NEXT) | instid1(VALU_DEP_2)
	v_fma_f32 v108, v28, v80, -v108
	v_fmac_f32_e32 v109, v28, v81
	ds_store_2addr_b64 v94, v[30:31], v[108:109] offset1:67
	s_wait_loadcnt 0x1
	v_mul_f32_e32 v30, v29, v79
	v_mul_f32_e32 v31, v29, v78
	s_wait_loadcnt 0x0
	v_mul_f32_e32 v108, v29, v77
	v_mul_f32_e32 v109, v28, v77
	v_fma_f32 v30, v28, v78, -v30
	v_fmac_f32_e32 v31, v28, v79
	s_delay_alu instid0(VALU_DEP_4) | instskip(NEXT) | instid1(VALU_DEP_4)
	v_fma_f32 v108, v28, v76, -v108
	v_fmac_f32_e32 v109, v29, v76
	ds_store_2addr_b64 v94, v[30:31], v[108:109] offset0:134 offset1:201
	ds_load_b128 v[28:31], v93 offset:400
	s_wait_dscnt 0x0
	s_barrier_signal -1
	s_barrier_wait -1
	global_inv scope:SCOPE_SE
	ds_load_2addr_b64 v[108:111], v95 offset1:1
	ds_load_2addr_b64 v[112:115], v95 offset0:2 offset1:3
	s_wait_loadcnt_dscnt 0x0
	s_barrier_signal -1
	s_barrier_wait -1
	global_inv scope:SCOPE_SE
	v_dual_add_f32 v108, 0, v108 :: v_dual_add_f32 v109, 0, v109
	s_delay_alu instid0(VALU_DEP_1) | instskip(NEXT) | instid1(VALU_DEP_1)
	v_dual_add_f32 v108, v108, v110 :: v_dual_add_f32 v109, v109, v111
	v_dual_add_f32 v108, v108, v112 :: v_dual_add_f32 v109, v109, v113
	s_delay_alu instid0(VALU_DEP_1)
	v_dual_add_f32 v108, v108, v114 :: v_dual_add_f32 v109, v109, v115
	ds_store_2addr_b64 v104, v[116:117], v[118:119] offset1:16
	ds_store_2addr_b64 v104, v[120:121], v[108:109] offset0:32 offset1:48
	s_wait_loadcnt_dscnt 0x0
	s_barrier_signal -1
	s_barrier_wait -1
	global_inv scope:SCOPE_SE
	s_and_saveexec_b32 s103, s18
	s_cbranch_execz .LBB185_77
; %bb.81:                               ;   in Loop: Header=BB185_78 Depth=2
	ds_load_b64 v[120:121], v96
	ds_load_2addr_b64 v[108:111], v96 offset0:1 offset1:2
	ds_load_2addr_b64 v[112:115], v96 offset0:3 offset1:4
	ds_load_2addr_b64 v[116:119], v96 offset0:5 offset1:6
	s_wait_dscnt 0x2
	v_dual_add_f32 v108, v108, v120 :: v_dual_add_f32 v109, v109, v121
	s_delay_alu instid0(VALU_DEP_1) | instskip(SKIP_3) | instid1(VALU_DEP_1)
	v_dual_add_f32 v120, v110, v108 :: v_dual_add_f32 v121, v111, v109
	ds_load_2addr_b64 v[108:111], v96 offset0:7 offset1:8
	s_wait_dscnt 0x2
	v_dual_add_f32 v112, v120, v112 :: v_dual_add_f32 v113, v121, v113
	v_dual_add_f32 v120, v112, v114 :: v_dual_add_f32 v121, v113, v115
	ds_load_2addr_b64 v[112:115], v96 offset0:9 offset1:10
	s_wait_dscnt 0x2
	v_dual_add_f32 v116, v120, v116 :: v_dual_add_f32 v117, v121, v117
	s_delay_alu instid0(VALU_DEP_1) | instskip(SKIP_3) | instid1(VALU_DEP_1)
	v_dual_add_f32 v120, v116, v118 :: v_dual_add_f32 v121, v117, v119
	ds_load_2addr_b64 v[116:119], v96 offset0:11 offset1:12
	s_wait_dscnt 0x2
	v_dual_add_f32 v108, v120, v108 :: v_dual_add_f32 v109, v121, v109
	v_dual_add_f32 v120, v108, v110 :: v_dual_add_f32 v121, v109, v111
	ds_load_2addr_b64 v[108:111], v96 offset0:13 offset1:14
	s_wait_dscnt 0x2
	v_dual_add_f32 v112, v120, v112 :: v_dual_add_f32 v113, v121, v113
	s_delay_alu instid0(VALU_DEP_1) | instskip(SKIP_3) | instid1(VALU_DEP_1)
	v_dual_add_f32 v114, v112, v114 :: v_dual_add_f32 v115, v113, v115
	ds_load_b64 v[112:113], v97
	s_wait_dscnt 0x2
	v_dual_add_f32 v114, v114, v116 :: v_dual_add_f32 v115, v115, v117
	v_dual_add_f32 v114, v114, v118 :: v_dual_add_f32 v115, v115, v119
	s_wait_dscnt 0x1
	s_delay_alu instid0(VALU_DEP_1) | instskip(NEXT) | instid1(VALU_DEP_1)
	v_dual_add_f32 v108, v114, v108 :: v_dual_add_f32 v109, v115, v109
	v_dual_add_f32 v110, v108, v110 :: v_dual_add_f32 v111, v109, v111
	v_lshlrev_b64_e32 v[108:109], 3, v[32:33]
	s_wait_dscnt 0x0
	s_delay_alu instid0(VALU_DEP_2) | instskip(NEXT) | instid1(VALU_DEP_2)
	v_dual_add_f32 v110, v110, v112 :: v_dual_add_f32 v111, v111, v113
	v_add_co_u32 v108, vcc_lo, s100, v108
	s_wait_alu 0xfffd
	s_delay_alu instid0(VALU_DEP_3)
	v_add_co_ci_u32_e64 v109, null, s101, v109, vcc_lo
	global_store_b64 v[108:109], v[110:111], off
	s_branch .LBB185_77
.LBB185_82:                             ;   in Loop: Header=BB185_4 Depth=1
	ds_store_b64 v98, v[48:49]
	s_wait_loadcnt_dscnt 0x0
	s_barrier_signal -1
	s_barrier_wait -1
	global_inv scope:SCOPE_SE
	s_and_saveexec_b32 s19, s14
	s_cbranch_execz .LBB185_2
; %bb.83:                               ;   in Loop: Header=BB185_4 Depth=1
	ds_load_2addr_b64 v[0:3], v85 offset1:67
	ds_load_2addr_b64 v[4:7], v85 offset0:134 offset1:201
	s_wait_dscnt 0x1
	v_dual_add_f32 v0, v2, v0 :: v_dual_add_f32 v1, v3, v1
	s_wait_alu 0xfffe
	v_add_co_u32 v2, vcc_lo, s100, v46
	s_wait_alu 0xfffd
	v_add_co_ci_u32_e64 v3, null, s101, v47, vcc_lo
	s_wait_dscnt 0x0
	v_dual_add_f32 v0, v4, v0 :: v_dual_add_f32 v1, v5, v1
	s_delay_alu instid0(VALU_DEP_1)
	v_dual_add_f32 v0, v0, v6 :: v_dual_add_f32 v1, v1, v7
	global_store_b64 v[2:3], v[0:1], off
	s_branch .LBB185_2
.LBB185_84:                             ;   in Loop: Header=BB185_4 Depth=1
	ds_load_b64 v[2:3], v101
	s_wait_dscnt 0x0
	ds_store_b64 v87, v[2:3]
	s_wait_alu 0xfffe
	s_or_b32 exec_lo, exec_lo, s15
	s_and_saveexec_b32 s15, s8
	s_cbranch_execz .LBB185_28
.LBB185_85:                             ;   in Loop: Header=BB185_4 Depth=1
	ds_load_b64 v[2:3], v102
	s_wait_dscnt 0x0
	ds_store_b64 v87, v[2:3] offset:8
	s_wait_alu 0xfffe
	s_or_b32 exec_lo, exec_lo, s15
	s_and_saveexec_b32 s15, s9
	s_cbranch_execz .LBB185_29
.LBB185_86:                             ;   in Loop: Header=BB185_4 Depth=1
	ds_load_b64 v[2:3], v102 offset:264
	s_wait_dscnt 0x0
	ds_store_b64 v87, v[2:3] offset:16
	s_wait_alu 0xfffe
	s_or_b32 exec_lo, exec_lo, s15
	s_and_saveexec_b32 s15, s10
	s_cbranch_execnz .LBB185_30
	s_branch .LBB185_31
.LBB185_87:                             ;   in Loop: Header=BB185_4 Depth=1
	ds_load_b64 v[0:1], v101
	s_wait_dscnt 0x0
	ds_store_b64 v87, v[0:1]
	s_wait_alu 0xfffe
	s_or_b32 exec_lo, exec_lo, s15
	s_and_saveexec_b32 s15, s8
	s_cbranch_execz .LBB185_52
.LBB185_88:                             ;   in Loop: Header=BB185_4 Depth=1
	ds_load_b64 v[0:1], v102
	s_wait_dscnt 0x0
	ds_store_b64 v87, v[0:1] offset:8
	s_wait_alu 0xfffe
	s_or_b32 exec_lo, exec_lo, s15
	s_and_saveexec_b32 s15, s9
	s_cbranch_execz .LBB185_53
.LBB185_89:                             ;   in Loop: Header=BB185_4 Depth=1
	ds_load_b64 v[0:1], v102 offset:264
	s_wait_dscnt 0x0
	ds_store_b64 v87, v[0:1] offset:16
	s_wait_alu 0xfffe
	s_or_b32 exec_lo, exec_lo, s15
	s_and_saveexec_b32 s15, s10
	s_cbranch_execnz .LBB185_54
	s_branch .LBB185_55
.LBB185_90:                             ;   in Loop: Header=BB185_4 Depth=1
	flat_load_b64 v[4:5], v[2:3]
	s_wait_loadcnt_dscnt 0x0
	ds_store_b64 v100, v[4:5]
	s_or_b32 exec_lo, exec_lo, s19
	s_and_saveexec_b32 s15, s4
	s_wait_alu 0xfffe
	s_xor_b32 s15, exec_lo, s15
	s_cbranch_execz .LBB185_19
.LBB185_91:                             ;   in Loop: Header=BB185_4 Depth=1
	v_mov_b32_e32 v32, v33
	ds_store_b64 v100, v[32:33] offset:2112
	s_wait_alu 0xfffe
	s_and_not1_saveexec_b32 s15, s15
	s_cbranch_execz .LBB185_20
.LBB185_92:                             ;   in Loop: Header=BB185_4 Depth=1
	s_lshl_b64 s[100:101], s[46:47], 3
	s_wait_alu 0xfffe
	v_add_co_u32 v4, vcc_lo, v2, s100
	s_wait_alu 0xfffd
	v_add_co_ci_u32_e64 v5, null, s101, v3, vcc_lo
	flat_load_b64 v[4:5], v[4:5]
	s_wait_loadcnt_dscnt 0x0
	ds_store_b64 v100, v[4:5] offset:2112
	s_or_b32 exec_lo, exec_lo, s15
	s_and_saveexec_b32 s15, s5
	s_wait_alu 0xfffe
	s_xor_b32 s15, exec_lo, s15
	s_cbranch_execz .LBB185_21
.LBB185_93:                             ;   in Loop: Header=BB185_4 Depth=1
	v_mov_b32_e32 v32, v33
	ds_store_b64 v100, v[32:33] offset:4224
	s_wait_alu 0xfffe
	s_and_not1_saveexec_b32 s15, s15
	s_cbranch_execz .LBB185_22
.LBB185_94:                             ;   in Loop: Header=BB185_4 Depth=1
	v_readlane_b32 s48, v122, 0
	v_readlane_b32 s49, v122, 1
	s_lshl_b64 s[100:101], s[48:49], 3
	s_wait_alu 0xfffe
	v_add_co_u32 v4, vcc_lo, v2, s100
	s_wait_alu 0xfffd
	v_add_co_ci_u32_e64 v5, null, s101, v3, vcc_lo
	flat_load_b64 v[4:5], v[4:5]
	s_wait_loadcnt_dscnt 0x0
	ds_store_b64 v100, v[4:5] offset:4224
	s_or_b32 exec_lo, exec_lo, s15
	s_and_saveexec_b32 s15, s6
	s_wait_alu 0xfffe
	s_xor_b32 s15, exec_lo, s15
	s_cbranch_execz .LBB185_23
.LBB185_95:                             ;   in Loop: Header=BB185_4 Depth=1
	v_mov_b32_e32 v32, v33
	ds_store_b64 v100, v[32:33] offset:6336
	s_wait_alu 0xfffe
	s_and_not1_saveexec_b32 s15, s15
	s_cbranch_execnz .LBB185_24
	s_branch .LBB185_25
.LBB185_96:                             ;   in Loop: Header=BB185_4 Depth=1
	v_mov_b32_e32 v32, v33
	ds_store_b64 v100, v[32:33] offset:4224
	s_wait_alu 0xfffe
	s_and_not1_saveexec_b32 s15, s15
	s_cbranch_execz .LBB185_46
.LBB185_97:                             ;   in Loop: Header=BB185_4 Depth=1
	v_readlane_b32 s48, v122, 0
	v_readlane_b32 s49, v122, 1
	s_lshl_b64 s[100:101], s[48:49], 3
	s_wait_alu 0xfffe
	v_add_co_u32 v4, vcc_lo, v0, s100
	s_wait_alu 0xfffd
	v_add_co_ci_u32_e64 v5, null, s101, v1, vcc_lo
	flat_load_b64 v[4:5], v[4:5]
	s_wait_loadcnt_dscnt 0x0
	ds_store_b64 v100, v[4:5] offset:4224
	s_or_b32 exec_lo, exec_lo, s15
	s_and_saveexec_b32 s15, s16
	s_wait_alu 0xfffe
	s_xor_b32 s15, exec_lo, s15
	s_cbranch_execz .LBB185_47
.LBB185_98:                             ;   in Loop: Header=BB185_4 Depth=1
	v_mov_b32_e32 v32, v33
	ds_store_b64 v100, v[32:33] offset:6336
	s_wait_alu 0xfffe
	s_and_not1_saveexec_b32 s15, s15
	s_cbranch_execnz .LBB185_48
	s_branch .LBB185_49
.LBB185_99:                             ;   in Loop: Header=BB185_4 Depth=1
	flat_load_b64 v[2:3], v[0:1]
	s_wait_loadcnt_dscnt 0x0
	ds_store_b64 v100, v[2:3]
	s_or_b32 exec_lo, exec_lo, s19
	s_and_saveexec_b32 s15, s4
	s_wait_alu 0xfffe
	s_xor_b32 s15, exec_lo, s15
	s_cbranch_execz .LBB185_64
.LBB185_100:                            ;   in Loop: Header=BB185_4 Depth=1
	v_mov_b32_e32 v32, v33
	ds_store_b64 v100, v[32:33] offset:2112
	s_wait_alu 0xfffe
	s_and_not1_saveexec_b32 s15, s15
	s_cbranch_execz .LBB185_65
.LBB185_101:                            ;   in Loop: Header=BB185_4 Depth=1
	s_lshl_b64 s[100:101], s[46:47], 3
	s_wait_alu 0xfffe
	v_add_co_u32 v2, vcc_lo, v0, s100
	s_wait_alu 0xfffd
	v_add_co_ci_u32_e64 v3, null, s101, v1, vcc_lo
	flat_load_b64 v[2:3], v[2:3]
	s_wait_loadcnt_dscnt 0x0
	ds_store_b64 v100, v[2:3] offset:2112
	s_or_b32 exec_lo, exec_lo, s15
	s_and_saveexec_b32 s15, s5
	s_wait_alu 0xfffe
	s_xor_b32 s15, exec_lo, s15
	s_cbranch_execz .LBB185_66
.LBB185_102:                            ;   in Loop: Header=BB185_4 Depth=1
	v_mov_b32_e32 v32, v33
	ds_store_b64 v100, v[32:33] offset:4224
	s_wait_alu 0xfffe
	s_and_not1_saveexec_b32 s15, s15
	s_cbranch_execz .LBB185_67
.LBB185_103:                            ;   in Loop: Header=BB185_4 Depth=1
	v_readlane_b32 s48, v122, 0
	v_readlane_b32 s49, v122, 1
	s_lshl_b64 s[100:101], s[48:49], 3
	s_wait_alu 0xfffe
	v_add_co_u32 v2, vcc_lo, v0, s100
	s_wait_alu 0xfffd
	v_add_co_ci_u32_e64 v3, null, s101, v1, vcc_lo
	flat_load_b64 v[2:3], v[2:3]
	s_wait_loadcnt_dscnt 0x0
	ds_store_b64 v100, v[2:3] offset:4224
	s_or_b32 exec_lo, exec_lo, s15
	s_and_saveexec_b32 s15, s6
	s_wait_alu 0xfffe
	s_xor_b32 s15, exec_lo, s15
	s_cbranch_execz .LBB185_68
.LBB185_104:                            ;   in Loop: Header=BB185_4 Depth=1
	v_mov_b32_e32 v32, v33
	ds_store_b64 v100, v[32:33] offset:6336
	s_wait_alu 0xfffe
	s_and_not1_saveexec_b32 s15, s15
	s_cbranch_execnz .LBB185_69
	s_branch .LBB185_70
.LBB185_105:
	s_nop 0
	s_sendmsg sendmsg(MSG_DEALLOC_VGPRS)
	s_endpgm
	.section	.rodata,"a",@progbits
	.p2align	6, 0x0
	.amdhsa_kernel _ZL26rocblas_hemvn_kernel_lowerILb0ELi64ELi4ELi33ELi32ELi16EiPK19rocblas_complex_numIfEPKS3_PS1_EviT6_lT7_lT5_lS8_lS9_lS7_lT8_i
		.amdhsa_group_segment_fixed_size 9600
		.amdhsa_private_segment_fixed_size 0
		.amdhsa_kernarg_size 376
		.amdhsa_user_sgpr_count 2
		.amdhsa_user_sgpr_dispatch_ptr 0
		.amdhsa_user_sgpr_queue_ptr 0
		.amdhsa_user_sgpr_kernarg_segment_ptr 1
		.amdhsa_user_sgpr_dispatch_id 0
		.amdhsa_user_sgpr_private_segment_size 0
		.amdhsa_wavefront_size32 1
		.amdhsa_uses_dynamic_stack 0
		.amdhsa_enable_private_segment 0
		.amdhsa_system_sgpr_workgroup_id_x 1
		.amdhsa_system_sgpr_workgroup_id_y 0
		.amdhsa_system_sgpr_workgroup_id_z 1
		.amdhsa_system_sgpr_workgroup_info 0
		.amdhsa_system_vgpr_workitem_id 1
		.amdhsa_next_free_vgpr 123
		.amdhsa_next_free_sgpr 105
		.amdhsa_reserve_vcc 1
		.amdhsa_float_round_mode_32 0
		.amdhsa_float_round_mode_16_64 0
		.amdhsa_float_denorm_mode_32 3
		.amdhsa_float_denorm_mode_16_64 3
		.amdhsa_fp16_overflow 0
		.amdhsa_workgroup_processor_mode 1
		.amdhsa_memory_ordered 1
		.amdhsa_forward_progress 1
		.amdhsa_inst_pref_size 73
		.amdhsa_round_robin_scheduling 0
		.amdhsa_exception_fp_ieee_invalid_op 0
		.amdhsa_exception_fp_denorm_src 0
		.amdhsa_exception_fp_ieee_div_zero 0
		.amdhsa_exception_fp_ieee_overflow 0
		.amdhsa_exception_fp_ieee_underflow 0
		.amdhsa_exception_fp_ieee_inexact 0
		.amdhsa_exception_int_div_zero 0
	.end_amdhsa_kernel
	.section	.text._ZL26rocblas_hemvn_kernel_lowerILb0ELi64ELi4ELi33ELi32ELi16EiPK19rocblas_complex_numIfEPKS3_PS1_EviT6_lT7_lT5_lS8_lS9_lS7_lT8_i,"axG",@progbits,_ZL26rocblas_hemvn_kernel_lowerILb0ELi64ELi4ELi33ELi32ELi16EiPK19rocblas_complex_numIfEPKS3_PS1_EviT6_lT7_lT5_lS8_lS9_lS7_lT8_i,comdat
.Lfunc_end185:
	.size	_ZL26rocblas_hemvn_kernel_lowerILb0ELi64ELi4ELi33ELi32ELi16EiPK19rocblas_complex_numIfEPKS3_PS1_EviT6_lT7_lT5_lS8_lS9_lS7_lT8_i, .Lfunc_end185-_ZL26rocblas_hemvn_kernel_lowerILb0ELi64ELi4ELi33ELi32ELi16EiPK19rocblas_complex_numIfEPKS3_PS1_EviT6_lT7_lT5_lS8_lS9_lS7_lT8_i
                                        ; -- End function
	.set _ZL26rocblas_hemvn_kernel_lowerILb0ELi64ELi4ELi33ELi32ELi16EiPK19rocblas_complex_numIfEPKS3_PS1_EviT6_lT7_lT5_lS8_lS9_lS7_lT8_i.num_vgpr, 123
	.set _ZL26rocblas_hemvn_kernel_lowerILb0ELi64ELi4ELi33ELi32ELi16EiPK19rocblas_complex_numIfEPKS3_PS1_EviT6_lT7_lT5_lS8_lS9_lS7_lT8_i.num_agpr, 0
	.set _ZL26rocblas_hemvn_kernel_lowerILb0ELi64ELi4ELi33ELi32ELi16EiPK19rocblas_complex_numIfEPKS3_PS1_EviT6_lT7_lT5_lS8_lS9_lS7_lT8_i.numbered_sgpr, 105
	.set _ZL26rocblas_hemvn_kernel_lowerILb0ELi64ELi4ELi33ELi32ELi16EiPK19rocblas_complex_numIfEPKS3_PS1_EviT6_lT7_lT5_lS8_lS9_lS7_lT8_i.num_named_barrier, 0
	.set _ZL26rocblas_hemvn_kernel_lowerILb0ELi64ELi4ELi33ELi32ELi16EiPK19rocblas_complex_numIfEPKS3_PS1_EviT6_lT7_lT5_lS8_lS9_lS7_lT8_i.private_seg_size, 0
	.set _ZL26rocblas_hemvn_kernel_lowerILb0ELi64ELi4ELi33ELi32ELi16EiPK19rocblas_complex_numIfEPKS3_PS1_EviT6_lT7_lT5_lS8_lS9_lS7_lT8_i.uses_vcc, 1
	.set _ZL26rocblas_hemvn_kernel_lowerILb0ELi64ELi4ELi33ELi32ELi16EiPK19rocblas_complex_numIfEPKS3_PS1_EviT6_lT7_lT5_lS8_lS9_lS7_lT8_i.uses_flat_scratch, 1
	.set _ZL26rocblas_hemvn_kernel_lowerILb0ELi64ELi4ELi33ELi32ELi16EiPK19rocblas_complex_numIfEPKS3_PS1_EviT6_lT7_lT5_lS8_lS9_lS7_lT8_i.has_dyn_sized_stack, 0
	.set _ZL26rocblas_hemvn_kernel_lowerILb0ELi64ELi4ELi33ELi32ELi16EiPK19rocblas_complex_numIfEPKS3_PS1_EviT6_lT7_lT5_lS8_lS9_lS7_lT8_i.has_recursion, 0
	.set _ZL26rocblas_hemvn_kernel_lowerILb0ELi64ELi4ELi33ELi32ELi16EiPK19rocblas_complex_numIfEPKS3_PS1_EviT6_lT7_lT5_lS8_lS9_lS7_lT8_i.has_indirect_call, 0
	.section	.AMDGPU.csdata,"",@progbits
; Kernel info:
; codeLenInByte = 9260
; TotalNumSgprs: 107
; NumVgprs: 123
; ScratchSize: 0
; MemoryBound: 1
; FloatMode: 240
; IeeeMode: 1
; LDSByteSize: 9600 bytes/workgroup (compile time only)
; SGPRBlocks: 0
; VGPRBlocks: 15
; NumSGPRsForWavesPerEU: 107
; NumVGPRsForWavesPerEU: 123
; Occupancy: 10
; WaveLimiterHint : 1
; COMPUTE_PGM_RSRC2:SCRATCH_EN: 0
; COMPUTE_PGM_RSRC2:USER_SGPR: 2
; COMPUTE_PGM_RSRC2:TRAP_HANDLER: 0
; COMPUTE_PGM_RSRC2:TGID_X_EN: 1
; COMPUTE_PGM_RSRC2:TGID_Y_EN: 0
; COMPUTE_PGM_RSRC2:TGID_Z_EN: 1
; COMPUTE_PGM_RSRC2:TIDIG_COMP_CNT: 1
	.section	.text._ZL26rocblas_hemvn_kernel_lowerILb0ELi64ELi4ELi33ELi32ELi16El19rocblas_complex_numIfEPKPKS1_PS1_EviT6_lT7_lT5_lS8_lS9_lS7_lT8_i,"axG",@progbits,_ZL26rocblas_hemvn_kernel_lowerILb0ELi64ELi4ELi33ELi32ELi16El19rocblas_complex_numIfEPKPKS1_PS1_EviT6_lT7_lT5_lS8_lS9_lS7_lT8_i,comdat
	.globl	_ZL26rocblas_hemvn_kernel_lowerILb0ELi64ELi4ELi33ELi32ELi16El19rocblas_complex_numIfEPKPKS1_PS1_EviT6_lT7_lT5_lS8_lS9_lS7_lT8_i ; -- Begin function _ZL26rocblas_hemvn_kernel_lowerILb0ELi64ELi4ELi33ELi32ELi16El19rocblas_complex_numIfEPKPKS1_PS1_EviT6_lT7_lT5_lS8_lS9_lS7_lT8_i
	.p2align	8
	.type	_ZL26rocblas_hemvn_kernel_lowerILb0ELi64ELi4ELi33ELi32ELi16El19rocblas_complex_numIfEPKPKS1_PS1_EviT6_lT7_lT5_lS8_lS9_lS7_lT8_i,@function
_ZL26rocblas_hemvn_kernel_lowerILb0ELi64ELi4ELi33ELi32ELi16El19rocblas_complex_numIfEPKPKS1_PS1_EviT6_lT7_lT5_lS8_lS9_lS7_lT8_i: ; @_ZL26rocblas_hemvn_kernel_lowerILb0ELi64ELi4ELi33ELi32ELi16El19rocblas_complex_numIfEPKPKS1_PS1_EviT6_lT7_lT5_lS8_lS9_lS7_lT8_i
; %bb.0:
	s_clause 0x1
	s_load_b64 s[2:3], s[0:1], 0x84
	s_load_b32 s19, s[0:1], 0x70
	s_lshr_b32 s28, ttmp7, 16
	s_wait_kmcnt 0x0
	s_lshr_b32 s4, s2, 16
	s_and_b32 s2, s2, 0xffff
	s_and_b32 s3, s3, 0xffff
	s_mul_i32 s2, s4, s2
	s_delay_alu instid0(SALU_CYCLE_1) | instskip(NEXT) | instid1(SALU_CYCLE_1)
	s_mul_i32 s2, s2, s3
	s_cmp_lg_u32 s2, 0x100
	s_cselect_b32 s2, -1, 0
	s_cmp_ge_u32 s28, s19
	s_cselect_b32 s3, -1, 0
	s_delay_alu instid0(SALU_CYCLE_1) | instskip(NEXT) | instid1(SALU_CYCLE_1)
	s_or_b32 s2, s2, s3
	s_and_b32 vcc_lo, exec_lo, s2
	s_cbranch_vccnz .LBB186_106
; %bb.1:
	s_clause 0x3
	s_load_b64 s[4:5], s[0:1], 0x4
	s_load_b32 s2, s[0:1], 0x0
	s_load_b64 s[82:83], s[0:1], 0x28
	s_load_b64 s[6:7], s[0:1], 0x58
	s_add_nc_u64 s[8:9], s[0:1], 0x78
	v_dual_mov_b32 v33, 0 :: v_dual_and_b32 v82, 0x3ff, v0
	s_load_b32 s34, s[8:9], 0x0
	v_bfe_u32 v14, v0, 10, 10
	s_clause 0x1
	s_load_b128 s[20:23], s[0:1], 0x18
	s_load_b64 s[30:31], s[0:1], 0x48
	v_and_b32_e32 v32, 31, v0
	s_mov_b32 s35, 0
	v_lshl_add_u32 v15, v14, 6, v82
	v_lshl_add_u32 v91, v14, 5, 0x2180
	s_delay_alu instid0(VALU_DEP_3) | instskip(SKIP_1) | instid1(VALU_DEP_4)
	v_mul_u32_u24_e32 v22, 33, v32
	v_lshlrev_b32_e32 v16, 3, v32
	v_lshrrev_b32_e32 v12, 5, v15
	v_and_b32_e32 v20, 0x7fe0, v15
	s_wait_kmcnt 0x0
	s_or_b32 s3, s4, s5
	v_lshlrev_b32_e32 v86, 3, v22
	s_and_b32 s4, s3, 0x7fffffff
	s_ashr_i32 s3, s2, 31
	s_cmp_eq_u32 s4, 0
	v_lshlrev_b32_e32 v13, 2, v12
	s_cselect_b32 s33, -1, 0
	s_cmp_lg_u32 s4, 0
	s_clause 0x1
	s_load_b128 s[24:27], s[0:1], 0x38
	s_load_b64 s[4:5], s[0:1], 0x68
	s_cselect_b32 s29, -1, 0
	s_cmp_neq_f32 s6, 1.0
	v_or_b32_e32 v21, 1, v13
	v_or_b32_e32 v23, 2, v13
	v_mad_co_u64_u32 v[1:2], null, s82, v12, v[32:33]
	s_cselect_b32 s54, -1, 0
	s_cmp_neq_f32 s7, 0
	v_add_nc_u32_e32 v11, 16, v12
	v_lshlrev_b32_e32 v24, 3, v12
	v_lshl_or_b32 v19, v32, 8, v16
	s_cselect_b32 s55, -1, 0
	s_lshr_b32 s1, s3, 26
	s_add_co_i32 s6, s34, -1
	s_add_co_i32 s1, s2, s1
	s_lshl_b32 s84, ttmp9, 6
	s_and_not1_b32 s1, s1, 63
	v_add_nc_u32_e32 v3, s84, v82
	s_sub_co_i32 s1, s2, s1
	s_cmp_eq_u32 ttmp9, s6
	s_mul_i32 s6, s2, ttmp9
	s_cselect_b32 s36, s1, 0
	v_ashrrev_i32_e32 v4, 31, v3
	s_cmp_eq_u32 s36, 0
	v_mul_lo_u32 v9, s31, v3
	s_cselect_b32 s94, -1, 0
	s_cmp_lg_u32 s36, 0
	v_mad_co_u64_u32 v[5:6], null, s30, v3, 0
	s_cselect_b32 s1, -1, 0
	s_ashr_i32 s7, s6, 31
	v_mul_lo_u32 v10, s30, v4
	s_lshl_b64 s[6:7], s[6:7], 3
	s_sub_co_i32 s16, s36, 32
	s_wait_kmcnt 0x0
	s_add_nc_u64 s[40:41], s[4:5], s[6:7]
	v_cmp_lt_u32_e64 s7, v13, v32
	v_or_b32_e32 v13, 3, v13
	v_cmp_le_i32_e64 s5, s36, v11
	v_cmp_le_i32_e64 s15, s16, v11
	v_add3_u32 v6, v6, v10, v9
	v_add_nc_u32_e32 v10, 8, v12
	v_cmp_lt_u32_e64 s10, v13, v32
	v_or_b32_e32 v13, 32, v32
	v_mad_co_u64_u32 v[7:8], null, s83, v12, v[2:3]
	s_delay_alu instid0(VALU_DEP_4) | instskip(SKIP_1) | instid1(VALU_DEP_4)
	v_cmp_le_i32_e64 s4, s36, v10
	v_cmp_le_i32_e64 s14, s16, v10
	v_cmp_gt_i32_e64 s12, s36, v13
	v_lshlrev_b32_e32 v13, 2, v14
	v_add_nc_u32_e32 v18, 24, v12
	v_add_nc_u32_e32 v88, v86, v24
	v_cmp_le_i32_e32 vcc_lo, s36, v82
	s_mul_u64 s[38:39], s[34:35], s[2:3]
	v_mad_co_u64_u32 v[10:11], null, s82, v13, 0
	v_sub_co_u32 v8, s3, 0, v32
	v_add_nc_u32_e32 v85, v19, v20
	v_add_nc_u32_e32 v87, 0x2380, v20
	v_lshrrev_b32_e32 v20, 4, v15
	v_mul_u32_u24_e32 v17, 0x108, v12
	v_sub_co_ci_u32_e64 v9, null, 0, 0, s3
	v_cmp_le_i32_e64 s3, s36, v12
	v_cmp_le_i32_e64 s6, s36, v18
	v_mul_u32_u24_e32 v19, 0x420, v12
	v_cmp_le_i32_e64 s13, s16, v12
	v_cmp_le_i32_e64 s16, s16, v18
	v_cmp_eq_u32_e64 s17, 1, v12
	v_mul_i32_i24_e32 v18, 0xffffffe8, v12
	v_mad_u32_u24 v89, v12, 24, v88
	v_mad_co_u64_u32 v[11:12], null, s83, v13, v[11:12]
	s_and_b32 s1, s1, vcc_lo
	v_sub_co_u32 v12, vcc_lo, 0, v1
	v_dual_mov_b32 v2, v7 :: v_dual_lshlrev_b32 v83, 3, v82
	v_and_b32_e32 v22, 15, v0
	v_sub_co_ci_u32_e64 v13, null, 0, v7, vcc_lo
	v_and_b32_e32 v0, 48, v0
	v_lshlrev_b32_e32 v7, 5, v20
	v_cmp_lt_u32_e64 s8, v21, v32
	v_mul_u32_u24_e32 v21, 0x108, v21
	v_cmp_lt_u32_e64 s9, v23, v32
	v_lshlrev_b32_e32 v0, 3, v0
	v_or_b32_e32 v23, 0x78, v83
	v_mad_u32_u24 v93, 0x218, v22, v7
	v_mul_i32_i24_e32 v7, 0xffffffe8, v20
	v_cmp_eq_u32_e64 s0, 0, v14
	s_ashr_i32 s85, s84, 31
	s_lshl_b64 s[44:45], s[82:83], 6
	s_lshl_b64 s[46:47], s[82:83], 7
	s_ashr_i32 s37, s36, 31
	s_lshl_b64 s[50:51], s[82:83], 5
	s_xor_b32 s34, s1, -1
	s_wait_alu 0xfffe
	s_mul_u64 s[42:43], s[82:83], s[84:85]
	s_mul_u64 s[52:53], s[30:31], s[84:85]
	s_cmp_gt_i32 ttmp9, 0
	v_lshlrev_b64_e32 v[34:35], 3, v[5:6]
	v_lshlrev_b64_e32 v[36:37], 3, v[1:2]
	;; [unrolled: 1-line block ×6, first 2 shown]
	v_add_nc_u32_e32 v84, 0x2380, v83
	v_cmp_gt_i32_e64 s2, s36, v32
	v_cmp_gt_u32_e64 s11, 32, v15
	v_add_nc_u32_e32 v90, 0x2180, v83
	v_mad_u32_u24 v92, 0x860, v14, v83
	v_cmp_gt_u32_e64 s18, 64, v15
	v_mad_u32_u24 v94, 0x218, v22, v0
	v_mad_u32_u24 v95, 0x218, v22, v23
	;; [unrolled: 1-line block ×3, first 2 shown]
	v_add_nc_u32_e32 v97, 0x2380, v24
	v_add_nc_u32_e32 v98, v16, v17
	;; [unrolled: 1-line block ×6, first 2 shown]
	v_lshlrev_b32_e32 v103, 3, v32
	s_sub_nc_u64 s[86:87], 0, s[50:51]
	s_sub_nc_u64 s[88:89], 0, s[52:53]
	s_cselect_b32 s95, -1, 0
	s_sub_nc_u64 s[90:91], 0, s[42:43]
	s_and_b32 s96, s0, s34
	s_or_b32 s34, s54, s55
	s_mul_u64 s[48:49], s[82:83], 0xc0
	s_sub_nc_u64 s[52:53], 0, s[36:37]
	s_lshl_b64 s[54:55], s[82:83], 3
	s_lshl_b64 s[56:57], s[82:83], 4
	;; [unrolled: 1-line block ×3, first 2 shown]
	s_mul_u64 s[60:61], s[82:83], 24
	s_mul_u64 s[62:63], s[82:83], 0x90
	;; [unrolled: 1-line block ×3, first 2 shown]
	s_lshl_b64 s[66:67], s[82:83], 8
	s_mul_u64 s[68:69], s[82:83], 0x110
	s_mul_u64 s[70:71], s[82:83], 0x118
	;; [unrolled: 1-line block ×8, first 2 shown]
	s_or_b32 s97, s34, s29
	s_lshl_b64 s[26:27], s[26:27], 3
	s_lshl_b64 s[22:23], s[22:23], 3
	;; [unrolled: 1-line block ×6, first 2 shown]
	s_branch .LBB186_4
.LBB186_2:                              ;   in Loop: Header=BB186_4 Depth=1
	s_or_b32 exec_lo, exec_lo, s29
.LBB186_3:                              ;   in Loop: Header=BB186_4 Depth=1
	s_add_co_i32 s28, s28, 0x10000
	s_delay_alu instid0(SALU_CYCLE_1)
	s_cmp_lt_u32 s28, s19
	s_cbranch_scc0 .LBB186_106
.LBB186_4:                              ; =>This Loop Header: Depth=1
                                        ;     Child Loop BB186_76 Depth 2
	s_and_not1_b32 vcc_lo, exec_lo, s97
	s_wait_alu 0xfffe
	s_cbranch_vccnz .LBB186_3
; %bb.5:                                ;   in Loop: Header=BB186_4 Depth=1
	s_and_b32 vcc_lo, exec_lo, s33
	s_mov_b32 s29, -1
	s_wait_alu 0xfffe
	s_cbranch_vccz .LBB186_7
; %bb.6:                                ;   in Loop: Header=BB186_4 Depth=1
	s_mov_b32 s29, 0
.LBB186_7:                              ;   in Loop: Header=BB186_4 Depth=1
	s_delay_alu instid0(SALU_CYCLE_1)
	s_and_not1_b32 vcc_lo, exec_lo, s29
	s_wait_alu 0xfffe
	s_cbranch_vccnz .LBB186_3
; %bb.8:                                ;   in Loop: Header=BB186_4 Depth=1
	s_mov_b32 s29, s35
	s_delay_alu instid0(SALU_CYCLE_1)
	s_lshl_b64 s[92:93], s[28:29], 3
	s_wait_alu 0xfffe
	s_add_nc_u64 s[98:99], s[24:25], s[92:93]
	s_add_nc_u64 s[92:93], s[20:21], s[92:93]
	s_clause 0x1
	global_load_b64 v[2:3], v33, s[98:99]
	global_load_b64 v[0:1], v33, s[92:93]
	s_wait_loadcnt 0x1
	v_add_co_u32 v2, vcc_lo, v2, s26
	s_wait_alu 0xfffd
	v_add_co_ci_u32_e64 v3, null, s27, v3, vcc_lo
	s_delay_alu instid0(VALU_DEP_2) | instskip(SKIP_1) | instid1(VALU_DEP_2)
	v_add_co_u32 v16, vcc_lo, v2, v34
	s_wait_alu 0xfffd
	v_add_co_ci_u32_e64 v17, null, v3, v35, vcc_lo
	s_and_saveexec_b32 s34, s0
	s_cbranch_execz .LBB186_13
; %bb.9:                                ;   in Loop: Header=BB186_4 Depth=1
	s_and_saveexec_b32 s92, s1
	s_wait_alu 0xfffe
	s_xor_b32 s92, exec_lo, s92
; %bb.10:                               ;   in Loop: Header=BB186_4 Depth=1
	v_mov_b32_e32 v32, v33
	ds_store_b64 v84, v[32:33]
; %bb.11:                               ;   in Loop: Header=BB186_4 Depth=1
	s_wait_alu 0xfffe
	s_and_not1_saveexec_b32 s92, s92
	s_cbranch_execz .LBB186_13
; %bb.12:                               ;   in Loop: Header=BB186_4 Depth=1
	flat_load_b64 v[2:3], v[16:17]
	s_wait_loadcnt_dscnt 0x0
	ds_store_b64 v84, v[2:3]
.LBB186_13:                             ;   in Loop: Header=BB186_4 Depth=1
	s_wait_alu 0xfffe
	s_or_b32 exec_lo, exec_lo, s34
	s_wait_loadcnt 0x0
	v_add_co_u32 v0, vcc_lo, v0, s22
	s_wait_alu 0xfffd
	v_add_co_ci_u32_e64 v1, null, s23, v1, vcc_lo
	s_lshl_b64 s[92:93], s[42:43], 3
	v_add_co_u32 v0, vcc_lo, v0, s84
	s_wait_alu 0xfffd
	v_add_co_ci_u32_e64 v1, null, s85, v1, vcc_lo
	s_mov_b32 s34, -1
	v_add_co_u32 v0, vcc_lo, v0, v36
	s_wait_alu 0xfffd
	v_add_co_ci_u32_e64 v1, null, v1, v37, vcc_lo
	s_wait_alu 0xfffe
	s_delay_alu instid0(VALU_DEP_2) | instskip(SKIP_1) | instid1(VALU_DEP_2)
	v_add_co_u32 v0, vcc_lo, v0, s92
	s_wait_alu 0xfffd
	v_add_co_ci_u32_e64 v1, null, s93, v1, vcc_lo
	s_and_not1_b32 vcc_lo, exec_lo, s94
	s_wait_alu 0xfffe
	s_cbranch_vccnz .LBB186_15
; %bb.14:                               ;   in Loop: Header=BB186_4 Depth=1
	v_add_co_u32 v2, vcc_lo, v0, s44
	s_wait_alu 0xfffd
	v_add_co_ci_u32_e64 v3, null, s45, v1, vcc_lo
	s_mov_b32 s34, 0
	v_add_co_u32 v4, vcc_lo, v2, s44
	s_wait_alu 0xfffd
	v_add_co_ci_u32_e64 v5, null, s45, v3, vcc_lo
	s_delay_alu instid0(VALU_DEP_2) | instskip(SKIP_1) | instid1(VALU_DEP_2)
	v_add_co_u32 v6, vcc_lo, v4, s44
	s_wait_alu 0xfffd
	v_add_co_ci_u32_e64 v7, null, s45, v5, vcc_lo
	s_clause 0x3
	flat_load_b64 v[8:9], v[0:1]
	flat_load_b64 v[2:3], v[2:3]
	;; [unrolled: 1-line block ×4, first 2 shown]
	s_wait_loadcnt_dscnt 0x303
	ds_store_b64 v98, v[8:9]
	s_wait_loadcnt_dscnt 0x203
	ds_store_b64 v98, v[2:3] offset:2112
	s_wait_loadcnt_dscnt 0x103
	ds_store_b64 v98, v[4:5] offset:4224
	;; [unrolled: 2-line block ×3, first 2 shown]
.LBB186_15:                             ;   in Loop: Header=BB186_4 Depth=1
	s_wait_alu 0xfffe
	s_and_not1_b32 vcc_lo, exec_lo, s34
	s_wait_alu 0xfffe
	s_cbranch_vccnz .LBB186_27
; %bb.16:                               ;   in Loop: Header=BB186_4 Depth=1
	s_and_saveexec_b32 s34, s3
	s_wait_alu 0xfffe
	s_xor_b32 s34, exec_lo, s34
; %bb.17:                               ;   in Loop: Header=BB186_4 Depth=1
	v_mov_b32_e32 v32, v33
	ds_store_b64 v98, v[32:33]
; %bb.18:                               ;   in Loop: Header=BB186_4 Depth=1
	s_wait_alu 0xfffe
	s_or_saveexec_b32 s34, s34
	v_add_co_u32 v2, vcc_lo, v0, v38
	s_wait_alu 0xfffd
	v_add_co_ci_u32_e64 v3, null, v1, v39, vcc_lo
	s_lshl_b64 s[92:93], s[36:37], 3
	s_wait_alu 0xfffe
	v_add_co_u32 v2, vcc_lo, v2, s92
	s_wait_alu 0xfffd
	v_add_co_ci_u32_e64 v3, null, s93, v3, vcc_lo
	s_delay_alu instid0(VALU_DEP_2) | instskip(SKIP_1) | instid1(VALU_DEP_2)
	v_add_co_u32 v2, vcc_lo, v2, -8
	s_wait_alu 0xfffd
	v_add_co_ci_u32_e64 v3, null, -1, v3, vcc_lo
	s_delay_alu instid0(VALU_DEP_2) | instskip(NEXT) | instid1(VALU_DEP_2)
	v_cndmask_b32_e64 v2, v2, v0, s2
	v_cndmask_b32_e64 v3, v3, v1, s2
	s_xor_b32 exec_lo, exec_lo, s34
	s_cbranch_execnz .LBB186_88
; %bb.19:                               ;   in Loop: Header=BB186_4 Depth=1
	s_or_b32 exec_lo, exec_lo, s34
	s_and_saveexec_b32 s34, s4
	s_wait_alu 0xfffe
	s_xor_b32 s34, exec_lo, s34
	s_cbranch_execnz .LBB186_89
.LBB186_20:                             ;   in Loop: Header=BB186_4 Depth=1
	s_wait_alu 0xfffe
	s_and_not1_saveexec_b32 s34, s34
	s_cbranch_execnz .LBB186_90
.LBB186_21:                             ;   in Loop: Header=BB186_4 Depth=1
	s_wait_alu 0xfffe
	s_or_b32 exec_lo, exec_lo, s34
	s_and_saveexec_b32 s34, s5
	s_wait_alu 0xfffe
	s_xor_b32 s34, exec_lo, s34
	s_cbranch_execnz .LBB186_91
.LBB186_22:                             ;   in Loop: Header=BB186_4 Depth=1
	s_wait_alu 0xfffe
	s_and_not1_saveexec_b32 s34, s34
	s_cbranch_execnz .LBB186_92
.LBB186_23:                             ;   in Loop: Header=BB186_4 Depth=1
	s_wait_alu 0xfffe
	s_or_b32 exec_lo, exec_lo, s34
	s_and_saveexec_b32 s34, s6
	s_wait_alu 0xfffe
	s_xor_b32 s34, exec_lo, s34
	s_cbranch_execnz .LBB186_93
.LBB186_24:                             ;   in Loop: Header=BB186_4 Depth=1
	s_wait_alu 0xfffe
	s_and_not1_saveexec_b32 s34, s34
	s_cbranch_execz .LBB186_26
.LBB186_25:                             ;   in Loop: Header=BB186_4 Depth=1
	v_add_co_u32 v4, vcc_lo, v2, s48
	s_wait_alu 0xfffd
	v_add_co_ci_u32_e64 v5, null, s49, v3, vcc_lo
	flat_load_b64 v[4:5], v[4:5]
	s_wait_loadcnt_dscnt 0x0
	ds_store_b64 v98, v[4:5] offset:6336
.LBB186_26:                             ;   in Loop: Header=BB186_4 Depth=1
	s_wait_alu 0xfffe
	s_or_b32 exec_lo, exec_lo, s34
	v_add_co_u32 v2, vcc_lo, v2, v103
	s_wait_alu 0xfffd
	v_add_co_ci_u32_e64 v3, null, 0, v3, vcc_lo
	s_lshl_b64 s[92:93], s[52:53], 3
	s_wait_alu 0xfffe
	v_add_co_u32 v2, vcc_lo, v2, s92
	s_wait_alu 0xfffd
	v_add_co_ci_u32_e64 v3, null, s93, v3, vcc_lo
	s_delay_alu instid0(VALU_DEP_2) | instskip(SKIP_1) | instid1(VALU_DEP_2)
	v_add_co_u32 v2, vcc_lo, v2, 8
	s_wait_alu 0xfffd
	v_add_co_ci_u32_e64 v3, null, 0, v3, vcc_lo
	s_delay_alu instid0(VALU_DEP_2) | instskip(NEXT) | instid1(VALU_DEP_2)
	v_cndmask_b32_e64 v0, v2, v0, s2
	v_cndmask_b32_e64 v1, v3, v1, s2
.LBB186_27:                             ;   in Loop: Header=BB186_4 Depth=1
	s_wait_dscnt 0x0
	s_barrier_signal -1
	s_barrier_wait -1
	global_inv scope:SCOPE_SE
	s_and_saveexec_b32 s34, s7
	s_cbranch_execnz .LBB186_82
; %bb.28:                               ;   in Loop: Header=BB186_4 Depth=1
	s_wait_alu 0xfffe
	s_or_b32 exec_lo, exec_lo, s34
	s_and_saveexec_b32 s34, s8
	s_cbranch_execnz .LBB186_83
.LBB186_29:                             ;   in Loop: Header=BB186_4 Depth=1
	s_wait_alu 0xfffe
	s_or_b32 exec_lo, exec_lo, s34
	s_and_saveexec_b32 s34, s9
	s_cbranch_execnz .LBB186_84
.LBB186_30:                             ;   in Loop: Header=BB186_4 Depth=1
	s_wait_alu 0xfffe
	s_or_b32 exec_lo, exec_lo, s34
	s_and_saveexec_b32 s34, s10
	s_cbranch_execz .LBB186_32
.LBB186_31:                             ;   in Loop: Header=BB186_4 Depth=1
	ds_load_b64 v[2:3], v100 offset:528
	s_wait_dscnt 0x0
	ds_store_b64 v85, v[2:3] offset:24
.LBB186_32:                             ;   in Loop: Header=BB186_4 Depth=1
	s_wait_alu 0xfffe
	s_or_b32 exec_lo, exec_lo, s34
	s_wait_loadcnt_dscnt 0x0
	s_barrier_signal -1
	s_barrier_wait -1
	global_inv scope:SCOPE_SE
	ds_load_b64 v[14:15], v99
	ds_load_b128 v[2:5], v87
	ds_load_2addr_b64 v[6:9], v100 offset1:33
	ds_load_b128 v[10:13], v87 offset:16
	ds_load_b64 v[18:19], v100 offset:528
	s_wait_loadcnt_dscnt 0x0
	s_barrier_signal -1
	s_barrier_wait -1
	global_inv scope:SCOPE_SE
	v_dual_mov_b32 v47, 0 :: v_dual_mul_f32 v20, v3, v15
	v_dual_mul_f32 v15, v2, v15 :: v_dual_mul_f32 v22, v11, v9
	v_mul_f32_e32 v9, v10, v9
	s_delay_alu instid0(VALU_DEP_3) | instskip(SKIP_1) | instid1(VALU_DEP_4)
	v_fma_f32 v2, v2, v14, -v20
	v_mul_f32_e32 v21, v5, v7
	v_fmac_f32_e32 v15, v3, v14
	s_delay_alu instid0(VALU_DEP_4) | instskip(SKIP_3) | instid1(VALU_DEP_1)
	v_fmac_f32_e32 v9, v11, v8
	v_fma_f32 v10, v10, v8, -v22
	v_dual_add_f32 v2, 0, v2 :: v_dual_mul_f32 v7, v4, v7
	v_fma_f32 v4, v4, v6, -v21
	v_dual_add_f32 v2, v2, v4 :: v_dual_fmac_f32 v7, v5, v6
	v_mul_f32_e32 v6, v12, v19
	v_add_f32_e32 v5, 0, v15
	s_delay_alu instid0(VALU_DEP_3) | instskip(NEXT) | instid1(VALU_DEP_3)
	v_dual_mul_f32 v3, v13, v19 :: v_dual_add_f32 v2, v2, v10
	v_fmac_f32_e32 v6, v13, v18
	s_delay_alu instid0(VALU_DEP_3) | instskip(NEXT) | instid1(VALU_DEP_3)
	v_add_f32_e32 v4, v5, v7
	v_fma_f32 v3, v12, v18, -v3
	s_delay_alu instid0(VALU_DEP_2) | instskip(SKIP_1) | instid1(VALU_DEP_2)
	v_add_f32_e32 v4, v4, v9
	v_mov_b32_e32 v46, 0
	v_dual_add_f32 v2, v2, v3 :: v_dual_add_f32 v3, v4, v6
	ds_store_b64 v88, v[2:3]
	s_wait_loadcnt_dscnt 0x0
	s_barrier_signal -1
	s_barrier_wait -1
	global_inv scope:SCOPE_SE
	s_and_saveexec_b32 s34, s11
	s_cbranch_execz .LBB186_34
; %bb.33:                               ;   in Loop: Header=BB186_4 Depth=1
	ds_load_2addr_b64 v[2:5], v86 offset1:7
	ds_load_2addr_b64 v[6:9], v86 offset0:1 offset1:2
	ds_load_2addr_b64 v[10:13], v86 offset0:3 offset1:4
	;; [unrolled: 1-line block ×3, first 2 shown]
	s_wait_dscnt 0x2
	v_dual_add_f32 v2, v6, v2 :: v_dual_add_f32 v3, v7, v3
	s_delay_alu instid0(VALU_DEP_1) | instskip(SKIP_1) | instid1(VALU_DEP_1)
	v_dual_add_f32 v2, v8, v2 :: v_dual_add_f32 v3, v9, v3
	s_wait_dscnt 0x1
	v_dual_add_f32 v2, v2, v10 :: v_dual_add_f32 v3, v3, v11
	s_delay_alu instid0(VALU_DEP_1) | instskip(SKIP_1) | instid1(VALU_DEP_1)
	v_dual_add_f32 v2, v2, v12 :: v_dual_add_f32 v3, v3, v13
	s_wait_dscnt 0x0
	v_dual_add_f32 v2, v2, v18 :: v_dual_add_f32 v3, v3, v19
	s_delay_alu instid0(VALU_DEP_1) | instskip(NEXT) | instid1(VALU_DEP_1)
	v_dual_add_f32 v2, v2, v20 :: v_dual_add_f32 v3, v3, v21
	v_dual_add_f32 v46, v2, v4 :: v_dual_add_f32 v47, v3, v5
.LBB186_34:                             ;   in Loop: Header=BB186_4 Depth=1
	s_wait_alu 0xfffe
	s_or_b32 exec_lo, exec_lo, s34
	s_lshl_b64 s[92:93], s[50:51], 3
	s_mov_b32 s34, -1
	s_wait_alu 0xfffe
	v_add_co_u32 v0, vcc_lo, v0, s92
	s_wait_alu 0xfffd
	v_add_co_ci_u32_e64 v1, null, s93, v1, vcc_lo
	s_and_not1_b32 vcc_lo, exec_lo, s94
	s_wait_loadcnt 0x0
	s_barrier_signal -1
	s_barrier_wait -1
	global_inv scope:SCOPE_SE
	s_wait_alu 0xfffe
	s_cbranch_vccnz .LBB186_36
; %bb.35:                               ;   in Loop: Header=BB186_4 Depth=1
	v_add_co_u32 v2, vcc_lo, v0, s44
	s_wait_alu 0xfffd
	v_add_co_ci_u32_e64 v3, null, s45, v1, vcc_lo
	s_mov_b32 s34, 0
	v_add_co_u32 v4, vcc_lo, v2, s44
	s_wait_alu 0xfffd
	v_add_co_ci_u32_e64 v5, null, s45, v3, vcc_lo
	s_delay_alu instid0(VALU_DEP_2) | instskip(SKIP_1) | instid1(VALU_DEP_2)
	v_add_co_u32 v6, vcc_lo, v4, s44
	s_wait_alu 0xfffd
	v_add_co_ci_u32_e64 v7, null, s45, v5, vcc_lo
	s_clause 0x3
	flat_load_b64 v[8:9], v[0:1] offset:256
	flat_load_b64 v[2:3], v[2:3] offset:256
	;; [unrolled: 1-line block ×4, first 2 shown]
	s_wait_loadcnt_dscnt 0x303
	ds_store_b64 v98, v[8:9]
	s_wait_loadcnt_dscnt 0x203
	ds_store_b64 v98, v[2:3] offset:2112
	s_wait_loadcnt_dscnt 0x103
	ds_store_b64 v98, v[4:5] offset:4224
	;; [unrolled: 2-line block ×3, first 2 shown]
.LBB186_36:                             ;   in Loop: Header=BB186_4 Depth=1
	v_add_co_u32 v2, vcc_lo, 0x100, v0
	s_wait_alu 0xfffd
	v_add_co_ci_u32_e64 v3, null, 0, v1, vcc_lo
	s_wait_alu 0xfffe
	s_and_not1_b32 vcc_lo, exec_lo, s34
	s_wait_alu 0xfffe
	s_cbranch_vccnz .LBB186_48
; %bb.37:                               ;   in Loop: Header=BB186_4 Depth=1
	s_and_saveexec_b32 s34, s13
	s_wait_alu 0xfffe
	s_xor_b32 s34, exec_lo, s34
; %bb.38:                               ;   in Loop: Header=BB186_4 Depth=1
	v_mov_b32_e32 v32, v33
	ds_store_b64 v98, v[32:33]
; %bb.39:                               ;   in Loop: Header=BB186_4 Depth=1
	s_wait_alu 0xfffe
	s_or_saveexec_b32 s34, s34
	v_add_co_u32 v0, vcc_lo, v0, v38
	s_wait_alu 0xfffd
	v_add_co_ci_u32_e64 v1, null, v1, v39, vcc_lo
	s_lshl_b64 s[92:93], s[36:37], 3
	s_wait_alu 0xfffe
	v_add_co_u32 v0, vcc_lo, v0, s92
	s_wait_alu 0xfffd
	v_add_co_ci_u32_e64 v1, null, s93, v1, vcc_lo
	s_delay_alu instid0(VALU_DEP_2) | instskip(SKIP_1) | instid1(VALU_DEP_2)
	v_add_co_u32 v0, vcc_lo, v0, -8
	s_wait_alu 0xfffd
	v_add_co_ci_u32_e64 v1, null, -1, v1, vcc_lo
	s_delay_alu instid0(VALU_DEP_2) | instskip(NEXT) | instid1(VALU_DEP_2)
	v_cndmask_b32_e64 v0, v0, v2, s12
	v_cndmask_b32_e64 v1, v1, v3, s12
	s_xor_b32 exec_lo, exec_lo, s34
	s_cbranch_execnz .LBB186_94
; %bb.40:                               ;   in Loop: Header=BB186_4 Depth=1
	s_or_b32 exec_lo, exec_lo, s34
	s_and_saveexec_b32 s34, s14
	s_wait_alu 0xfffe
	s_xor_b32 s34, exec_lo, s34
	s_cbranch_execnz .LBB186_95
.LBB186_41:                             ;   in Loop: Header=BB186_4 Depth=1
	s_wait_alu 0xfffe
	s_and_not1_saveexec_b32 s34, s34
	s_cbranch_execnz .LBB186_96
.LBB186_42:                             ;   in Loop: Header=BB186_4 Depth=1
	s_wait_alu 0xfffe
	s_or_b32 exec_lo, exec_lo, s34
	s_and_saveexec_b32 s34, s15
	s_wait_alu 0xfffe
	s_xor_b32 s34, exec_lo, s34
	s_cbranch_execnz .LBB186_97
.LBB186_43:                             ;   in Loop: Header=BB186_4 Depth=1
	s_wait_alu 0xfffe
	s_and_not1_saveexec_b32 s34, s34
	s_cbranch_execnz .LBB186_98
.LBB186_44:                             ;   in Loop: Header=BB186_4 Depth=1
	s_wait_alu 0xfffe
	s_or_b32 exec_lo, exec_lo, s34
	s_and_saveexec_b32 s34, s16
	s_wait_alu 0xfffe
	s_xor_b32 s34, exec_lo, s34
	s_cbranch_execnz .LBB186_99
.LBB186_45:                             ;   in Loop: Header=BB186_4 Depth=1
	s_wait_alu 0xfffe
	s_and_not1_saveexec_b32 s34, s34
	s_cbranch_execz .LBB186_47
.LBB186_46:                             ;   in Loop: Header=BB186_4 Depth=1
	v_add_co_u32 v4, vcc_lo, v0, s48
	s_wait_alu 0xfffd
	v_add_co_ci_u32_e64 v5, null, s49, v1, vcc_lo
	flat_load_b64 v[4:5], v[4:5]
	s_wait_loadcnt_dscnt 0x0
	ds_store_b64 v98, v[4:5] offset:6336
.LBB186_47:                             ;   in Loop: Header=BB186_4 Depth=1
	s_wait_alu 0xfffe
	s_or_b32 exec_lo, exec_lo, s34
	v_add_co_u32 v0, vcc_lo, v0, v103
	s_wait_alu 0xfffd
	v_add_co_ci_u32_e64 v1, null, 0, v1, vcc_lo
	s_lshl_b64 s[92:93], s[52:53], 3
	s_wait_alu 0xfffe
	v_add_co_u32 v0, vcc_lo, v0, s92
	s_wait_alu 0xfffd
	v_add_co_ci_u32_e64 v1, null, s93, v1, vcc_lo
	s_delay_alu instid0(VALU_DEP_2) | instskip(SKIP_1) | instid1(VALU_DEP_2)
	v_add_co_u32 v0, vcc_lo, 0x108, v0
	s_wait_alu 0xfffd
	v_add_co_ci_u32_e64 v1, null, 0, v1, vcc_lo
	s_delay_alu instid0(VALU_DEP_2) | instskip(NEXT) | instid1(VALU_DEP_2)
	v_cndmask_b32_e64 v2, v0, v2, s12
	v_cndmask_b32_e64 v3, v1, v3, s12
.LBB186_48:                             ;   in Loop: Header=BB186_4 Depth=1
	s_wait_loadcnt_dscnt 0x0
	s_barrier_signal -1
	s_barrier_wait -1
	global_inv scope:SCOPE_SE
	s_and_saveexec_b32 s34, s7
	s_cbranch_execnz .LBB186_85
; %bb.49:                               ;   in Loop: Header=BB186_4 Depth=1
	s_wait_alu 0xfffe
	s_or_b32 exec_lo, exec_lo, s34
	s_and_saveexec_b32 s34, s8
	s_cbranch_execnz .LBB186_86
.LBB186_50:                             ;   in Loop: Header=BB186_4 Depth=1
	s_wait_alu 0xfffe
	s_or_b32 exec_lo, exec_lo, s34
	s_and_saveexec_b32 s34, s9
	s_cbranch_execnz .LBB186_87
.LBB186_51:                             ;   in Loop: Header=BB186_4 Depth=1
	s_wait_alu 0xfffe
	s_or_b32 exec_lo, exec_lo, s34
	s_and_saveexec_b32 s34, s10
	s_cbranch_execz .LBB186_53
.LBB186_52:                             ;   in Loop: Header=BB186_4 Depth=1
	ds_load_b64 v[0:1], v100 offset:528
	s_wait_dscnt 0x0
	ds_store_b64 v85, v[0:1] offset:24
.LBB186_53:                             ;   in Loop: Header=BB186_4 Depth=1
	s_wait_alu 0xfffe
	s_or_b32 exec_lo, exec_lo, s34
	s_wait_loadcnt_dscnt 0x0
	s_barrier_signal -1
	s_barrier_wait -1
	global_inv scope:SCOPE_SE
	ds_load_b64 v[0:1], v99
	ds_load_b128 v[4:7], v87 offset:256
	ds_load_2addr_b64 v[8:11], v100 offset1:33
	ds_load_b128 v[12:15], v87 offset:272
	ds_load_b64 v[18:19], v100 offset:528
	s_wait_loadcnt_dscnt 0x0
	s_barrier_signal -1
	s_barrier_wait -1
	global_inv scope:SCOPE_SE
	v_mul_f32_e32 v20, v5, v1
	v_dual_mul_f32 v1, v4, v1 :: v_dual_mul_f32 v22, v13, v11
	v_mul_f32_e32 v11, v12, v11
	s_delay_alu instid0(VALU_DEP_3) | instskip(SKIP_3) | instid1(VALU_DEP_4)
	v_fma_f32 v4, v4, v0, -v20
	v_mul_f32_e32 v21, v7, v9
	v_mul_f32_e32 v9, v6, v9
	v_dual_fmac_f32 v1, v5, v0 :: v_dual_mul_f32 v0, v15, v19
	v_add_f32_e32 v4, 0, v4
	s_delay_alu instid0(VALU_DEP_4) | instskip(NEXT) | instid1(VALU_DEP_4)
	v_fma_f32 v5, v6, v8, -v21
	v_dual_fmac_f32 v9, v7, v8 :: v_dual_mul_f32 v6, v14, v19
	s_delay_alu instid0(VALU_DEP_4) | instskip(SKIP_1) | instid1(VALU_DEP_4)
	v_add_f32_e32 v1, 0, v1
	v_fma_f32 v7, v12, v10, -v22
	v_dual_add_f32 v4, v4, v5 :: v_dual_fmac_f32 v11, v13, v10
	v_fma_f32 v0, v14, v18, -v0
	v_fmac_f32_e32 v6, v15, v18
	s_delay_alu instid0(VALU_DEP_3) | instskip(NEXT) | instid1(VALU_DEP_1)
	v_dual_add_f32 v4, v4, v7 :: v_dual_add_f32 v1, v1, v9
	v_dual_add_f32 v0, v4, v0 :: v_dual_add_f32 v1, v1, v11
	s_delay_alu instid0(VALU_DEP_1)
	v_add_f32_e32 v1, v1, v6
	ds_store_b64 v88, v[0:1]
	s_wait_loadcnt_dscnt 0x0
	s_barrier_signal -1
	s_barrier_wait -1
	global_inv scope:SCOPE_SE
	s_and_saveexec_b32 s34, s17
	s_cbranch_execz .LBB186_55
; %bb.54:                               ;   in Loop: Header=BB186_4 Depth=1
	ds_load_2addr_b64 v[4:7], v86 offset1:7
	ds_load_2addr_b64 v[8:11], v86 offset0:1 offset1:2
	ds_load_2addr_b64 v[12:15], v86 offset0:3 offset1:4
	;; [unrolled: 1-line block ×3, first 2 shown]
	s_wait_dscnt 0x2
	v_dual_add_f32 v0, v8, v4 :: v_dual_add_f32 v1, v9, v5
	s_delay_alu instid0(VALU_DEP_1) | instskip(SKIP_1) | instid1(VALU_DEP_1)
	v_dual_add_f32 v0, v10, v0 :: v_dual_add_f32 v1, v11, v1
	s_wait_dscnt 0x1
	v_dual_add_f32 v0, v0, v12 :: v_dual_add_f32 v1, v1, v13
	s_delay_alu instid0(VALU_DEP_1) | instskip(SKIP_1) | instid1(VALU_DEP_1)
	v_dual_add_f32 v0, v0, v14 :: v_dual_add_f32 v1, v1, v15
	s_wait_dscnt 0x0
	v_dual_add_f32 v0, v0, v18 :: v_dual_add_f32 v1, v1, v19
	s_delay_alu instid0(VALU_DEP_1) | instskip(NEXT) | instid1(VALU_DEP_1)
	v_dual_add_f32 v0, v0, v20 :: v_dual_add_f32 v1, v1, v21
	v_dual_add_f32 v46, v0, v6 :: v_dual_add_f32 v47, v1, v7
.LBB186_55:                             ;   in Loop: Header=BB186_4 Depth=1
	s_wait_alu 0xfffe
	s_or_b32 exec_lo, exec_lo, s34
	v_add_co_u32 v18, vcc_lo, v2, s86
	s_wait_alu 0xfffd
	v_add_co_ci_u32_e64 v19, null, s87, v3, vcc_lo
	s_and_not1_b32 vcc_lo, exec_lo, s94
	s_mov_b32 s34, -1
	s_wait_loadcnt 0x0
	s_barrier_signal -1
	s_barrier_wait -1
	global_inv scope:SCOPE_SE
	s_wait_alu 0xfffe
	s_cbranch_vccnz .LBB186_57
; %bb.56:                               ;   in Loop: Header=BB186_4 Depth=1
	v_add_co_u32 v0, vcc_lo, v18, s44
	s_wait_alu 0xfffd
	v_add_co_ci_u32_e64 v1, null, s45, v19, vcc_lo
	s_mov_b32 s34, 0
	v_add_co_u32 v2, vcc_lo, v0, s44
	s_wait_alu 0xfffd
	v_add_co_ci_u32_e64 v3, null, s45, v1, vcc_lo
	s_delay_alu instid0(VALU_DEP_2) | instskip(SKIP_1) | instid1(VALU_DEP_2)
	v_add_co_u32 v4, vcc_lo, v2, s44
	s_wait_alu 0xfffd
	v_add_co_ci_u32_e64 v5, null, s45, v3, vcc_lo
	s_clause 0x3
	flat_load_b64 v[6:7], v[18:19]
	flat_load_b64 v[0:1], v[0:1]
	flat_load_b64 v[2:3], v[2:3]
	flat_load_b64 v[4:5], v[4:5]
	s_wait_loadcnt_dscnt 0x303
	ds_store_b64 v98, v[6:7]
	s_wait_loadcnt_dscnt 0x203
	ds_store_b64 v98, v[0:1] offset:2112
	s_wait_loadcnt_dscnt 0x103
	ds_store_b64 v98, v[2:3] offset:4224
	;; [unrolled: 2-line block ×3, first 2 shown]
.LBB186_57:                             ;   in Loop: Header=BB186_4 Depth=1
	s_wait_alu 0xfffe
	s_and_not1_b32 vcc_lo, exec_lo, s34
	s_wait_alu 0xfffe
	s_cbranch_vccnz .LBB186_69
; %bb.58:                               ;   in Loop: Header=BB186_4 Depth=1
	s_and_saveexec_b32 s34, s3
	s_wait_alu 0xfffe
	s_xor_b32 s34, exec_lo, s34
; %bb.59:                               ;   in Loop: Header=BB186_4 Depth=1
	v_mov_b32_e32 v32, v33
	ds_store_b64 v98, v[32:33]
; %bb.60:                               ;   in Loop: Header=BB186_4 Depth=1
	s_wait_alu 0xfffe
	s_or_saveexec_b32 s34, s34
	v_add_co_u32 v0, vcc_lo, v18, v38
	s_wait_alu 0xfffd
	v_add_co_ci_u32_e64 v1, null, v19, v39, vcc_lo
	s_lshl_b64 s[92:93], s[36:37], 3
	s_wait_alu 0xfffe
	v_add_co_u32 v0, vcc_lo, v0, s92
	s_wait_alu 0xfffd
	v_add_co_ci_u32_e64 v1, null, s93, v1, vcc_lo
	s_delay_alu instid0(VALU_DEP_2) | instskip(SKIP_1) | instid1(VALU_DEP_2)
	v_add_co_u32 v0, vcc_lo, 0xfffffef8, v0
	s_wait_alu 0xfffd
	v_add_co_ci_u32_e64 v1, null, -1, v1, vcc_lo
	s_delay_alu instid0(VALU_DEP_2) | instskip(NEXT) | instid1(VALU_DEP_2)
	v_cndmask_b32_e64 v0, v0, v18, s12
	v_cndmask_b32_e64 v1, v1, v19, s12
	s_xor_b32 exec_lo, exec_lo, s34
	s_cbranch_execnz .LBB186_100
; %bb.61:                               ;   in Loop: Header=BB186_4 Depth=1
	s_or_b32 exec_lo, exec_lo, s34
	s_and_saveexec_b32 s34, s4
	s_wait_alu 0xfffe
	s_xor_b32 s34, exec_lo, s34
	s_cbranch_execnz .LBB186_101
.LBB186_62:                             ;   in Loop: Header=BB186_4 Depth=1
	s_wait_alu 0xfffe
	s_and_not1_saveexec_b32 s34, s34
	s_cbranch_execnz .LBB186_102
.LBB186_63:                             ;   in Loop: Header=BB186_4 Depth=1
	s_wait_alu 0xfffe
	s_or_b32 exec_lo, exec_lo, s34
	s_and_saveexec_b32 s34, s5
	s_wait_alu 0xfffe
	s_xor_b32 s34, exec_lo, s34
	s_cbranch_execnz .LBB186_103
.LBB186_64:                             ;   in Loop: Header=BB186_4 Depth=1
	s_wait_alu 0xfffe
	s_and_not1_saveexec_b32 s34, s34
	s_cbranch_execnz .LBB186_104
.LBB186_65:                             ;   in Loop: Header=BB186_4 Depth=1
	s_wait_alu 0xfffe
	s_or_b32 exec_lo, exec_lo, s34
	s_and_saveexec_b32 s34, s6
	s_wait_alu 0xfffe
	s_xor_b32 s34, exec_lo, s34
	s_cbranch_execnz .LBB186_105
.LBB186_66:                             ;   in Loop: Header=BB186_4 Depth=1
	s_wait_alu 0xfffe
	s_and_not1_saveexec_b32 s34, s34
	s_cbranch_execz .LBB186_68
.LBB186_67:                             ;   in Loop: Header=BB186_4 Depth=1
	v_add_co_u32 v2, vcc_lo, v0, s48
	s_wait_alu 0xfffd
	v_add_co_ci_u32_e64 v3, null, s49, v1, vcc_lo
	flat_load_b64 v[2:3], v[2:3]
	s_wait_loadcnt_dscnt 0x0
	ds_store_b64 v98, v[2:3] offset:6336
.LBB186_68:                             ;   in Loop: Header=BB186_4 Depth=1
	s_wait_alu 0xfffe
	s_or_b32 exec_lo, exec_lo, s34
	v_add_co_u32 v0, vcc_lo, v0, v103
	s_wait_alu 0xfffd
	v_add_co_ci_u32_e64 v1, null, 0, v1, vcc_lo
	s_lshl_b64 s[92:93], s[52:53], 3
	s_wait_alu 0xfffe
	v_add_co_u32 v0, vcc_lo, v0, s92
	s_wait_alu 0xfffd
	v_add_co_ci_u32_e64 v1, null, s93, v1, vcc_lo
	s_delay_alu instid0(VALU_DEP_2) | instskip(SKIP_1) | instid1(VALU_DEP_2)
	v_add_co_u32 v0, vcc_lo, 0x108, v0
	s_wait_alu 0xfffd
	v_add_co_ci_u32_e64 v1, null, 0, v1, vcc_lo
	s_delay_alu instid0(VALU_DEP_2) | instskip(NEXT) | instid1(VALU_DEP_2)
	v_cndmask_b32_e64 v18, v0, v18, s12
	v_cndmask_b32_e64 v19, v1, v19, s12
.LBB186_69:                             ;   in Loop: Header=BB186_4 Depth=1
	s_wait_loadcnt_dscnt 0x0
	s_barrier_signal -1
	s_barrier_wait -1
	global_inv scope:SCOPE_SE
	ds_load_b64 v[24:25], v101
	ds_load_b64 v[26:27], v98
	ds_load_b64 v[28:29], v98 offset:2112
	ds_load_2addr_b64 v[20:23], v97 offset0:8 offset1:16
	ds_load_b64 v[30:31], v98 offset:6336
	ds_load_b64 v[48:49], v98 offset:4224
	;; [unrolled: 1-line block ×3, first 2 shown]
	ds_load_b128 v[8:11], v87 offset:256
	ds_load_b128 v[0:3], v87 offset:272
	ds_load_2addr_b64 v[12:15], v89 offset1:1
	ds_load_2addr_b64 v[4:7], v89 offset0:2 offset1:3
	s_wait_loadcnt_dscnt 0x0
	s_barrier_signal -1
	s_barrier_wait -1
	global_inv scope:SCOPE_SE
	v_mul_f32_e32 v32, v25, v27
	v_dual_mul_f32 v27, v24, v27 :: v_dual_mul_f32 v52, v21, v29
	v_mul_f32_e32 v29, v20, v29
	v_mul_f32_e32 v53, v23, v49
	;; [unrolled: 1-line block ×3, first 2 shown]
	v_fma_f32 v24, v24, v26, -v32
	v_dual_fmac_f32 v27, v25, v26 :: v_dual_mul_f32 v26, v50, v31
	v_mul_f32_e32 v25, v22, v49
	v_fma_f32 v20, v20, v28, -v52
	v_fmac_f32_e32 v29, v21, v28
	v_fma_f32 v22, v22, v48, -v53
	v_dual_add_f32 v21, 0, v24 :: v_dual_add_f32 v24, 0, v27
	v_fmac_f32_e32 v26, v51, v30
	s_delay_alu instid0(VALU_DEP_2) | instskip(NEXT) | instid1(VALU_DEP_1)
	v_dual_add_f32 v20, v21, v20 :: v_dual_add_f32 v21, v24, v29
	v_dual_add_f32 v20, v20, v22 :: v_dual_fmac_f32 v25, v23, v48
	v_fma_f32 v23, v50, v30, -v54
	s_delay_alu instid0(VALU_DEP_1) | instskip(NEXT) | instid1(VALU_DEP_1)
	v_dual_add_f32 v20, v20, v23 :: v_dual_add_f32 v21, v21, v25
	v_add_f32_e32 v21, v21, v26
	ds_store_b64 v88, v[20:21]
	s_wait_loadcnt_dscnt 0x0
	s_barrier_signal -1
	s_barrier_wait -1
	global_inv scope:SCOPE_SE
	s_and_saveexec_b32 s34, s17
	s_cbranch_execz .LBB186_71
; %bb.70:                               ;   in Loop: Header=BB186_4 Depth=1
	ds_load_2addr_b64 v[20:23], v86 offset1:1
	ds_load_2addr_b64 v[24:27], v86 offset0:2 offset1:3
	ds_load_2addr_b64 v[28:31], v86 offset0:4 offset1:5
	s_wait_dscnt 0x2
	v_dual_add_f32 v20, v46, v20 :: v_dual_add_f32 v21, v47, v21
	s_delay_alu instid0(VALU_DEP_1) | instskip(NEXT) | instid1(VALU_DEP_2)
	v_add_f32_e32 v46, v21, v23
	v_add_f32_e32 v32, v20, v22
	ds_load_2addr_b64 v[20:23], v86 offset0:6 offset1:7
	s_wait_dscnt 0x2
	v_dual_add_f32 v25, v46, v25 :: v_dual_add_f32 v24, v32, v24
	s_delay_alu instid0(VALU_DEP_1) | instskip(SKIP_1) | instid1(VALU_DEP_1)
	v_dual_add_f32 v25, v25, v27 :: v_dual_add_f32 v24, v24, v26
	s_wait_dscnt 0x1
	v_dual_add_f32 v25, v25, v29 :: v_dual_add_f32 v24, v24, v28
	s_delay_alu instid0(VALU_DEP_1) | instskip(SKIP_1) | instid1(VALU_DEP_1)
	v_dual_add_f32 v25, v25, v31 :: v_dual_add_f32 v24, v24, v30
	s_wait_dscnt 0x0
	v_dual_add_f32 v21, v25, v21 :: v_dual_add_f32 v20, v24, v20
	s_delay_alu instid0(VALU_DEP_1)
	v_dual_add_f32 v47, v21, v23 :: v_dual_add_f32 v46, v20, v22
.LBB186_71:                             ;   in Loop: Header=BB186_4 Depth=1
	s_wait_alu 0xfffe
	s_or_b32 exec_lo, exec_lo, s34
	v_dual_mul_f32 v20, v9, v13 :: v_dual_mul_f32 v21, v11, v15
	v_mul_f32_e32 v13, v8, v13
	v_dual_mul_f32 v15, v10, v15 :: v_dual_mul_f32 v22, v1, v5
	s_delay_alu instid0(VALU_DEP_3) | instskip(NEXT) | instid1(VALU_DEP_4)
	v_fma_f32 v8, v8, v12, -v20
	v_fma_f32 v10, v10, v14, -v21
	v_mul_f32_e32 v5, v0, v5
	s_delay_alu instid0(VALU_DEP_4)
	v_fmac_f32_e32 v15, v11, v14
	v_fma_f32 v0, v0, v4, -v22
	v_add_f32_e32 v8, 0, v8
	v_fmac_f32_e32 v13, v9, v12
	v_fmac_f32_e32 v5, v1, v4
	s_wait_loadcnt 0x0
	s_barrier_signal -1
	v_dual_add_f32 v8, v8, v10 :: v_dual_mul_f32 v9, v3, v7
	v_mul_f32_e32 v7, v2, v7
	s_barrier_wait -1
	global_inv scope:SCOPE_SE
	v_add_f32_e32 v0, v8, v0
	v_fma_f32 v2, v2, v6, -v9
	v_add_f32_e32 v11, 0, v13
	v_fmac_f32_e32 v7, v3, v6
	s_delay_alu instid0(VALU_DEP_2) | instskip(NEXT) | instid1(VALU_DEP_1)
	v_dual_add_f32 v0, v0, v2 :: v_dual_add_f32 v1, v11, v15
	v_add_f32_e32 v1, v1, v5
	s_delay_alu instid0(VALU_DEP_1)
	v_add_f32_e32 v1, v1, v7
	ds_store_b64 v88, v[0:1]
	s_wait_loadcnt_dscnt 0x0
	s_barrier_signal -1
	s_barrier_wait -1
	global_inv scope:SCOPE_SE
	s_and_saveexec_b32 s34, s11
	s_cbranch_execz .LBB186_73
; %bb.72:                               ;   in Loop: Header=BB186_4 Depth=1
	ds_load_2addr_b64 v[0:3], v86 offset1:1
	ds_load_2addr_b64 v[4:7], v86 offset0:2 offset1:3
	ds_load_2addr_b64 v[8:11], v86 offset0:4 offset1:5
	s_wait_dscnt 0x2
	v_dual_add_f32 v0, v46, v0 :: v_dual_add_f32 v1, v47, v1
	s_delay_alu instid0(VALU_DEP_1) | instskip(SKIP_3) | instid1(VALU_DEP_1)
	v_dual_add_f32 v12, v0, v2 :: v_dual_add_f32 v13, v1, v3
	ds_load_2addr_b64 v[0:3], v86 offset0:6 offset1:7
	s_wait_dscnt 0x2
	v_dual_add_f32 v4, v12, v4 :: v_dual_add_f32 v5, v13, v5
	v_dual_add_f32 v4, v4, v6 :: v_dual_add_f32 v5, v5, v7
	s_wait_dscnt 0x1
	s_delay_alu instid0(VALU_DEP_1) | instskip(NEXT) | instid1(VALU_DEP_1)
	v_dual_add_f32 v4, v4, v8 :: v_dual_add_f32 v5, v5, v9
	v_dual_add_f32 v4, v4, v10 :: v_dual_add_f32 v5, v5, v11
	s_wait_dscnt 0x0
	s_delay_alu instid0(VALU_DEP_1) | instskip(NEXT) | instid1(VALU_DEP_1)
	v_dual_add_f32 v0, v4, v0 :: v_dual_add_f32 v1, v5, v1
	v_dual_add_f32 v46, v0, v2 :: v_dual_add_f32 v47, v1, v3
.LBB186_73:                             ;   in Loop: Header=BB186_4 Depth=1
	s_wait_alu 0xfffe
	s_or_b32 exec_lo, exec_lo, s34
	s_mul_u64 s[92:93], s[38:39], s[28:29]
	s_and_not1_b32 vcc_lo, exec_lo, s95
	s_wait_alu 0xfffe
	s_lshl_b64 s[92:93], s[92:93], 3
	s_wait_loadcnt 0x0
	s_wait_alu 0xfffe
	s_add_nc_u64 s[92:93], s[40:41], s[92:93]
	s_barrier_signal -1
	s_barrier_wait -1
	global_inv scope:SCOPE_SE
	s_cbranch_vccnz .LBB186_80
; %bb.74:                               ;   in Loop: Header=BB186_4 Depth=1
	v_add_co_u32 v0, vcc_lo, v18, s90
	s_wait_alu 0xfffd
	v_add_co_ci_u32_e64 v1, null, s91, v19, vcc_lo
	v_lshlrev_b32_e32 v2, 3, v82
	s_delay_alu instid0(VALU_DEP_3) | instskip(SKIP_1) | instid1(VALU_DEP_3)
	v_add_co_u32 v0, vcc_lo, v0, v40
	s_wait_alu 0xfffd
	v_add_co_ci_u32_e64 v1, null, v1, v41, vcc_lo
	s_lshl_b64 s[98:99], s[36:37], 3
	v_add_co_u32 v0, vcc_lo, v0, v42
	s_wait_alu 0xfffd
	v_add_co_ci_u32_e64 v1, null, v1, v43, vcc_lo
	s_mov_b32 s29, ttmp9
	s_wait_alu 0xfffe
	v_add_co_u32 v3, vcc_lo, v0, s98
	s_wait_alu 0xfffd
	v_add_co_ci_u32_e64 v4, null, s99, v1, vcc_lo
	v_add_co_u32 v0, vcc_lo, v0, v2
	s_wait_alu 0xfffd
	v_add_co_ci_u32_e64 v1, null, 0, v1, vcc_lo
	v_add_co_u32 v2, vcc_lo, 0xfffffef8, v3
	s_wait_alu 0xfffd
	v_add_co_ci_u32_e64 v3, null, -1, v4, vcc_lo
	v_add_co_u32 v0, vcc_lo, 0xffffff00, v0
	s_wait_alu 0xfffd
	v_add_co_ci_u32_e64 v1, null, -1, v1, vcc_lo
	v_add_co_u32 v104, vcc_lo, v16, s88
	s_wait_alu 0xfffd
	v_add_co_ci_u32_e64 v105, null, s89, v17, vcc_lo
	s_delay_alu instid0(VALU_DEP_3)
	v_cndmask_b32_e64 v49, v1, v3, s1
	v_cndmask_b32_e64 v48, v0, v2, s1
	s_mov_b32 s34, 0
	s_branch .LBB186_76
.LBB186_75:                             ;   in Loop: Header=BB186_76 Depth=2
	s_wait_alu 0xfffe
	s_or_b32 exec_lo, exec_lo, s98
	v_mul_f32_e32 v32, v5, v51
	v_dual_mul_f32 v5, v5, v50 :: v_dual_mul_f32 v106, v7, v57
	v_mul_f32_e32 v7, v7, v56
	v_mul_f32_e32 v107, v1, v55
	s_delay_alu instid0(VALU_DEP_4) | instskip(SKIP_3) | instid1(VALU_DEP_4)
	v_fma_f32 v32, v4, v50, -v32
	v_mul_f32_e32 v1, v1, v54
	v_fma_f32 v56, v6, v56, -v106
	v_dual_mul_f32 v50, v3, v53 :: v_dual_fmac_f32 v5, v4, v51
	v_add_f32_e32 v32, v46, v32
	v_fma_f32 v4, v0, v54, -v107
	v_dual_mul_f32 v3, v3, v52 :: v_dual_mul_f32 v46, v13, v65
	v_fmac_f32_e32 v1, v0, v55
	s_delay_alu instid0(VALU_DEP_4) | instskip(SKIP_2) | instid1(VALU_DEP_3)
	v_dual_add_f32 v32, v32, v56 :: v_dual_mul_f32 v51, v15, v63
	v_fmac_f32_e32 v7, v6, v57
	v_fma_f32 v6, v2, v52, -v50
	v_dual_fmac_f32 v3, v2, v53 :: v_dual_add_f32 v4, v32, v4
	v_mul_f32_e32 v13, v13, v64
	v_add_co_u32 v48, vcc_lo, v48, s58
	s_wait_alu 0xfffd
	v_add_co_ci_u32_e64 v49, null, s59, v49, vcc_lo
	v_add_f32_e32 v4, v4, v6
	v_mul_f32_e32 v6, v9, v61
	v_add_f32_e32 v5, v47, v5
	v_mul_f32_e32 v15, v15, v62
	v_fmac_f32_e32 v13, v12, v65
	s_add_co_i32 s29, s29, -1
	s_add_co_i32 s34, s34, 64
	v_add_f32_e32 v0, v5, v7
	v_fma_f32 v5, v12, v64, -v46
	v_fmac_f32_e32 v15, v14, v63
	s_cmp_eq_u32 s29, 0
	s_wait_loadcnt 0x0
	s_wait_storecnt 0x0
	v_add_f32_e32 v0, v0, v1
	v_fma_f32 v1, v14, v62, -v51
	v_add_f32_e32 v2, v4, v5
	v_mul_f32_e32 v4, v11, v59
	s_barrier_signal -1
	v_add_f32_e32 v0, v0, v3
	v_fma_f32 v3, v8, v60, -v6
	v_dual_add_f32 v1, v2, v1 :: v_dual_mul_f32 v2, v9, v60
	v_fma_f32 v4, v10, v58, -v4
	s_barrier_wait -1
	global_inv scope:SCOPE_SE
	v_dual_add_f32 v1, v1, v3 :: v_dual_fmac_f32 v2, v8, v61
	v_mul_f32_e32 v5, v11, v58
	s_delay_alu instid0(VALU_DEP_2) | instskip(NEXT) | instid1(VALU_DEP_2)
	v_dual_add_f32 v1, v1, v4 :: v_dual_mul_f32 v4, v19, v71
	v_dual_add_f32 v0, v0, v13 :: v_dual_fmac_f32 v5, v10, v59
	s_delay_alu instid0(VALU_DEP_1) | instskip(NEXT) | instid1(VALU_DEP_1)
	v_dual_add_f32 v0, v0, v15 :: v_dual_mul_f32 v3, v17, v73
	v_add_f32_e32 v0, v0, v2
	s_delay_alu instid0(VALU_DEP_2) | instskip(SKIP_1) | instid1(VALU_DEP_2)
	v_fma_f32 v3, v16, v72, -v3
	v_mul_f32_e32 v2, v17, v72
	v_dual_add_f32 v0, v0, v5 :: v_dual_add_f32 v1, v1, v3
	v_fma_f32 v3, v18, v70, -v4
	v_dual_mul_f32 v4, v21, v69 :: v_dual_mul_f32 v5, v19, v70
	s_delay_alu instid0(VALU_DEP_2) | instskip(NEXT) | instid1(VALU_DEP_2)
	v_dual_fmac_f32 v2, v16, v73 :: v_dual_add_f32 v1, v1, v3
	v_fma_f32 v3, v20, v68, -v4
	v_mul_f32_e32 v4, v23, v67
	s_delay_alu instid0(VALU_DEP_3) | instskip(SKIP_1) | instid1(VALU_DEP_4)
	v_dual_add_f32 v0, v0, v2 :: v_dual_fmac_f32 v5, v18, v71
	v_mul_f32_e32 v2, v21, v68
	v_add_f32_e32 v1, v1, v3
	s_delay_alu instid0(VALU_DEP_4) | instskip(SKIP_2) | instid1(VALU_DEP_3)
	v_fma_f32 v3, v22, v66, -v4
	v_mul_f32_e32 v4, v25, v81
	v_dual_add_f32 v0, v0, v5 :: v_dual_mul_f32 v5, v23, v66
	v_dual_fmac_f32 v2, v20, v69 :: v_dual_add_f32 v1, v1, v3
	v_mul_f32_e32 v3, v27, v79
	s_delay_alu instid0(VALU_DEP_2) | instskip(SKIP_2) | instid1(VALU_DEP_2)
	v_dual_fmac_f32 v5, v22, v67 :: v_dual_add_f32 v0, v0, v2
	v_fma_f32 v2, v24, v80, -v4
	v_mul_f32_e32 v4, v25, v80
	v_add_f32_e32 v1, v1, v2
	v_fma_f32 v2, v26, v78, -v3
	v_dual_add_f32 v0, v0, v5 :: v_dual_mul_f32 v3, v27, v78
	s_delay_alu instid0(VALU_DEP_2) | instskip(NEXT) | instid1(VALU_DEP_2)
	v_dual_fmac_f32 v4, v24, v81 :: v_dual_add_f32 v1, v1, v2
	v_dual_mul_f32 v2, v29, v76 :: v_dual_fmac_f32 v3, v26, v79
	s_delay_alu instid0(VALU_DEP_2) | instskip(NEXT) | instid1(VALU_DEP_1)
	v_dual_mul_f32 v5, v29, v77 :: v_dual_add_f32 v0, v0, v4
	v_fma_f32 v4, v28, v76, -v5
	v_mul_f32_e32 v5, v31, v75
	v_mul_f32_e32 v6, v31, v74
	v_fmac_f32_e32 v2, v28, v77
	s_delay_alu instid0(VALU_DEP_4) | instskip(NEXT) | instid1(VALU_DEP_4)
	v_dual_add_f32 v0, v0, v3 :: v_dual_add_f32 v1, v1, v4
	v_fma_f32 v3, v30, v74, -v5
	s_delay_alu instid0(VALU_DEP_4) | instskip(NEXT) | instid1(VALU_DEP_3)
	v_fmac_f32_e32 v6, v30, v75
	v_add_f32_e32 v0, v0, v2
	s_delay_alu instid0(VALU_DEP_1)
	v_dual_add_f32 v46, v1, v3 :: v_dual_add_f32 v47, v0, v6
	s_cbranch_scc1 .LBB186_80
.LBB186_76:                             ;   Parent Loop BB186_4 Depth=1
                                        ; =>  This Inner Loop Header: Depth=2
	s_and_saveexec_b32 s98, s0
	s_cbranch_execz .LBB186_78
; %bb.77:                               ;   in Loop: Header=BB186_76 Depth=2
	s_wait_alu 0xfffe
	s_mul_u64 s[100:101], s[30:31], s[34:35]
	s_wait_alu 0xfffe
	s_lshl_b64 s[100:101], s[100:101], 3
	s_wait_alu 0xfffe
	v_add_co_u32 v0, vcc_lo, v104, s100
	s_wait_alu 0xfffd
	v_add_co_ci_u32_e64 v1, null, s101, v105, vcc_lo
	flat_load_b64 v[0:1], v[0:1]
	s_wait_loadcnt_dscnt 0x0
	ds_store_b64 v90, v[0:1]
.LBB186_78:                             ;   in Loop: Header=BB186_76 Depth=2
	s_wait_alu 0xfffe
	s_or_b32 exec_lo, exec_lo, s98
	v_add_co_u32 v0, vcc_lo, v48, s54
	s_wait_alu 0xfffd
	v_add_co_ci_u32_e64 v1, null, s55, v49, vcc_lo
	v_add_co_u32 v2, vcc_lo, v48, s56
	s_wait_loadcnt_dscnt 0x0
	s_barrier_signal -1
	s_barrier_wait -1
	global_inv scope:SCOPE_SE
	flat_load_b64 v[50:51], v[48:49]
	s_wait_alu 0xfffd
	v_add_co_ci_u32_e64 v3, null, s57, v49, vcc_lo
	v_add_co_u32 v4, vcc_lo, v48, s60
	s_wait_alu 0xfffd
	v_add_co_ci_u32_e64 v5, null, s61, v49, vcc_lo
	s_clause 0x2
	flat_load_b64 v[56:57], v[0:1]
	flat_load_b64 v[54:55], v[2:3]
	;; [unrolled: 1-line block ×3, first 2 shown]
	ds_load_b64 v[8:9], v84
	ds_load_b128 v[4:7], v91
	ds_load_b128 v[0:3], v91 offset:16
	v_add_co_u32 v10, vcc_lo, v48, s46
	s_wait_alu 0xfffd
	v_add_co_ci_u32_e64 v11, null, s47, v49, vcc_lo
	v_add_co_u32 v14, vcc_lo, v48, s82
	s_wait_alu 0xfffd
	v_add_co_ci_u32_e64 v15, null, s83, v49, vcc_lo
	s_wait_loadcnt_dscnt 0x302
	v_mul_f32_e32 v13, v9, v50
	v_mul_f32_e32 v12, v9, v51
	s_wait_loadcnt 0x2
	s_delay_alu instid0(VALU_DEP_2)
	v_dual_fmac_f32 v13, v8, v51 :: v_dual_mul_f32 v16, v9, v57
	v_mul_f32_e32 v17, v9, v56
	s_wait_loadcnt 0x1
	v_mul_f32_e32 v18, v9, v55
	v_mul_f32_e32 v19, v9, v54
	s_wait_loadcnt 0x0
	v_mul_f32_e32 v20, v9, v53
	v_mul_f32_e32 v21, v8, v53
	v_fma_f32 v12, v8, v50, -v12
	v_fma_f32 v16, v8, v56, -v16
	v_fmac_f32_e32 v17, v8, v57
	v_fma_f32 v18, v8, v54, -v18
	v_fmac_f32_e32 v19, v8, v55
	;; [unrolled: 2-line block ×3, first 2 shown]
	v_add_co_u32 v8, vcc_lo, v48, s62
	s_wait_alu 0xfffd
	v_add_co_ci_u32_e64 v9, null, s63, v49, vcc_lo
	ds_store_2addr_b64 v92, v[12:13], v[16:17] offset1:67
	ds_store_2addr_b64 v92, v[18:19], v[20:21] offset0:134 offset1:201
	s_wait_dscnt 0x0
	s_barrier_signal -1
	s_barrier_wait -1
	global_inv scope:SCOPE_SE
	ds_load_2addr_b64 v[106:109], v93 offset1:1
	ds_load_2addr_b64 v[110:113], v93 offset0:2 offset1:3
	s_wait_loadcnt_dscnt 0x0
	s_barrier_signal -1
	s_barrier_wait -1
	global_inv scope:SCOPE_SE
	flat_load_b64 v[64:65], v[10:11]
	v_add_co_u32 v10, vcc_lo, v48, s64
	s_wait_alu 0xfffd
	v_add_co_ci_u32_e64 v11, null, s65, v49, vcc_lo
	s_clause 0x2
	flat_load_b64 v[62:63], v[14:15]
	flat_load_b64 v[60:61], v[8:9]
	;; [unrolled: 1-line block ×3, first 2 shown]
	ds_load_b64 v[8:9], v84
	ds_load_b128 v[12:15], v91 offset:128
	v_add_co_u32 v16, vcc_lo, v48, s66
	s_wait_alu 0xfffd
	v_add_co_ci_u32_e64 v17, null, s67, v49, vcc_lo
	v_add_co_u32 v18, vcc_lo, v48, s80
	s_wait_alu 0xfffd
	v_add_co_ci_u32_e64 v19, null, s81, v49, vcc_lo
	v_add_co_u32 v28, vcc_lo, v48, s68
	s_wait_alu 0xfffd
	v_add_co_ci_u32_e64 v29, null, s69, v49, vcc_lo
	s_wait_loadcnt_dscnt 0x301
	v_mul_f32_e32 v10, v9, v65
	v_mul_f32_e32 v21, v9, v64
	s_wait_loadcnt 0x2
	v_mul_f32_e32 v11, v9, v63
	v_mul_f32_e32 v23, v9, v62
	s_wait_loadcnt 0x1
	;; [unrolled: 3-line block ×3, first 2 shown]
	v_dual_mul_f32 v26, v9, v59 :: v_dual_fmac_f32 v21, v8, v65
	v_mul_f32_e32 v27, v8, v59
	v_fma_f32 v20, v8, v64, -v10
	v_fma_f32 v22, v8, v62, -v11
	v_fmac_f32_e32 v23, v8, v63
	v_fma_f32 v24, v8, v60, -v24
	v_fmac_f32_e32 v25, v8, v61
	;; [unrolled: 2-line block ×3, first 2 shown]
	ds_load_b128 v[8:11], v91 offset:144
	ds_store_2addr_b64 v92, v[20:21], v[22:23] offset1:67
	ds_store_2addr_b64 v92, v[24:25], v[26:27] offset0:134 offset1:201
	s_wait_dscnt 0x0
	s_barrier_signal -1
	s_barrier_wait -1
	global_inv scope:SCOPE_SE
	ds_load_2addr_b64 v[114:117], v93 offset1:1
	ds_load_2addr_b64 v[118:121], v93 offset0:2 offset1:3
	s_wait_loadcnt_dscnt 0x0
	s_barrier_signal -1
	s_barrier_wait -1
	global_inv scope:SCOPE_SE
	flat_load_b64 v[72:73], v[16:17]
	v_add_co_u32 v16, vcc_lo, v48, s70
	s_wait_alu 0xfffd
	v_add_co_ci_u32_e64 v17, null, s71, v49, vcc_lo
	s_clause 0x2
	flat_load_b64 v[70:71], v[18:19]
	flat_load_b64 v[68:69], v[28:29]
	;; [unrolled: 1-line block ×3, first 2 shown]
	ds_load_b64 v[20:21], v84
	ds_load_b128 v[16:19], v91 offset:256
	v_add_co_u32 v24, vcc_lo, v48, s72
	s_wait_alu 0xfffd
	v_add_co_ci_u32_e64 v25, null, s73, v49, vcc_lo
	v_add_co_u32 v26, vcc_lo, v48, s78
	v_add_f32_e32 v114, 0, v114
	s_wait_alu 0xfffd
	v_add_co_ci_u32_e64 v27, null, s79, v49, vcc_lo
	v_add_co_u32 v130, vcc_lo, v48, s74
	s_delay_alu instid0(VALU_DEP_3)
	v_add_f32_e32 v114, v114, v116
	s_wait_alu 0xfffd
	v_add_co_ci_u32_e64 v131, null, s75, v49, vcc_lo
	s_wait_loadcnt_dscnt 0x301
	v_dual_add_f32 v115, 0, v115 :: v_dual_mul_f32 v22, v21, v73
	v_mul_f32_e32 v29, v21, v72
	s_wait_loadcnt 0x2
	v_mul_f32_e32 v23, v21, v71
	v_mul_f32_e32 v31, v21, v70
	s_wait_loadcnt 0x1
	v_mul_f32_e32 v32, v21, v69
	;; [unrolled: 3-line block ×3, first 2 shown]
	v_mul_f32_e32 v77, v20, v67
	v_fma_f32 v28, v20, v72, -v22
	v_fmac_f32_e32 v29, v20, v73
	v_fma_f32 v30, v20, v70, -v23
	v_fmac_f32_e32 v31, v20, v71
	;; [unrolled: 2-line block ×4, first 2 shown]
	ds_load_b128 v[20:23], v91 offset:272
	ds_store_2addr_b64 v92, v[28:29], v[30:31] offset1:67
	ds_store_2addr_b64 v92, v[74:75], v[76:77] offset0:134 offset1:201
	s_wait_dscnt 0x0
	s_barrier_signal -1
	s_barrier_wait -1
	global_inv scope:SCOPE_SE
	ds_load_2addr_b64 v[122:125], v93 offset1:1
	ds_load_2addr_b64 v[126:129], v93 offset0:2 offset1:3
	s_wait_loadcnt_dscnt 0x0
	s_barrier_signal -1
	s_barrier_wait -1
	global_inv scope:SCOPE_SE
	flat_load_b64 v[80:81], v[24:25]
	v_add_co_u32 v24, vcc_lo, v48, s76
	s_wait_alu 0xfffd
	v_add_co_ci_u32_e64 v25, null, s77, v49, vcc_lo
	s_clause 0x2
	flat_load_b64 v[78:79], v[26:27]
	flat_load_b64 v[76:77], v[130:131]
	;; [unrolled: 1-line block ×3, first 2 shown]
	ds_load_b64 v[28:29], v84
	ds_load_b128 v[24:27], v91 offset:384
	s_wait_loadcnt_dscnt 0x301
	v_mul_f32_e32 v30, v29, v81
	v_mul_f32_e32 v131, v29, v80
	s_wait_loadcnt 0x2
	v_mul_f32_e32 v133, v29, v78
	s_wait_loadcnt 0x1
	v_mul_f32_e32 v32, v29, v77
	v_mul_f32_e32 v31, v29, v79
	;; [unrolled: 1-line block ×3, first 2 shown]
	s_wait_loadcnt 0x0
	v_dual_mul_f32 v136, v29, v75 :: v_dual_fmac_f32 v131, v28, v81
	v_fmac_f32_e32 v133, v28, v79
	v_fma_f32 v134, v28, v76, -v32
	v_add_f32_e32 v32, 0, v106
	v_add_f32_e32 v106, 0, v107
	v_mul_f32_e32 v137, v28, v75
	v_fma_f32 v130, v28, v80, -v30
	v_fma_f32 v132, v28, v78, -v31
	v_add_f32_e32 v32, v32, v108
	v_add_f32_e32 v106, v106, v109
	v_fma_f32 v136, v28, v74, -v136
	v_fmac_f32_e32 v137, v29, v74
	s_delay_alu instid0(VALU_DEP_3) | instskip(NEXT) | instid1(VALU_DEP_1)
	v_dual_add_f32 v32, v32, v110 :: v_dual_add_f32 v111, v106, v111
	v_dual_add_f32 v110, v32, v112 :: v_dual_add_f32 v111, v111, v113
	;; [unrolled: 1-line block ×3, first 2 shown]
	v_add_f32_e32 v112, v114, v118
	s_delay_alu instid0(VALU_DEP_2) | instskip(NEXT) | instid1(VALU_DEP_3)
	v_dual_add_f32 v114, 0, v123 :: v_dual_add_f32 v113, v113, v124
	v_add_f32_e32 v32, v32, v119
	s_delay_alu instid0(VALU_DEP_3) | instskip(NEXT) | instid1(VALU_DEP_3)
	v_add_f32_e32 v112, v112, v120
	v_dual_add_f32 v114, v114, v125 :: v_dual_add_f32 v117, v113, v126
	v_fmac_f32_e32 v135, v28, v77
	ds_load_b128 v[28:31], v91 offset:400
	ds_store_2addr_b64 v92, v[130:131], v[132:133] offset1:67
	ds_store_2addr_b64 v92, v[134:135], v[136:137] offset0:134 offset1:201
	s_wait_dscnt 0x0
	s_barrier_signal -1
	s_barrier_wait -1
	global_inv scope:SCOPE_SE
	ds_load_2addr_b64 v[130:133], v93 offset1:1
	ds_load_2addr_b64 v[106:109], v93 offset0:2 offset1:3
	v_dual_add_f32 v114, v114, v127 :: v_dual_add_f32 v113, v32, v121
	s_wait_loadcnt_dscnt 0x0
	s_barrier_signal -1
	s_barrier_wait -1
	global_inv scope:SCOPE_SE
	v_dual_add_f32 v115, 0, v130 :: v_dual_add_f32 v116, 0, v131
	s_delay_alu instid0(VALU_DEP_1) | instskip(NEXT) | instid1(VALU_DEP_1)
	v_dual_add_f32 v115, v115, v132 :: v_dual_add_f32 v116, v116, v133
	v_dual_add_f32 v32, v115, v106 :: v_dual_add_f32 v115, v116, v107
	;; [unrolled: 1-line block ×3, first 2 shown]
	s_delay_alu instid0(VALU_DEP_2)
	v_dual_add_f32 v108, v32, v108 :: v_dual_add_f32 v109, v115, v109
	ds_store_2addr_b64 v102, v[110:111], v[112:113] offset1:16
	ds_store_2addr_b64 v102, v[106:107], v[108:109] offset0:32 offset1:48
	s_wait_loadcnt_dscnt 0x0
	s_barrier_signal -1
	s_barrier_wait -1
	global_inv scope:SCOPE_SE
	s_and_saveexec_b32 s98, s18
	s_cbranch_execz .LBB186_75
; %bb.79:                               ;   in Loop: Header=BB186_76 Depth=2
	ds_load_b64 v[118:119], v94
	ds_load_2addr_b64 v[106:109], v94 offset0:1 offset1:2
	ds_load_2addr_b64 v[110:113], v94 offset0:3 offset1:4
	;; [unrolled: 1-line block ×3, first 2 shown]
	s_wait_dscnt 0x2
	v_add_f32_e32 v32, v106, v118
	v_add_f32_e32 v106, v107, v119
	s_delay_alu instid0(VALU_DEP_2) | instskip(NEXT) | instid1(VALU_DEP_2)
	v_add_f32_e32 v32, v108, v32
	v_add_f32_e32 v118, v109, v106
	ds_load_2addr_b64 v[106:109], v94 offset0:7 offset1:8
	s_wait_dscnt 0x2
	v_add_f32_e32 v32, v32, v110
	v_add_f32_e32 v110, v118, v111
	s_delay_alu instid0(VALU_DEP_2) | instskip(NEXT) | instid1(VALU_DEP_2)
	v_add_f32_e32 v32, v32, v112
	v_add_f32_e32 v118, v110, v113
	ds_load_2addr_b64 v[110:113], v94 offset0:9 offset1:10
	;; [unrolled: 7-line block ×4, first 2 shown]
	s_wait_dscnt 0x2
	v_add_f32_e32 v32, v32, v110
	v_add_f32_e32 v110, v118, v111
	s_delay_alu instid0(VALU_DEP_2) | instskip(NEXT) | instid1(VALU_DEP_2)
	v_add_f32_e32 v32, v32, v112
	v_add_f32_e32 v112, v110, v113
	ds_load_b64 v[110:111], v95
	s_wait_dscnt 0x2
	v_add_f32_e32 v32, v32, v114
	v_add_f32_e32 v112, v112, v115
	s_delay_alu instid0(VALU_DEP_2) | instskip(NEXT) | instid1(VALU_DEP_2)
	v_add_f32_e32 v32, v32, v116
	v_add_f32_e32 v112, v112, v117
	s_wait_dscnt 0x1
	s_delay_alu instid0(VALU_DEP_2) | instskip(NEXT) | instid1(VALU_DEP_2)
	v_add_f32_e32 v106, v32, v106
	v_dual_add_f32 v107, v112, v107 :: v_dual_add_nc_u32 v32, s34, v82
	s_delay_alu instid0(VALU_DEP_1) | instskip(NEXT) | instid1(VALU_DEP_2)
	v_dual_add_f32 v108, v106, v108 :: v_dual_add_f32 v109, v107, v109
	v_lshlrev_b64_e32 v[106:107], 3, v[32:33]
	s_wait_dscnt 0x0
	s_delay_alu instid0(VALU_DEP_2) | instskip(NEXT) | instid1(VALU_DEP_2)
	v_dual_add_f32 v108, v108, v110 :: v_dual_add_f32 v109, v109, v111
	v_add_co_u32 v106, vcc_lo, s92, v106
	s_wait_alu 0xfffd
	s_delay_alu instid0(VALU_DEP_3)
	v_add_co_ci_u32_e64 v107, null, s93, v107, vcc_lo
	global_store_b64 v[106:107], v[108:109], off
	s_branch .LBB186_75
.LBB186_80:                             ;   in Loop: Header=BB186_4 Depth=1
	ds_store_b64 v96, v[46:47]
	s_wait_loadcnt_dscnt 0x0
	s_barrier_signal -1
	s_barrier_wait -1
	global_inv scope:SCOPE_SE
	s_and_saveexec_b32 s29, s96
	s_cbranch_execz .LBB186_2
; %bb.81:                               ;   in Loop: Header=BB186_4 Depth=1
	ds_load_2addr_b64 v[0:3], v83 offset1:67
	ds_load_2addr_b64 v[4:7], v83 offset0:134 offset1:201
	s_wait_dscnt 0x1
	v_dual_add_f32 v0, v2, v0 :: v_dual_add_f32 v1, v3, v1
	s_wait_alu 0xfffe
	v_add_co_u32 v2, vcc_lo, s92, v44
	s_wait_alu 0xfffd
	v_add_co_ci_u32_e64 v3, null, s93, v45, vcc_lo
	s_wait_dscnt 0x0
	v_dual_add_f32 v0, v4, v0 :: v_dual_add_f32 v1, v5, v1
	s_delay_alu instid0(VALU_DEP_1)
	v_dual_add_f32 v0, v0, v6 :: v_dual_add_f32 v1, v1, v7
	global_store_b64 v[2:3], v[0:1], off
	s_branch .LBB186_2
.LBB186_82:                             ;   in Loop: Header=BB186_4 Depth=1
	ds_load_b64 v[2:3], v99
	s_wait_dscnt 0x0
	ds_store_b64 v85, v[2:3]
	s_wait_alu 0xfffe
	s_or_b32 exec_lo, exec_lo, s34
	s_and_saveexec_b32 s34, s8
	s_cbranch_execz .LBB186_29
.LBB186_83:                             ;   in Loop: Header=BB186_4 Depth=1
	ds_load_b64 v[2:3], v100
	s_wait_dscnt 0x0
	ds_store_b64 v85, v[2:3] offset:8
	s_wait_alu 0xfffe
	s_or_b32 exec_lo, exec_lo, s34
	s_and_saveexec_b32 s34, s9
	s_cbranch_execz .LBB186_30
.LBB186_84:                             ;   in Loop: Header=BB186_4 Depth=1
	ds_load_b64 v[2:3], v100 offset:264
	s_wait_dscnt 0x0
	ds_store_b64 v85, v[2:3] offset:16
	s_wait_alu 0xfffe
	s_or_b32 exec_lo, exec_lo, s34
	s_and_saveexec_b32 s34, s10
	s_cbranch_execnz .LBB186_31
	s_branch .LBB186_32
.LBB186_85:                             ;   in Loop: Header=BB186_4 Depth=1
	ds_load_b64 v[0:1], v99
	s_wait_dscnt 0x0
	ds_store_b64 v85, v[0:1]
	s_wait_alu 0xfffe
	s_or_b32 exec_lo, exec_lo, s34
	s_and_saveexec_b32 s34, s8
	s_cbranch_execz .LBB186_50
.LBB186_86:                             ;   in Loop: Header=BB186_4 Depth=1
	ds_load_b64 v[0:1], v100
	s_wait_dscnt 0x0
	ds_store_b64 v85, v[0:1] offset:8
	s_wait_alu 0xfffe
	s_or_b32 exec_lo, exec_lo, s34
	s_and_saveexec_b32 s34, s9
	s_cbranch_execz .LBB186_51
.LBB186_87:                             ;   in Loop: Header=BB186_4 Depth=1
	ds_load_b64 v[0:1], v100 offset:264
	s_wait_dscnt 0x0
	ds_store_b64 v85, v[0:1] offset:16
	s_wait_alu 0xfffe
	s_or_b32 exec_lo, exec_lo, s34
	s_and_saveexec_b32 s34, s10
	s_cbranch_execnz .LBB186_52
	s_branch .LBB186_53
.LBB186_88:                             ;   in Loop: Header=BB186_4 Depth=1
	flat_load_b64 v[4:5], v[2:3]
	s_wait_loadcnt_dscnt 0x0
	ds_store_b64 v98, v[4:5]
	s_or_b32 exec_lo, exec_lo, s34
	s_and_saveexec_b32 s34, s4
	s_wait_alu 0xfffe
	s_xor_b32 s34, exec_lo, s34
	s_cbranch_execz .LBB186_20
.LBB186_89:                             ;   in Loop: Header=BB186_4 Depth=1
	v_mov_b32_e32 v32, v33
	ds_store_b64 v98, v[32:33] offset:2112
	s_wait_alu 0xfffe
	s_and_not1_saveexec_b32 s34, s34
	s_cbranch_execz .LBB186_21
.LBB186_90:                             ;   in Loop: Header=BB186_4 Depth=1
	v_add_co_u32 v4, vcc_lo, v2, s44
	s_wait_alu 0xfffd
	v_add_co_ci_u32_e64 v5, null, s45, v3, vcc_lo
	flat_load_b64 v[4:5], v[4:5]
	s_wait_loadcnt_dscnt 0x0
	ds_store_b64 v98, v[4:5] offset:2112
	s_wait_alu 0xfffe
	s_or_b32 exec_lo, exec_lo, s34
	s_and_saveexec_b32 s34, s5
	s_wait_alu 0xfffe
	s_xor_b32 s34, exec_lo, s34
	s_cbranch_execz .LBB186_22
.LBB186_91:                             ;   in Loop: Header=BB186_4 Depth=1
	v_mov_b32_e32 v32, v33
	ds_store_b64 v98, v[32:33] offset:4224
	s_wait_alu 0xfffe
	s_and_not1_saveexec_b32 s34, s34
	s_cbranch_execz .LBB186_23
.LBB186_92:                             ;   in Loop: Header=BB186_4 Depth=1
	v_add_co_u32 v4, vcc_lo, v2, s46
	s_wait_alu 0xfffd
	v_add_co_ci_u32_e64 v5, null, s47, v3, vcc_lo
	flat_load_b64 v[4:5], v[4:5]
	s_wait_loadcnt_dscnt 0x0
	ds_store_b64 v98, v[4:5] offset:4224
	s_wait_alu 0xfffe
	s_or_b32 exec_lo, exec_lo, s34
	s_and_saveexec_b32 s34, s6
	s_wait_alu 0xfffe
	s_xor_b32 s34, exec_lo, s34
	s_cbranch_execz .LBB186_24
.LBB186_93:                             ;   in Loop: Header=BB186_4 Depth=1
	v_mov_b32_e32 v32, v33
	ds_store_b64 v98, v[32:33] offset:6336
	s_wait_alu 0xfffe
	s_and_not1_saveexec_b32 s34, s34
	s_cbranch_execnz .LBB186_25
	s_branch .LBB186_26
.LBB186_94:                             ;   in Loop: Header=BB186_4 Depth=1
	flat_load_b64 v[4:5], v[0:1]
	s_wait_loadcnt_dscnt 0x0
	ds_store_b64 v98, v[4:5]
	s_or_b32 exec_lo, exec_lo, s34
	s_and_saveexec_b32 s34, s14
	s_wait_alu 0xfffe
	s_xor_b32 s34, exec_lo, s34
	s_cbranch_execz .LBB186_41
.LBB186_95:                             ;   in Loop: Header=BB186_4 Depth=1
	v_mov_b32_e32 v32, v33
	ds_store_b64 v98, v[32:33] offset:2112
	s_wait_alu 0xfffe
	s_and_not1_saveexec_b32 s34, s34
	s_cbranch_execz .LBB186_42
.LBB186_96:                             ;   in Loop: Header=BB186_4 Depth=1
	v_add_co_u32 v4, vcc_lo, v0, s44
	s_wait_alu 0xfffd
	v_add_co_ci_u32_e64 v5, null, s45, v1, vcc_lo
	flat_load_b64 v[4:5], v[4:5]
	s_wait_loadcnt_dscnt 0x0
	ds_store_b64 v98, v[4:5] offset:2112
	s_wait_alu 0xfffe
	s_or_b32 exec_lo, exec_lo, s34
	s_and_saveexec_b32 s34, s15
	s_wait_alu 0xfffe
	s_xor_b32 s34, exec_lo, s34
	s_cbranch_execz .LBB186_43
.LBB186_97:                             ;   in Loop: Header=BB186_4 Depth=1
	v_mov_b32_e32 v32, v33
	ds_store_b64 v98, v[32:33] offset:4224
	s_wait_alu 0xfffe
	s_and_not1_saveexec_b32 s34, s34
	s_cbranch_execz .LBB186_44
.LBB186_98:                             ;   in Loop: Header=BB186_4 Depth=1
	v_add_co_u32 v4, vcc_lo, v0, s46
	s_wait_alu 0xfffd
	v_add_co_ci_u32_e64 v5, null, s47, v1, vcc_lo
	flat_load_b64 v[4:5], v[4:5]
	s_wait_loadcnt_dscnt 0x0
	ds_store_b64 v98, v[4:5] offset:4224
	s_wait_alu 0xfffe
	s_or_b32 exec_lo, exec_lo, s34
	s_and_saveexec_b32 s34, s16
	s_wait_alu 0xfffe
	s_xor_b32 s34, exec_lo, s34
	s_cbranch_execz .LBB186_45
.LBB186_99:                             ;   in Loop: Header=BB186_4 Depth=1
	v_mov_b32_e32 v32, v33
	ds_store_b64 v98, v[32:33] offset:6336
	s_wait_alu 0xfffe
	s_and_not1_saveexec_b32 s34, s34
	s_cbranch_execnz .LBB186_46
	s_branch .LBB186_47
.LBB186_100:                            ;   in Loop: Header=BB186_4 Depth=1
	flat_load_b64 v[2:3], v[0:1]
	s_wait_loadcnt_dscnt 0x0
	ds_store_b64 v98, v[2:3]
	s_or_b32 exec_lo, exec_lo, s34
	s_and_saveexec_b32 s34, s4
	s_wait_alu 0xfffe
	s_xor_b32 s34, exec_lo, s34
	s_cbranch_execz .LBB186_62
.LBB186_101:                            ;   in Loop: Header=BB186_4 Depth=1
	v_mov_b32_e32 v32, v33
	ds_store_b64 v98, v[32:33] offset:2112
	s_wait_alu 0xfffe
	s_and_not1_saveexec_b32 s34, s34
	s_cbranch_execz .LBB186_63
.LBB186_102:                            ;   in Loop: Header=BB186_4 Depth=1
	v_add_co_u32 v2, vcc_lo, v0, s44
	s_wait_alu 0xfffd
	v_add_co_ci_u32_e64 v3, null, s45, v1, vcc_lo
	flat_load_b64 v[2:3], v[2:3]
	s_wait_loadcnt_dscnt 0x0
	ds_store_b64 v98, v[2:3] offset:2112
	s_wait_alu 0xfffe
	s_or_b32 exec_lo, exec_lo, s34
	s_and_saveexec_b32 s34, s5
	s_wait_alu 0xfffe
	s_xor_b32 s34, exec_lo, s34
	s_cbranch_execz .LBB186_64
.LBB186_103:                            ;   in Loop: Header=BB186_4 Depth=1
	v_mov_b32_e32 v32, v33
	ds_store_b64 v98, v[32:33] offset:4224
	s_wait_alu 0xfffe
	s_and_not1_saveexec_b32 s34, s34
	s_cbranch_execz .LBB186_65
.LBB186_104:                            ;   in Loop: Header=BB186_4 Depth=1
	v_add_co_u32 v2, vcc_lo, v0, s46
	s_wait_alu 0xfffd
	v_add_co_ci_u32_e64 v3, null, s47, v1, vcc_lo
	flat_load_b64 v[2:3], v[2:3]
	s_wait_loadcnt_dscnt 0x0
	ds_store_b64 v98, v[2:3] offset:4224
	s_wait_alu 0xfffe
	s_or_b32 exec_lo, exec_lo, s34
	s_and_saveexec_b32 s34, s6
	s_wait_alu 0xfffe
	s_xor_b32 s34, exec_lo, s34
	s_cbranch_execz .LBB186_66
.LBB186_105:                            ;   in Loop: Header=BB186_4 Depth=1
	v_mov_b32_e32 v32, v33
	ds_store_b64 v98, v[32:33] offset:6336
	s_wait_alu 0xfffe
	s_and_not1_saveexec_b32 s34, s34
	s_cbranch_execnz .LBB186_67
	s_branch .LBB186_68
.LBB186_106:
	s_nop 0
	s_sendmsg sendmsg(MSG_DEALLOC_VGPRS)
	s_endpgm
	.section	.rodata,"a",@progbits
	.p2align	6, 0x0
	.amdhsa_kernel _ZL26rocblas_hemvn_kernel_lowerILb0ELi64ELi4ELi33ELi32ELi16El19rocblas_complex_numIfEPKPKS1_PS1_EviT6_lT7_lT5_lS8_lS9_lS7_lT8_i
		.amdhsa_group_segment_fixed_size 9600
		.amdhsa_private_segment_fixed_size 0
		.amdhsa_kernarg_size 376
		.amdhsa_user_sgpr_count 2
		.amdhsa_user_sgpr_dispatch_ptr 0
		.amdhsa_user_sgpr_queue_ptr 0
		.amdhsa_user_sgpr_kernarg_segment_ptr 1
		.amdhsa_user_sgpr_dispatch_id 0
		.amdhsa_user_sgpr_private_segment_size 0
		.amdhsa_wavefront_size32 1
		.amdhsa_uses_dynamic_stack 0
		.amdhsa_enable_private_segment 0
		.amdhsa_system_sgpr_workgroup_id_x 1
		.amdhsa_system_sgpr_workgroup_id_y 0
		.amdhsa_system_sgpr_workgroup_id_z 1
		.amdhsa_system_sgpr_workgroup_info 0
		.amdhsa_system_vgpr_workitem_id 1
		.amdhsa_next_free_vgpr 138
		.amdhsa_next_free_sgpr 102
		.amdhsa_reserve_vcc 1
		.amdhsa_float_round_mode_32 0
		.amdhsa_float_round_mode_16_64 0
		.amdhsa_float_denorm_mode_32 3
		.amdhsa_float_denorm_mode_16_64 3
		.amdhsa_fp16_overflow 0
		.amdhsa_workgroup_processor_mode 1
		.amdhsa_memory_ordered 1
		.amdhsa_forward_progress 1
		.amdhsa_inst_pref_size 71
		.amdhsa_round_robin_scheduling 0
		.amdhsa_exception_fp_ieee_invalid_op 0
		.amdhsa_exception_fp_denorm_src 0
		.amdhsa_exception_fp_ieee_div_zero 0
		.amdhsa_exception_fp_ieee_overflow 0
		.amdhsa_exception_fp_ieee_underflow 0
		.amdhsa_exception_fp_ieee_inexact 0
		.amdhsa_exception_int_div_zero 0
	.end_amdhsa_kernel
	.section	.text._ZL26rocblas_hemvn_kernel_lowerILb0ELi64ELi4ELi33ELi32ELi16El19rocblas_complex_numIfEPKPKS1_PS1_EviT6_lT7_lT5_lS8_lS9_lS7_lT8_i,"axG",@progbits,_ZL26rocblas_hemvn_kernel_lowerILb0ELi64ELi4ELi33ELi32ELi16El19rocblas_complex_numIfEPKPKS1_PS1_EviT6_lT7_lT5_lS8_lS9_lS7_lT8_i,comdat
.Lfunc_end186:
	.size	_ZL26rocblas_hemvn_kernel_lowerILb0ELi64ELi4ELi33ELi32ELi16El19rocblas_complex_numIfEPKPKS1_PS1_EviT6_lT7_lT5_lS8_lS9_lS7_lT8_i, .Lfunc_end186-_ZL26rocblas_hemvn_kernel_lowerILb0ELi64ELi4ELi33ELi32ELi16El19rocblas_complex_numIfEPKPKS1_PS1_EviT6_lT7_lT5_lS8_lS9_lS7_lT8_i
                                        ; -- End function
	.set _ZL26rocblas_hemvn_kernel_lowerILb0ELi64ELi4ELi33ELi32ELi16El19rocblas_complex_numIfEPKPKS1_PS1_EviT6_lT7_lT5_lS8_lS9_lS7_lT8_i.num_vgpr, 138
	.set _ZL26rocblas_hemvn_kernel_lowerILb0ELi64ELi4ELi33ELi32ELi16El19rocblas_complex_numIfEPKPKS1_PS1_EviT6_lT7_lT5_lS8_lS9_lS7_lT8_i.num_agpr, 0
	.set _ZL26rocblas_hemvn_kernel_lowerILb0ELi64ELi4ELi33ELi32ELi16El19rocblas_complex_numIfEPKPKS1_PS1_EviT6_lT7_lT5_lS8_lS9_lS7_lT8_i.numbered_sgpr, 102
	.set _ZL26rocblas_hemvn_kernel_lowerILb0ELi64ELi4ELi33ELi32ELi16El19rocblas_complex_numIfEPKPKS1_PS1_EviT6_lT7_lT5_lS8_lS9_lS7_lT8_i.num_named_barrier, 0
	.set _ZL26rocblas_hemvn_kernel_lowerILb0ELi64ELi4ELi33ELi32ELi16El19rocblas_complex_numIfEPKPKS1_PS1_EviT6_lT7_lT5_lS8_lS9_lS7_lT8_i.private_seg_size, 0
	.set _ZL26rocblas_hemvn_kernel_lowerILb0ELi64ELi4ELi33ELi32ELi16El19rocblas_complex_numIfEPKPKS1_PS1_EviT6_lT7_lT5_lS8_lS9_lS7_lT8_i.uses_vcc, 1
	.set _ZL26rocblas_hemvn_kernel_lowerILb0ELi64ELi4ELi33ELi32ELi16El19rocblas_complex_numIfEPKPKS1_PS1_EviT6_lT7_lT5_lS8_lS9_lS7_lT8_i.uses_flat_scratch, 1
	.set _ZL26rocblas_hemvn_kernel_lowerILb0ELi64ELi4ELi33ELi32ELi16El19rocblas_complex_numIfEPKPKS1_PS1_EviT6_lT7_lT5_lS8_lS9_lS7_lT8_i.has_dyn_sized_stack, 0
	.set _ZL26rocblas_hemvn_kernel_lowerILb0ELi64ELi4ELi33ELi32ELi16El19rocblas_complex_numIfEPKPKS1_PS1_EviT6_lT7_lT5_lS8_lS9_lS7_lT8_i.has_recursion, 0
	.set _ZL26rocblas_hemvn_kernel_lowerILb0ELi64ELi4ELi33ELi32ELi16El19rocblas_complex_numIfEPKPKS1_PS1_EviT6_lT7_lT5_lS8_lS9_lS7_lT8_i.has_indirect_call, 0
	.section	.AMDGPU.csdata,"",@progbits
; Kernel info:
; codeLenInByte = 9000
; TotalNumSgprs: 104
; NumVgprs: 138
; ScratchSize: 0
; MemoryBound: 1
; FloatMode: 240
; IeeeMode: 1
; LDSByteSize: 9600 bytes/workgroup (compile time only)
; SGPRBlocks: 0
; VGPRBlocks: 17
; NumSGPRsForWavesPerEU: 104
; NumVGPRsForWavesPerEU: 138
; Occupancy: 10
; WaveLimiterHint : 1
; COMPUTE_PGM_RSRC2:SCRATCH_EN: 0
; COMPUTE_PGM_RSRC2:USER_SGPR: 2
; COMPUTE_PGM_RSRC2:TRAP_HANDLER: 0
; COMPUTE_PGM_RSRC2:TGID_X_EN: 1
; COMPUTE_PGM_RSRC2:TGID_Y_EN: 0
; COMPUTE_PGM_RSRC2:TGID_Z_EN: 1
; COMPUTE_PGM_RSRC2:TIDIG_COMP_CNT: 1
	.section	.text._ZL26rocblas_hemvn_kernel_lowerILb0ELi64ELi4ELi33ELi32ELi16Ei19rocblas_complex_numIfEPKPKS1_PS1_EviT6_lT7_lT5_lS8_lS9_lS7_lT8_i,"axG",@progbits,_ZL26rocblas_hemvn_kernel_lowerILb0ELi64ELi4ELi33ELi32ELi16Ei19rocblas_complex_numIfEPKPKS1_PS1_EviT6_lT7_lT5_lS8_lS9_lS7_lT8_i,comdat
	.globl	_ZL26rocblas_hemvn_kernel_lowerILb0ELi64ELi4ELi33ELi32ELi16Ei19rocblas_complex_numIfEPKPKS1_PS1_EviT6_lT7_lT5_lS8_lS9_lS7_lT8_i ; -- Begin function _ZL26rocblas_hemvn_kernel_lowerILb0ELi64ELi4ELi33ELi32ELi16Ei19rocblas_complex_numIfEPKPKS1_PS1_EviT6_lT7_lT5_lS8_lS9_lS7_lT8_i
	.p2align	8
	.type	_ZL26rocblas_hemvn_kernel_lowerILb0ELi64ELi4ELi33ELi32ELi16Ei19rocblas_complex_numIfEPKPKS1_PS1_EviT6_lT7_lT5_lS8_lS9_lS7_lT8_i,@function
_ZL26rocblas_hemvn_kernel_lowerILb0ELi64ELi4ELi33ELi32ELi16Ei19rocblas_complex_numIfEPKPKS1_PS1_EviT6_lT7_lT5_lS8_lS9_lS7_lT8_i: ; @_ZL26rocblas_hemvn_kernel_lowerILb0ELi64ELi4ELi33ELi32ELi16Ei19rocblas_complex_numIfEPKPKS1_PS1_EviT6_lT7_lT5_lS8_lS9_lS7_lT8_i
; %bb.0:
	s_clause 0x1
	s_load_b64 s[2:3], s[0:1], 0x84
	s_load_b32 s19, s[0:1], 0x70
	s_lshr_b32 s28, ttmp7, 16
	s_wait_kmcnt 0x0
	s_lshr_b32 s4, s2, 16
	s_and_b32 s2, s2, 0xffff
	s_and_b32 s3, s3, 0xffff
	s_mul_i32 s2, s4, s2
	s_delay_alu instid0(SALU_CYCLE_1) | instskip(NEXT) | instid1(SALU_CYCLE_1)
	s_mul_i32 s2, s2, s3
	s_cmp_lg_u32 s2, 0x100
	s_cselect_b32 s2, -1, 0
	s_cmp_ge_u32 s28, s19
	s_cselect_b32 s3, -1, 0
	s_delay_alu instid0(SALU_CYCLE_1) | instskip(NEXT) | instid1(SALU_CYCLE_1)
	s_or_b32 s2, s2, s3
	s_and_b32 vcc_lo, exec_lo, s2
	s_cbranch_vccnz .LBB187_106
; %bb.1:
	s_clause 0x5
	s_load_b64 s[4:5], s[0:1], 0x4
	s_load_b32 s2, s[0:1], 0x0
	s_load_b32 s78, s[0:1], 0x28
	s_load_b64 s[6:7], s[0:1], 0x58
	s_load_b128 s[20:23], s[0:1], 0x18
	s_load_b64 s[8:9], s[0:1], 0x68
	s_add_nc_u64 s[10:11], s[0:1], 0x78
	s_clause 0x1
	s_load_b128 s[24:27], s[0:1], 0x38
	s_load_b32 s18, s[0:1], 0x48
	s_load_b32 s10, s[10:11], 0x0
	v_dual_mov_b32 v33, 0 :: v_dual_and_b32 v84, 0x3ff, v0
	v_bfe_u32 v3, v0, 10, 10
	v_and_b32_e32 v1, 31, v0
	s_mov_b32 s29, 0
	s_delay_alu instid0(VALU_DEP_3)
	v_lshlrev_b32_e32 v85, 3, v84
	s_mov_b32 s11, s29
	v_lshl_add_u32 v16, v3, 6, v84
	v_lshlrev_b32_e32 v17, 3, v1
	v_and_b32_e32 v24, 15, v0
	v_and_b32_e32 v0, 48, v0
	s_wait_kmcnt 0x0
	s_or_b32 s0, s4, s5
	s_ashr_i32 s3, s2, 31
	s_bitset0_b32 s0, 31
	s_ashr_i32 s79, s78, 31
	s_cmp_eq_u32 s0, 0
	v_lshl_or_b32 v15, v1, 8, v17
	s_cselect_b32 s33, -1, 0
	s_cmp_lg_u32 s0, 0
	v_and_b32_e32 v19, 0x7fe0, v16
	s_cselect_b32 s88, -1, 0
	s_cmp_neq_f32 s6, 1.0
	v_lshrrev_b32_e32 v10, 5, v16
	s_mul_i32 s4, s2, ttmp9
	v_add_nc_u32_e32 v87, v15, v19
	s_cselect_b32 s46, -1, 0
	s_cmp_neq_f32 s7, 0
	v_mul_u32_u24_e32 v15, 33, v1
	v_lshlrev_b32_e32 v23, 3, v10
	v_lshlrev_b32_e32 v14, 2, v10
	s_cselect_b32 s47, -1, 0
	s_lshr_b32 s1, s3, 26
	s_add_co_i32 s5, s10, -1
	s_add_co_i32 s1, s2, s1
	s_lshl_b32 s80, ttmp9, 6
	s_and_not1_b32 s1, s1, 63
	v_lshlrev_b32_e32 v88, 3, v15
	s_sub_co_i32 s1, s2, s1
	s_cmp_eq_u32 ttmp9, s5
	v_add_nc_u32_e32 v2, s80, v84
	s_cselect_b32 s30, s1, 0
	v_add_nc_u32_e32 v90, v88, v23
	s_cmp_eq_u32 s30, 0
	s_mul_u64 s[34:35], s[10:11], s[2:3]
	s_cselect_b32 s96, -1, 0
	s_cmp_lg_u32 s30, 0
	v_or_b32_e32 v22, 2, v14
	s_cselect_b32 s1, -1, 0
	s_ashr_i32 s5, s4, 31
	s_sub_co_i32 s16, s30, 32
	s_lshl_b64 s[2:3], s[4:5], 3
	v_mad_co_u64_u32 v[4:5], null, s78, v10, v[1:2]
	s_add_nc_u64 s[36:37], s[8:9], s[2:3]
	v_sub_co_u32 v8, s3, 0, v1
	v_mul_u32_u24_e32 v18, 0x108, v10
	v_add_nc_u32_e32 v11, 8, v10
	v_sub_co_ci_u32_e64 v9, null, 0, 0, s3
	v_cmp_le_i32_e64 s3, s30, v10
	v_add_nc_u32_e32 v12, 16, v10
	v_add_nc_u32_e32 v13, 24, v10
	v_mul_u32_u24_e32 v21, 0x420, v10
	v_add_nc_u32_e32 v89, 0x2380, v19
	v_cmp_le_i32_e64 s13, s16, v10
	v_cmp_eq_u32_e64 s17, 1, v10
	v_mul_i32_i24_e32 v19, 0xffffffe8, v10
	v_mad_u32_u24 v91, v10, 24, v90
	v_mul_lo_u32 v10, v3, s78
	v_or_b32_e32 v20, 1, v14
	v_cmp_lt_u32_e64 s7, v14, v1
	v_or_b32_e32 v14, 3, v14
	v_cmp_lt_u32_e64 s9, v22, v1
	v_lshrrev_b32_e32 v22, 4, v16
	v_mul_lo_u32 v6, s18, v2
	v_cmp_le_i32_e32 vcc_lo, s30, v84
	v_cmp_lt_u32_e64 s10, v14, v1
	v_or_b32_e32 v14, 32, v1
	s_mul_i32 s44, s18, s80
	v_ashrrev_i32_e32 v5, 31, v4
	v_lshl_add_u32 v10, v10, 2, v84
	s_ashr_i32 s45, s44, 31
	v_lshlrev_b32_e32 v25, 5, v22
	s_and_b32 s1, s1, vcc_lo
	v_cmp_le_i32_e64 s5, s30, v12
	v_cmp_gt_i32_e64 s12, s30, v14
	v_cmp_le_i32_e64 s15, s16, v12
	s_sub_nc_u64 s[90:91], 0, s[44:45]
	v_sub_co_u32 v12, vcc_lo, 0, v4
	v_sub_co_u32 v14, s44, 0, v84
	v_cmp_eq_u32_e64 s0, 0, v3
	v_ashrrev_i32_e32 v7, 31, v6
	v_cmp_le_i32_e64 s4, s30, v11
	v_cmp_le_i32_e64 s6, s30, v13
	;; [unrolled: 1-line block ×4, first 2 shown]
	v_sub_co_ci_u32_e64 v13, null, 0, v5, vcc_lo
	v_ashrrev_i32_e32 v11, 31, v10
	v_sub_co_ci_u32_e64 v15, null, 0, 0, s44
	v_lshl_add_u32 v93, v3, 5, 0x2180
	v_mad_u32_u24 v94, 0x860, v3, v85
	v_mad_u32_u24 v98, 0x218, v3, v85
	v_ashrrev_i32_e32 v3, 31, v2
	s_mul_i32 s82, s78, s80
	s_lshl_b32 s38, s78, 3
	s_lshl_b32 s40, s78, 4
	s_mul_i32 s42, s78, 24
	v_cmp_lt_u32_e64 s8, v20, v1
	v_mul_u32_u24_e32 v20, 0x108, v20
	s_lshl_b32 s84, s78, 5
	v_lshlrev_b32_e32 v0, 3, v0
	v_or_b32_e32 v26, 0x78, v85
	v_mad_u32_u24 v95, 0x218, v24, v25
	v_mul_i32_i24_e32 v22, 0xffffffe8, v22
	s_ashr_i32 s81, s80, 31
	s_ashr_i32 s83, s82, 31
	;; [unrolled: 1-line block ×7, first 2 shown]
	s_xor_b32 s48, s1, -1
	s_cmp_gt_i32 ttmp9, 0
	v_lshlrev_b64_e32 v[34:35], 3, v[6:7]
	v_lshlrev_b64_e32 v[36:37], 3, v[4:5]
	;; [unrolled: 1-line block ×7, first 2 shown]
	v_add_nc_u32_e32 v86, 0x2380, v85
	v_cmp_gt_i32_e64 s2, s30, v1
	v_cmp_gt_u32_e64 s11, 32, v16
	s_cselect_b32 s97, -1, 0
	s_lshl_b32 s98, s18, 6
	v_add_nc_u32_e32 v92, 0x2180, v85
	v_cmp_gt_u32_e64 s18, 64, v16
	v_mad_u32_u24 v96, 0x218, v24, v0
	v_mad_u32_u24 v97, 0x218, v24, v26
	v_add_nc_u32_e32 v99, 0x2380, v23
	v_add_nc_u32_e32 v100, v17, v18
	;; [unrolled: 1-line block ×6, first 2 shown]
	v_lshlrev_b32_e32 v105, 3, v1
	s_sub_nc_u64 s[86:87], 0, s[84:85]
	s_sub_nc_u64 s[92:93], 0, s[82:83]
	s_or_b32 s89, s46, s47
	s_and_b32 s99, s0, s48
	s_lshl_b64 s[44:45], s[78:79], 6
	s_wait_alu 0xfffe
	s_sub_nc_u64 s[46:47], 0, s[30:31]
	s_lshl_b64 s[48:49], s[78:79], 3
	s_lshl_b64 s[50:51], s[78:79], 4
	;; [unrolled: 1-line block ×3, first 2 shown]
	s_mul_u64 s[54:55], s[78:79], 24
	s_lshl_b64 s[56:57], s[78:79], 7
	s_mul_u64 s[58:59], s[78:79], 0x90
	s_mul_u64 s[60:61], s[78:79], 0x98
	s_lshl_b64 s[62:63], s[78:79], 8
	s_mul_u64 s[64:65], s[78:79], 0x110
	s_mul_u64 s[66:67], s[78:79], 0x118
	s_mul_u64 s[68:69], s[78:79], 0x180
	s_mul_u64 s[70:71], s[78:79], 0x190
	s_mul_u64 s[72:73], s[78:79], 0x198
	s_mul_u64 s[74:75], s[78:79], 0x188
	s_mul_u64 s[76:77], s[78:79], 0x108
	s_mul_u64 s[78:79], s[78:79], 0x88
	s_or_b32 s100, s89, s88
	s_lshl_b64 s[26:27], s[26:27], 3
	s_lshl_b64 s[22:23], s[22:23], 3
	;; [unrolled: 1-line block ×8, first 2 shown]
	s_branch .LBB187_4
.LBB187_2:                              ;   in Loop: Header=BB187_4 Depth=1
	s_wait_alu 0xfffe
	s_or_b32 exec_lo, exec_lo, s94
.LBB187_3:                              ;   in Loop: Header=BB187_4 Depth=1
	s_add_co_i32 s28, s28, 0x10000
	s_delay_alu instid0(SALU_CYCLE_1)
	s_cmp_lt_u32 s28, s19
	s_cbranch_scc0 .LBB187_106
.LBB187_4:                              ; =>This Loop Header: Depth=1
                                        ;     Child Loop BB187_76 Depth 2
	s_and_not1_b32 vcc_lo, exec_lo, s100
	s_wait_alu 0xfffe
	s_cbranch_vccnz .LBB187_3
; %bb.5:                                ;   in Loop: Header=BB187_4 Depth=1
	s_and_b32 vcc_lo, exec_lo, s33
	s_mov_b32 s92, -1
	s_wait_alu 0xfffe
	s_cbranch_vccz .LBB187_7
; %bb.6:                                ;   in Loop: Header=BB187_4 Depth=1
	s_mov_b32 s92, 0
.LBB187_7:                              ;   in Loop: Header=BB187_4 Depth=1
	s_wait_alu 0xfffe
	s_and_not1_b32 vcc_lo, exec_lo, s92
	s_wait_alu 0xfffe
	s_cbranch_vccnz .LBB187_3
; %bb.8:                                ;   in Loop: Header=BB187_4 Depth=1
	s_lshl_b64 s[92:93], s[28:29], 3
	s_wait_alu 0xfffe
	s_add_nc_u64 s[94:95], s[24:25], s[92:93]
	s_add_nc_u64 s[92:93], s[20:21], s[92:93]
	s_clause 0x1
	global_load_b64 v[2:3], v33, s[94:95]
	global_load_b64 v[0:1], v33, s[92:93]
	s_wait_loadcnt 0x1
	v_add_co_u32 v2, vcc_lo, v2, s26
	s_wait_alu 0xfffd
	v_add_co_ci_u32_e64 v3, null, s27, v3, vcc_lo
	s_delay_alu instid0(VALU_DEP_2) | instskip(SKIP_1) | instid1(VALU_DEP_2)
	v_add_co_u32 v16, vcc_lo, v2, v34
	s_wait_alu 0xfffd
	v_add_co_ci_u32_e64 v17, null, v3, v35, vcc_lo
	s_and_saveexec_b32 s92, s0
	s_cbranch_execz .LBB187_13
; %bb.9:                                ;   in Loop: Header=BB187_4 Depth=1
	s_and_saveexec_b32 s93, s1
	s_wait_alu 0xfffe
	s_xor_b32 s93, exec_lo, s93
; %bb.10:                               ;   in Loop: Header=BB187_4 Depth=1
	v_mov_b32_e32 v32, v33
	ds_store_b64 v86, v[32:33]
; %bb.11:                               ;   in Loop: Header=BB187_4 Depth=1
	s_wait_alu 0xfffe
	s_and_not1_saveexec_b32 s93, s93
	s_cbranch_execz .LBB187_13
; %bb.12:                               ;   in Loop: Header=BB187_4 Depth=1
	flat_load_b64 v[2:3], v[16:17]
	s_wait_loadcnt_dscnt 0x0
	ds_store_b64 v86, v[2:3]
.LBB187_13:                             ;   in Loop: Header=BB187_4 Depth=1
	s_wait_alu 0xfffe
	s_or_b32 exec_lo, exec_lo, s92
	s_wait_loadcnt 0x0
	v_add_co_u32 v0, vcc_lo, v0, s22
	s_wait_alu 0xfffd
	v_add_co_ci_u32_e64 v1, null, s23, v1, vcc_lo
	s_mov_b32 s92, -1
	v_add_co_u32 v0, vcc_lo, v0, s80
	s_wait_alu 0xfffd
	v_add_co_ci_u32_e64 v1, null, s81, v1, vcc_lo
	s_delay_alu instid0(VALU_DEP_2) | instskip(SKIP_1) | instid1(VALU_DEP_2)
	v_add_co_u32 v0, vcc_lo, v0, v36
	s_wait_alu 0xfffd
	v_add_co_ci_u32_e64 v1, null, v1, v37, vcc_lo
	s_delay_alu instid0(VALU_DEP_2) | instskip(SKIP_1) | instid1(VALU_DEP_2)
	v_add_co_u32 v0, vcc_lo, v0, s82
	s_wait_alu 0xfffd
	v_add_co_ci_u32_e64 v1, null, s83, v1, vcc_lo
	s_and_not1_b32 vcc_lo, exec_lo, s96
	s_wait_alu 0xfffe
	s_cbranch_vccnz .LBB187_15
; %bb.14:                               ;   in Loop: Header=BB187_4 Depth=1
	s_lshl_b64 s[92:93], s[38:39], 3
	s_wait_alu 0xfffe
	v_add_co_u32 v2, vcc_lo, v0, s92
	s_wait_alu 0xfffd
	v_add_co_ci_u32_e64 v3, null, s93, v1, vcc_lo
	s_mov_b32 s92, 0
	v_add_co_u32 v4, vcc_lo, v2, s44
	s_wait_alu 0xfffd
	v_add_co_ci_u32_e64 v5, null, s45, v3, vcc_lo
	s_delay_alu instid0(VALU_DEP_2) | instskip(SKIP_1) | instid1(VALU_DEP_2)
	v_add_co_u32 v6, vcc_lo, v4, s44
	s_wait_alu 0xfffd
	v_add_co_ci_u32_e64 v7, null, s45, v5, vcc_lo
	s_clause 0x3
	flat_load_b64 v[8:9], v[0:1]
	flat_load_b64 v[2:3], v[2:3]
	;; [unrolled: 1-line block ×4, first 2 shown]
	s_wait_loadcnt_dscnt 0x303
	ds_store_b64 v100, v[8:9]
	s_wait_loadcnt_dscnt 0x203
	ds_store_b64 v100, v[2:3] offset:2112
	s_wait_loadcnt_dscnt 0x103
	ds_store_b64 v100, v[4:5] offset:4224
	;; [unrolled: 2-line block ×3, first 2 shown]
.LBB187_15:                             ;   in Loop: Header=BB187_4 Depth=1
	s_wait_alu 0xfffe
	s_and_not1_b32 vcc_lo, exec_lo, s92
	s_wait_alu 0xfffe
	s_cbranch_vccnz .LBB187_27
; %bb.16:                               ;   in Loop: Header=BB187_4 Depth=1
	s_and_saveexec_b32 s92, s3
	s_wait_alu 0xfffe
	s_xor_b32 s92, exec_lo, s92
; %bb.17:                               ;   in Loop: Header=BB187_4 Depth=1
	v_mov_b32_e32 v32, v33
	ds_store_b64 v100, v[32:33]
; %bb.18:                               ;   in Loop: Header=BB187_4 Depth=1
	s_wait_alu 0xfffe
	s_or_saveexec_b32 s92, s92
	v_add_co_u32 v2, vcc_lo, v0, v38
	s_wait_alu 0xfffd
	v_add_co_ci_u32_e64 v3, null, v1, v39, vcc_lo
	s_lshl_b64 s[94:95], s[30:31], 3
	s_wait_alu 0xfffe
	v_add_co_u32 v2, vcc_lo, v2, s94
	s_wait_alu 0xfffd
	v_add_co_ci_u32_e64 v3, null, s95, v3, vcc_lo
	s_delay_alu instid0(VALU_DEP_2) | instskip(SKIP_1) | instid1(VALU_DEP_2)
	v_add_co_u32 v2, vcc_lo, v2, -8
	s_wait_alu 0xfffd
	v_add_co_ci_u32_e64 v3, null, -1, v3, vcc_lo
	s_delay_alu instid0(VALU_DEP_2) | instskip(NEXT) | instid1(VALU_DEP_2)
	v_cndmask_b32_e64 v2, v2, v0, s2
	v_cndmask_b32_e64 v3, v3, v1, s2
	s_xor_b32 exec_lo, exec_lo, s92
	s_cbranch_execnz .LBB187_88
; %bb.19:                               ;   in Loop: Header=BB187_4 Depth=1
	s_or_b32 exec_lo, exec_lo, s92
	s_and_saveexec_b32 s92, s4
	s_wait_alu 0xfffe
	s_xor_b32 s92, exec_lo, s92
	s_cbranch_execnz .LBB187_89
.LBB187_20:                             ;   in Loop: Header=BB187_4 Depth=1
	s_wait_alu 0xfffe
	s_and_not1_saveexec_b32 s92, s92
	s_cbranch_execnz .LBB187_90
.LBB187_21:                             ;   in Loop: Header=BB187_4 Depth=1
	s_wait_alu 0xfffe
	s_or_b32 exec_lo, exec_lo, s92
	s_and_saveexec_b32 s92, s5
	s_wait_alu 0xfffe
	s_xor_b32 s92, exec_lo, s92
	s_cbranch_execnz .LBB187_91
.LBB187_22:                             ;   in Loop: Header=BB187_4 Depth=1
	s_wait_alu 0xfffe
	s_and_not1_saveexec_b32 s92, s92
	s_cbranch_execnz .LBB187_92
.LBB187_23:                             ;   in Loop: Header=BB187_4 Depth=1
	s_wait_alu 0xfffe
	s_or_b32 exec_lo, exec_lo, s92
	s_and_saveexec_b32 s92, s6
	s_wait_alu 0xfffe
	s_xor_b32 s92, exec_lo, s92
	s_cbranch_execnz .LBB187_93
.LBB187_24:                             ;   in Loop: Header=BB187_4 Depth=1
	s_wait_alu 0xfffe
	s_and_not1_saveexec_b32 s92, s92
	s_cbranch_execz .LBB187_26
.LBB187_25:                             ;   in Loop: Header=BB187_4 Depth=1
	s_lshl_b64 s[94:95], s[42:43], 3
	s_wait_alu 0xfffe
	v_add_co_u32 v4, vcc_lo, v2, s94
	s_wait_alu 0xfffd
	v_add_co_ci_u32_e64 v5, null, s95, v3, vcc_lo
	flat_load_b64 v[4:5], v[4:5]
	s_wait_loadcnt_dscnt 0x0
	ds_store_b64 v100, v[4:5] offset:6336
.LBB187_26:                             ;   in Loop: Header=BB187_4 Depth=1
	s_wait_alu 0xfffe
	s_or_b32 exec_lo, exec_lo, s92
	v_add_co_u32 v2, vcc_lo, v2, v105
	s_wait_alu 0xfffd
	v_add_co_ci_u32_e64 v3, null, 0, v3, vcc_lo
	s_lshl_b64 s[92:93], s[46:47], 3
	s_wait_alu 0xfffe
	v_add_co_u32 v2, vcc_lo, v2, s92
	s_wait_alu 0xfffd
	v_add_co_ci_u32_e64 v3, null, s93, v3, vcc_lo
	s_delay_alu instid0(VALU_DEP_2) | instskip(SKIP_1) | instid1(VALU_DEP_2)
	v_add_co_u32 v2, vcc_lo, v2, 8
	s_wait_alu 0xfffd
	v_add_co_ci_u32_e64 v3, null, 0, v3, vcc_lo
	s_delay_alu instid0(VALU_DEP_2) | instskip(NEXT) | instid1(VALU_DEP_2)
	v_cndmask_b32_e64 v0, v2, v0, s2
	v_cndmask_b32_e64 v1, v3, v1, s2
.LBB187_27:                             ;   in Loop: Header=BB187_4 Depth=1
	s_wait_dscnt 0x0
	s_barrier_signal -1
	s_barrier_wait -1
	global_inv scope:SCOPE_SE
	s_and_saveexec_b32 s92, s7
	s_cbranch_execnz .LBB187_82
; %bb.28:                               ;   in Loop: Header=BB187_4 Depth=1
	s_wait_alu 0xfffe
	s_or_b32 exec_lo, exec_lo, s92
	s_and_saveexec_b32 s92, s8
	s_cbranch_execnz .LBB187_83
.LBB187_29:                             ;   in Loop: Header=BB187_4 Depth=1
	s_wait_alu 0xfffe
	s_or_b32 exec_lo, exec_lo, s92
	s_and_saveexec_b32 s92, s9
	s_cbranch_execnz .LBB187_84
.LBB187_30:                             ;   in Loop: Header=BB187_4 Depth=1
	s_wait_alu 0xfffe
	s_or_b32 exec_lo, exec_lo, s92
	s_and_saveexec_b32 s92, s10
	s_cbranch_execz .LBB187_32
.LBB187_31:                             ;   in Loop: Header=BB187_4 Depth=1
	ds_load_b64 v[2:3], v102 offset:528
	s_wait_dscnt 0x0
	ds_store_b64 v87, v[2:3] offset:24
.LBB187_32:                             ;   in Loop: Header=BB187_4 Depth=1
	s_wait_alu 0xfffe
	s_or_b32 exec_lo, exec_lo, s92
	s_wait_loadcnt_dscnt 0x0
	s_barrier_signal -1
	s_barrier_wait -1
	global_inv scope:SCOPE_SE
	ds_load_b64 v[14:15], v101
	ds_load_b128 v[2:5], v89
	ds_load_2addr_b64 v[6:9], v102 offset1:33
	ds_load_b128 v[10:13], v89 offset:16
	ds_load_b64 v[18:19], v102 offset:528
	s_wait_loadcnt_dscnt 0x0
	s_barrier_signal -1
	s_barrier_wait -1
	global_inv scope:SCOPE_SE
	v_dual_mov_b32 v49, 0 :: v_dual_mul_f32 v20, v3, v15
	v_dual_mul_f32 v15, v2, v15 :: v_dual_mul_f32 v22, v11, v9
	v_mul_f32_e32 v9, v10, v9
	s_delay_alu instid0(VALU_DEP_3) | instskip(SKIP_1) | instid1(VALU_DEP_4)
	v_fma_f32 v2, v2, v14, -v20
	v_mul_f32_e32 v21, v5, v7
	v_fmac_f32_e32 v15, v3, v14
	s_delay_alu instid0(VALU_DEP_4) | instskip(SKIP_3) | instid1(VALU_DEP_1)
	v_fmac_f32_e32 v9, v11, v8
	v_fma_f32 v10, v10, v8, -v22
	v_dual_add_f32 v2, 0, v2 :: v_dual_mul_f32 v7, v4, v7
	v_fma_f32 v4, v4, v6, -v21
	v_dual_add_f32 v2, v2, v4 :: v_dual_fmac_f32 v7, v5, v6
	v_mul_f32_e32 v6, v12, v19
	v_add_f32_e32 v5, 0, v15
	s_delay_alu instid0(VALU_DEP_3) | instskip(NEXT) | instid1(VALU_DEP_3)
	v_dual_mul_f32 v3, v13, v19 :: v_dual_add_f32 v2, v2, v10
	v_fmac_f32_e32 v6, v13, v18
	s_delay_alu instid0(VALU_DEP_3) | instskip(NEXT) | instid1(VALU_DEP_3)
	v_add_f32_e32 v4, v5, v7
	v_fma_f32 v3, v12, v18, -v3
	s_delay_alu instid0(VALU_DEP_2) | instskip(SKIP_1) | instid1(VALU_DEP_2)
	v_add_f32_e32 v4, v4, v9
	v_mov_b32_e32 v48, 0
	v_dual_add_f32 v2, v2, v3 :: v_dual_add_f32 v3, v4, v6
	ds_store_b64 v90, v[2:3]
	s_wait_loadcnt_dscnt 0x0
	s_barrier_signal -1
	s_barrier_wait -1
	global_inv scope:SCOPE_SE
	s_and_saveexec_b32 s92, s11
	s_cbranch_execz .LBB187_34
; %bb.33:                               ;   in Loop: Header=BB187_4 Depth=1
	ds_load_2addr_b64 v[2:5], v88 offset1:7
	ds_load_2addr_b64 v[6:9], v88 offset0:1 offset1:2
	ds_load_2addr_b64 v[10:13], v88 offset0:3 offset1:4
	;; [unrolled: 1-line block ×3, first 2 shown]
	s_wait_dscnt 0x2
	v_dual_add_f32 v2, v6, v2 :: v_dual_add_f32 v3, v7, v3
	s_delay_alu instid0(VALU_DEP_1) | instskip(SKIP_1) | instid1(VALU_DEP_1)
	v_dual_add_f32 v2, v8, v2 :: v_dual_add_f32 v3, v9, v3
	s_wait_dscnt 0x1
	v_dual_add_f32 v2, v2, v10 :: v_dual_add_f32 v3, v3, v11
	s_delay_alu instid0(VALU_DEP_1) | instskip(SKIP_1) | instid1(VALU_DEP_1)
	v_dual_add_f32 v2, v2, v12 :: v_dual_add_f32 v3, v3, v13
	s_wait_dscnt 0x0
	v_dual_add_f32 v2, v2, v18 :: v_dual_add_f32 v3, v3, v19
	s_delay_alu instid0(VALU_DEP_1) | instskip(NEXT) | instid1(VALU_DEP_1)
	v_dual_add_f32 v2, v2, v20 :: v_dual_add_f32 v3, v3, v21
	v_dual_add_f32 v48, v2, v4 :: v_dual_add_f32 v49, v3, v5
.LBB187_34:                             ;   in Loop: Header=BB187_4 Depth=1
	s_wait_alu 0xfffe
	s_or_b32 exec_lo, exec_lo, s92
	v_add_co_u32 v0, vcc_lo, v0, s84
	s_wait_alu 0xfffd
	v_add_co_ci_u32_e64 v1, null, s85, v1, vcc_lo
	s_and_not1_b32 vcc_lo, exec_lo, s96
	s_mov_b32 s92, -1
	s_wait_loadcnt 0x0
	s_barrier_signal -1
	s_barrier_wait -1
	global_inv scope:SCOPE_SE
	s_wait_alu 0xfffe
	s_cbranch_vccnz .LBB187_36
; %bb.35:                               ;   in Loop: Header=BB187_4 Depth=1
	s_lshl_b64 s[92:93], s[38:39], 3
	s_wait_alu 0xfffe
	v_add_co_u32 v2, vcc_lo, v0, s92
	s_wait_alu 0xfffd
	v_add_co_ci_u32_e64 v3, null, s93, v1, vcc_lo
	s_mov_b32 s92, 0
	v_add_co_u32 v4, vcc_lo, v2, s44
	s_wait_alu 0xfffd
	v_add_co_ci_u32_e64 v5, null, s45, v3, vcc_lo
	s_delay_alu instid0(VALU_DEP_2) | instskip(SKIP_1) | instid1(VALU_DEP_2)
	v_add_co_u32 v6, vcc_lo, v4, s44
	s_wait_alu 0xfffd
	v_add_co_ci_u32_e64 v7, null, s45, v5, vcc_lo
	s_clause 0x3
	flat_load_b64 v[8:9], v[0:1] offset:256
	flat_load_b64 v[2:3], v[2:3] offset:256
	;; [unrolled: 1-line block ×4, first 2 shown]
	s_wait_loadcnt_dscnt 0x303
	ds_store_b64 v100, v[8:9]
	s_wait_loadcnt_dscnt 0x203
	ds_store_b64 v100, v[2:3] offset:2112
	s_wait_loadcnt_dscnt 0x103
	ds_store_b64 v100, v[4:5] offset:4224
	;; [unrolled: 2-line block ×3, first 2 shown]
.LBB187_36:                             ;   in Loop: Header=BB187_4 Depth=1
	v_add_co_u32 v2, vcc_lo, 0x100, v0
	s_wait_alu 0xfffd
	v_add_co_ci_u32_e64 v3, null, 0, v1, vcc_lo
	s_wait_alu 0xfffe
	s_and_not1_b32 vcc_lo, exec_lo, s92
	s_wait_alu 0xfffe
	s_cbranch_vccnz .LBB187_48
; %bb.37:                               ;   in Loop: Header=BB187_4 Depth=1
	s_and_saveexec_b32 s92, s13
	s_wait_alu 0xfffe
	s_xor_b32 s92, exec_lo, s92
; %bb.38:                               ;   in Loop: Header=BB187_4 Depth=1
	v_mov_b32_e32 v32, v33
	ds_store_b64 v100, v[32:33]
; %bb.39:                               ;   in Loop: Header=BB187_4 Depth=1
	s_wait_alu 0xfffe
	s_or_saveexec_b32 s92, s92
	v_add_co_u32 v0, vcc_lo, v0, v38
	s_wait_alu 0xfffd
	v_add_co_ci_u32_e64 v1, null, v1, v39, vcc_lo
	s_lshl_b64 s[94:95], s[30:31], 3
	s_wait_alu 0xfffe
	v_add_co_u32 v0, vcc_lo, v0, s94
	s_wait_alu 0xfffd
	v_add_co_ci_u32_e64 v1, null, s95, v1, vcc_lo
	s_delay_alu instid0(VALU_DEP_2) | instskip(SKIP_1) | instid1(VALU_DEP_2)
	v_add_co_u32 v0, vcc_lo, v0, -8
	s_wait_alu 0xfffd
	v_add_co_ci_u32_e64 v1, null, -1, v1, vcc_lo
	s_delay_alu instid0(VALU_DEP_2) | instskip(NEXT) | instid1(VALU_DEP_2)
	v_cndmask_b32_e64 v0, v0, v2, s12
	v_cndmask_b32_e64 v1, v1, v3, s12
	s_xor_b32 exec_lo, exec_lo, s92
	s_cbranch_execnz .LBB187_94
; %bb.40:                               ;   in Loop: Header=BB187_4 Depth=1
	s_or_b32 exec_lo, exec_lo, s92
	s_and_saveexec_b32 s92, s14
	s_wait_alu 0xfffe
	s_xor_b32 s92, exec_lo, s92
	s_cbranch_execnz .LBB187_95
.LBB187_41:                             ;   in Loop: Header=BB187_4 Depth=1
	s_wait_alu 0xfffe
	s_and_not1_saveexec_b32 s92, s92
	s_cbranch_execnz .LBB187_96
.LBB187_42:                             ;   in Loop: Header=BB187_4 Depth=1
	s_wait_alu 0xfffe
	s_or_b32 exec_lo, exec_lo, s92
	s_and_saveexec_b32 s92, s15
	s_wait_alu 0xfffe
	s_xor_b32 s92, exec_lo, s92
	s_cbranch_execnz .LBB187_97
.LBB187_43:                             ;   in Loop: Header=BB187_4 Depth=1
	s_wait_alu 0xfffe
	s_and_not1_saveexec_b32 s92, s92
	s_cbranch_execnz .LBB187_98
.LBB187_44:                             ;   in Loop: Header=BB187_4 Depth=1
	s_wait_alu 0xfffe
	s_or_b32 exec_lo, exec_lo, s92
	s_and_saveexec_b32 s92, s16
	s_wait_alu 0xfffe
	s_xor_b32 s92, exec_lo, s92
	s_cbranch_execnz .LBB187_99
.LBB187_45:                             ;   in Loop: Header=BB187_4 Depth=1
	s_wait_alu 0xfffe
	s_and_not1_saveexec_b32 s92, s92
	s_cbranch_execz .LBB187_47
.LBB187_46:                             ;   in Loop: Header=BB187_4 Depth=1
	s_lshl_b64 s[94:95], s[42:43], 3
	s_wait_alu 0xfffe
	v_add_co_u32 v4, vcc_lo, v0, s94
	s_wait_alu 0xfffd
	v_add_co_ci_u32_e64 v5, null, s95, v1, vcc_lo
	flat_load_b64 v[4:5], v[4:5]
	s_wait_loadcnt_dscnt 0x0
	ds_store_b64 v100, v[4:5] offset:6336
.LBB187_47:                             ;   in Loop: Header=BB187_4 Depth=1
	s_wait_alu 0xfffe
	s_or_b32 exec_lo, exec_lo, s92
	v_add_co_u32 v0, vcc_lo, v0, v105
	s_wait_alu 0xfffd
	v_add_co_ci_u32_e64 v1, null, 0, v1, vcc_lo
	s_lshl_b64 s[92:93], s[46:47], 3
	s_wait_alu 0xfffe
	v_add_co_u32 v0, vcc_lo, v0, s92
	s_wait_alu 0xfffd
	v_add_co_ci_u32_e64 v1, null, s93, v1, vcc_lo
	s_delay_alu instid0(VALU_DEP_2) | instskip(SKIP_1) | instid1(VALU_DEP_2)
	v_add_co_u32 v0, vcc_lo, 0x108, v0
	s_wait_alu 0xfffd
	v_add_co_ci_u32_e64 v1, null, 0, v1, vcc_lo
	s_delay_alu instid0(VALU_DEP_2) | instskip(NEXT) | instid1(VALU_DEP_2)
	v_cndmask_b32_e64 v2, v0, v2, s12
	v_cndmask_b32_e64 v3, v1, v3, s12
.LBB187_48:                             ;   in Loop: Header=BB187_4 Depth=1
	s_wait_loadcnt_dscnt 0x0
	s_barrier_signal -1
	s_barrier_wait -1
	global_inv scope:SCOPE_SE
	s_and_saveexec_b32 s92, s7
	s_cbranch_execnz .LBB187_85
; %bb.49:                               ;   in Loop: Header=BB187_4 Depth=1
	s_wait_alu 0xfffe
	s_or_b32 exec_lo, exec_lo, s92
	s_and_saveexec_b32 s92, s8
	s_cbranch_execnz .LBB187_86
.LBB187_50:                             ;   in Loop: Header=BB187_4 Depth=1
	s_wait_alu 0xfffe
	s_or_b32 exec_lo, exec_lo, s92
	s_and_saveexec_b32 s92, s9
	s_cbranch_execnz .LBB187_87
.LBB187_51:                             ;   in Loop: Header=BB187_4 Depth=1
	s_wait_alu 0xfffe
	s_or_b32 exec_lo, exec_lo, s92
	s_and_saveexec_b32 s92, s10
	s_cbranch_execz .LBB187_53
.LBB187_52:                             ;   in Loop: Header=BB187_4 Depth=1
	ds_load_b64 v[0:1], v102 offset:528
	s_wait_dscnt 0x0
	ds_store_b64 v87, v[0:1] offset:24
.LBB187_53:                             ;   in Loop: Header=BB187_4 Depth=1
	s_wait_alu 0xfffe
	s_or_b32 exec_lo, exec_lo, s92
	s_wait_loadcnt_dscnt 0x0
	s_barrier_signal -1
	s_barrier_wait -1
	global_inv scope:SCOPE_SE
	ds_load_b64 v[0:1], v101
	ds_load_b128 v[4:7], v89 offset:256
	ds_load_2addr_b64 v[8:11], v102 offset1:33
	ds_load_b128 v[12:15], v89 offset:272
	ds_load_b64 v[18:19], v102 offset:528
	s_wait_loadcnt_dscnt 0x0
	s_barrier_signal -1
	s_barrier_wait -1
	global_inv scope:SCOPE_SE
	v_mul_f32_e32 v20, v5, v1
	v_dual_mul_f32 v1, v4, v1 :: v_dual_mul_f32 v22, v13, v11
	v_mul_f32_e32 v11, v12, v11
	s_delay_alu instid0(VALU_DEP_3) | instskip(SKIP_3) | instid1(VALU_DEP_4)
	v_fma_f32 v4, v4, v0, -v20
	v_mul_f32_e32 v21, v7, v9
	v_mul_f32_e32 v9, v6, v9
	v_dual_fmac_f32 v1, v5, v0 :: v_dual_mul_f32 v0, v15, v19
	v_add_f32_e32 v4, 0, v4
	s_delay_alu instid0(VALU_DEP_4) | instskip(NEXT) | instid1(VALU_DEP_4)
	v_fma_f32 v5, v6, v8, -v21
	v_dual_fmac_f32 v9, v7, v8 :: v_dual_mul_f32 v6, v14, v19
	s_delay_alu instid0(VALU_DEP_4) | instskip(SKIP_1) | instid1(VALU_DEP_4)
	v_add_f32_e32 v1, 0, v1
	v_fma_f32 v7, v12, v10, -v22
	v_dual_add_f32 v4, v4, v5 :: v_dual_fmac_f32 v11, v13, v10
	v_fma_f32 v0, v14, v18, -v0
	v_fmac_f32_e32 v6, v15, v18
	s_delay_alu instid0(VALU_DEP_3) | instskip(NEXT) | instid1(VALU_DEP_1)
	v_dual_add_f32 v4, v4, v7 :: v_dual_add_f32 v1, v1, v9
	v_dual_add_f32 v0, v4, v0 :: v_dual_add_f32 v1, v1, v11
	s_delay_alu instid0(VALU_DEP_1)
	v_add_f32_e32 v1, v1, v6
	ds_store_b64 v90, v[0:1]
	s_wait_loadcnt_dscnt 0x0
	s_barrier_signal -1
	s_barrier_wait -1
	global_inv scope:SCOPE_SE
	s_and_saveexec_b32 s92, s17
	s_cbranch_execz .LBB187_55
; %bb.54:                               ;   in Loop: Header=BB187_4 Depth=1
	ds_load_2addr_b64 v[4:7], v88 offset1:7
	ds_load_2addr_b64 v[8:11], v88 offset0:1 offset1:2
	ds_load_2addr_b64 v[12:15], v88 offset0:3 offset1:4
	;; [unrolled: 1-line block ×3, first 2 shown]
	s_wait_dscnt 0x2
	v_dual_add_f32 v0, v8, v4 :: v_dual_add_f32 v1, v9, v5
	s_delay_alu instid0(VALU_DEP_1) | instskip(SKIP_1) | instid1(VALU_DEP_1)
	v_dual_add_f32 v0, v10, v0 :: v_dual_add_f32 v1, v11, v1
	s_wait_dscnt 0x1
	v_dual_add_f32 v0, v0, v12 :: v_dual_add_f32 v1, v1, v13
	s_delay_alu instid0(VALU_DEP_1) | instskip(SKIP_1) | instid1(VALU_DEP_1)
	v_dual_add_f32 v0, v0, v14 :: v_dual_add_f32 v1, v1, v15
	s_wait_dscnt 0x0
	v_dual_add_f32 v0, v0, v18 :: v_dual_add_f32 v1, v1, v19
	s_delay_alu instid0(VALU_DEP_1) | instskip(NEXT) | instid1(VALU_DEP_1)
	v_dual_add_f32 v0, v0, v20 :: v_dual_add_f32 v1, v1, v21
	v_dual_add_f32 v48, v0, v6 :: v_dual_add_f32 v49, v1, v7
.LBB187_55:                             ;   in Loop: Header=BB187_4 Depth=1
	s_wait_alu 0xfffe
	s_or_b32 exec_lo, exec_lo, s92
	v_add_co_u32 v18, vcc_lo, v2, s86
	s_wait_alu 0xfffd
	v_add_co_ci_u32_e64 v19, null, s87, v3, vcc_lo
	s_and_not1_b32 vcc_lo, exec_lo, s96
	s_mov_b32 s92, -1
	s_wait_loadcnt 0x0
	s_barrier_signal -1
	s_barrier_wait -1
	global_inv scope:SCOPE_SE
	s_wait_alu 0xfffe
	s_cbranch_vccnz .LBB187_57
; %bb.56:                               ;   in Loop: Header=BB187_4 Depth=1
	s_lshl_b64 s[92:93], s[38:39], 3
	s_wait_alu 0xfffe
	v_add_co_u32 v0, vcc_lo, v18, s92
	s_wait_alu 0xfffd
	v_add_co_ci_u32_e64 v1, null, s93, v19, vcc_lo
	s_mov_b32 s92, 0
	v_add_co_u32 v2, vcc_lo, v0, s44
	s_wait_alu 0xfffd
	v_add_co_ci_u32_e64 v3, null, s45, v1, vcc_lo
	s_delay_alu instid0(VALU_DEP_2) | instskip(SKIP_1) | instid1(VALU_DEP_2)
	v_add_co_u32 v4, vcc_lo, v2, s44
	s_wait_alu 0xfffd
	v_add_co_ci_u32_e64 v5, null, s45, v3, vcc_lo
	s_clause 0x3
	flat_load_b64 v[6:7], v[18:19]
	flat_load_b64 v[0:1], v[0:1]
	;; [unrolled: 1-line block ×4, first 2 shown]
	s_wait_loadcnt_dscnt 0x303
	ds_store_b64 v100, v[6:7]
	s_wait_loadcnt_dscnt 0x203
	ds_store_b64 v100, v[0:1] offset:2112
	s_wait_loadcnt_dscnt 0x103
	ds_store_b64 v100, v[2:3] offset:4224
	;; [unrolled: 2-line block ×3, first 2 shown]
.LBB187_57:                             ;   in Loop: Header=BB187_4 Depth=1
	s_wait_alu 0xfffe
	s_and_not1_b32 vcc_lo, exec_lo, s92
	s_wait_alu 0xfffe
	s_cbranch_vccnz .LBB187_69
; %bb.58:                               ;   in Loop: Header=BB187_4 Depth=1
	s_and_saveexec_b32 s92, s3
	s_wait_alu 0xfffe
	s_xor_b32 s92, exec_lo, s92
; %bb.59:                               ;   in Loop: Header=BB187_4 Depth=1
	v_mov_b32_e32 v32, v33
	ds_store_b64 v100, v[32:33]
; %bb.60:                               ;   in Loop: Header=BB187_4 Depth=1
	s_wait_alu 0xfffe
	s_or_saveexec_b32 s92, s92
	v_add_co_u32 v0, vcc_lo, v18, v38
	s_wait_alu 0xfffd
	v_add_co_ci_u32_e64 v1, null, v19, v39, vcc_lo
	s_lshl_b64 s[94:95], s[30:31], 3
	s_wait_alu 0xfffe
	v_add_co_u32 v0, vcc_lo, v0, s94
	s_wait_alu 0xfffd
	v_add_co_ci_u32_e64 v1, null, s95, v1, vcc_lo
	s_delay_alu instid0(VALU_DEP_2) | instskip(SKIP_1) | instid1(VALU_DEP_2)
	v_add_co_u32 v0, vcc_lo, 0xfffffef8, v0
	s_wait_alu 0xfffd
	v_add_co_ci_u32_e64 v1, null, -1, v1, vcc_lo
	s_delay_alu instid0(VALU_DEP_2) | instskip(NEXT) | instid1(VALU_DEP_2)
	v_cndmask_b32_e64 v0, v0, v18, s12
	v_cndmask_b32_e64 v1, v1, v19, s12
	s_xor_b32 exec_lo, exec_lo, s92
	s_cbranch_execnz .LBB187_100
; %bb.61:                               ;   in Loop: Header=BB187_4 Depth=1
	s_or_b32 exec_lo, exec_lo, s92
	s_and_saveexec_b32 s92, s4
	s_wait_alu 0xfffe
	s_xor_b32 s92, exec_lo, s92
	s_cbranch_execnz .LBB187_101
.LBB187_62:                             ;   in Loop: Header=BB187_4 Depth=1
	s_wait_alu 0xfffe
	s_and_not1_saveexec_b32 s92, s92
	s_cbranch_execnz .LBB187_102
.LBB187_63:                             ;   in Loop: Header=BB187_4 Depth=1
	s_wait_alu 0xfffe
	s_or_b32 exec_lo, exec_lo, s92
	s_and_saveexec_b32 s92, s5
	s_wait_alu 0xfffe
	s_xor_b32 s92, exec_lo, s92
	s_cbranch_execnz .LBB187_103
.LBB187_64:                             ;   in Loop: Header=BB187_4 Depth=1
	s_wait_alu 0xfffe
	s_and_not1_saveexec_b32 s92, s92
	s_cbranch_execnz .LBB187_104
.LBB187_65:                             ;   in Loop: Header=BB187_4 Depth=1
	s_wait_alu 0xfffe
	s_or_b32 exec_lo, exec_lo, s92
	s_and_saveexec_b32 s92, s6
	s_wait_alu 0xfffe
	s_xor_b32 s92, exec_lo, s92
	s_cbranch_execnz .LBB187_105
.LBB187_66:                             ;   in Loop: Header=BB187_4 Depth=1
	s_wait_alu 0xfffe
	s_and_not1_saveexec_b32 s92, s92
	s_cbranch_execz .LBB187_68
.LBB187_67:                             ;   in Loop: Header=BB187_4 Depth=1
	s_lshl_b64 s[94:95], s[42:43], 3
	s_wait_alu 0xfffe
	v_add_co_u32 v2, vcc_lo, v0, s94
	s_wait_alu 0xfffd
	v_add_co_ci_u32_e64 v3, null, s95, v1, vcc_lo
	flat_load_b64 v[2:3], v[2:3]
	s_wait_loadcnt_dscnt 0x0
	ds_store_b64 v100, v[2:3] offset:6336
.LBB187_68:                             ;   in Loop: Header=BB187_4 Depth=1
	s_wait_alu 0xfffe
	s_or_b32 exec_lo, exec_lo, s92
	v_add_co_u32 v0, vcc_lo, v0, v105
	s_wait_alu 0xfffd
	v_add_co_ci_u32_e64 v1, null, 0, v1, vcc_lo
	s_lshl_b64 s[92:93], s[46:47], 3
	s_wait_alu 0xfffe
	v_add_co_u32 v0, vcc_lo, v0, s92
	s_wait_alu 0xfffd
	v_add_co_ci_u32_e64 v1, null, s93, v1, vcc_lo
	s_delay_alu instid0(VALU_DEP_2) | instskip(SKIP_1) | instid1(VALU_DEP_2)
	v_add_co_u32 v0, vcc_lo, 0x108, v0
	s_wait_alu 0xfffd
	v_add_co_ci_u32_e64 v1, null, 0, v1, vcc_lo
	s_delay_alu instid0(VALU_DEP_2) | instskip(NEXT) | instid1(VALU_DEP_2)
	v_cndmask_b32_e64 v18, v0, v18, s12
	v_cndmask_b32_e64 v19, v1, v19, s12
.LBB187_69:                             ;   in Loop: Header=BB187_4 Depth=1
	s_wait_loadcnt_dscnt 0x0
	s_barrier_signal -1
	s_barrier_wait -1
	global_inv scope:SCOPE_SE
	ds_load_b64 v[24:25], v103
	ds_load_b64 v[26:27], v100
	ds_load_b64 v[28:29], v100 offset:2112
	ds_load_2addr_b64 v[20:23], v99 offset0:8 offset1:16
	ds_load_b64 v[30:31], v100 offset:6336
	ds_load_b64 v[50:51], v100 offset:4224
	ds_load_b64 v[52:53], v99 offset:192
	ds_load_b128 v[8:11], v89 offset:256
	ds_load_b128 v[0:3], v89 offset:272
	ds_load_2addr_b64 v[12:15], v91 offset1:1
	ds_load_2addr_b64 v[4:7], v91 offset0:2 offset1:3
	s_wait_loadcnt_dscnt 0x0
	s_barrier_signal -1
	s_barrier_wait -1
	global_inv scope:SCOPE_SE
	v_mul_f32_e32 v32, v25, v27
	v_dual_mul_f32 v27, v24, v27 :: v_dual_mul_f32 v54, v21, v29
	v_mul_f32_e32 v29, v20, v29
	s_delay_alu instid0(VALU_DEP_3) | instskip(SKIP_1) | instid1(VALU_DEP_4)
	v_fma_f32 v24, v24, v26, -v32
	v_mul_f32_e32 v56, v53, v31
	v_dual_fmac_f32 v27, v25, v26 :: v_dual_mul_f32 v26, v52, v31
	v_fma_f32 v20, v20, v28, -v54
	v_fmac_f32_e32 v29, v21, v28
	v_add_f32_e32 v21, 0, v24
	v_mul_f32_e32 v55, v23, v51
	v_dual_mul_f32 v25, v22, v51 :: v_dual_fmac_f32 v26, v53, v30
	v_add_f32_e32 v24, 0, v27
	s_delay_alu instid0(VALU_DEP_4) | instskip(NEXT) | instid1(VALU_DEP_4)
	v_add_f32_e32 v20, v21, v20
	v_fma_f32 v22, v22, v50, -v55
	s_delay_alu instid0(VALU_DEP_3) | instskip(NEXT) | instid1(VALU_DEP_2)
	v_add_f32_e32 v21, v24, v29
	v_add_f32_e32 v20, v20, v22
	v_fmac_f32_e32 v25, v23, v50
	v_fma_f32 v23, v52, v30, -v56
	s_delay_alu instid0(VALU_DEP_1) | instskip(NEXT) | instid1(VALU_DEP_1)
	v_dual_add_f32 v20, v20, v23 :: v_dual_add_f32 v21, v21, v25
	v_add_f32_e32 v21, v21, v26
	ds_store_b64 v90, v[20:21]
	s_wait_loadcnt_dscnt 0x0
	s_barrier_signal -1
	s_barrier_wait -1
	global_inv scope:SCOPE_SE
	s_and_saveexec_b32 s92, s17
	s_cbranch_execz .LBB187_71
; %bb.70:                               ;   in Loop: Header=BB187_4 Depth=1
	ds_load_2addr_b64 v[20:23], v88 offset1:1
	ds_load_2addr_b64 v[24:27], v88 offset0:2 offset1:3
	ds_load_2addr_b64 v[28:31], v88 offset0:4 offset1:5
	s_wait_dscnt 0x2
	v_dual_add_f32 v20, v48, v20 :: v_dual_add_f32 v21, v49, v21
	s_delay_alu instid0(VALU_DEP_1) | instskip(SKIP_1) | instid1(VALU_DEP_1)
	v_add_f32_e32 v48, v21, v23
	s_wait_dscnt 0x1
	v_add_f32_e32 v25, v48, v25
	s_delay_alu instid0(VALU_DEP_3) | instskip(SKIP_3) | instid1(VALU_DEP_1)
	v_add_f32_e32 v32, v20, v22
	ds_load_2addr_b64 v[20:23], v88 offset0:6 offset1:7
	v_dual_add_f32 v25, v25, v27 :: v_dual_add_f32 v24, v32, v24
	s_wait_dscnt 0x1
	v_dual_add_f32 v25, v25, v29 :: v_dual_add_f32 v24, v24, v26
	s_delay_alu instid0(VALU_DEP_1) | instskip(SKIP_1) | instid1(VALU_DEP_1)
	v_dual_add_f32 v25, v25, v31 :: v_dual_add_f32 v24, v24, v28
	s_wait_dscnt 0x0
	v_dual_add_f32 v21, v25, v21 :: v_dual_add_f32 v24, v24, v30
	s_delay_alu instid0(VALU_DEP_1) | instskip(NEXT) | instid1(VALU_DEP_1)
	v_dual_add_f32 v49, v21, v23 :: v_dual_add_f32 v20, v24, v20
	v_add_f32_e32 v48, v20, v22
.LBB187_71:                             ;   in Loop: Header=BB187_4 Depth=1
	s_wait_alu 0xfffe
	s_or_b32 exec_lo, exec_lo, s92
	v_dual_mul_f32 v20, v9, v13 :: v_dual_mul_f32 v21, v11, v15
	v_mul_f32_e32 v13, v8, v13
	v_dual_mul_f32 v15, v10, v15 :: v_dual_mul_f32 v22, v1, v5
	s_delay_alu instid0(VALU_DEP_3) | instskip(NEXT) | instid1(VALU_DEP_4)
	v_fma_f32 v8, v8, v12, -v20
	v_fma_f32 v10, v10, v14, -v21
	v_mul_f32_e32 v5, v0, v5
	s_delay_alu instid0(VALU_DEP_4)
	v_fmac_f32_e32 v15, v11, v14
	v_fma_f32 v0, v0, v4, -v22
	v_add_f32_e32 v8, 0, v8
	v_fmac_f32_e32 v13, v9, v12
	v_fmac_f32_e32 v5, v1, v4
	s_wait_loadcnt 0x0
	s_barrier_signal -1
	v_dual_add_f32 v8, v8, v10 :: v_dual_mul_f32 v9, v3, v7
	v_mul_f32_e32 v7, v2, v7
	s_barrier_wait -1
	global_inv scope:SCOPE_SE
	v_add_f32_e32 v0, v8, v0
	v_fma_f32 v2, v2, v6, -v9
	v_add_f32_e32 v11, 0, v13
	v_fmac_f32_e32 v7, v3, v6
	s_delay_alu instid0(VALU_DEP_2) | instskip(NEXT) | instid1(VALU_DEP_1)
	v_dual_add_f32 v0, v0, v2 :: v_dual_add_f32 v1, v11, v15
	v_add_f32_e32 v1, v1, v5
	s_delay_alu instid0(VALU_DEP_1)
	v_add_f32_e32 v1, v1, v7
	ds_store_b64 v90, v[0:1]
	s_wait_loadcnt_dscnt 0x0
	s_barrier_signal -1
	s_barrier_wait -1
	global_inv scope:SCOPE_SE
	s_and_saveexec_b32 s92, s11
	s_cbranch_execz .LBB187_73
; %bb.72:                               ;   in Loop: Header=BB187_4 Depth=1
	ds_load_2addr_b64 v[0:3], v88 offset1:1
	ds_load_2addr_b64 v[4:7], v88 offset0:2 offset1:3
	ds_load_2addr_b64 v[8:11], v88 offset0:4 offset1:5
	s_wait_dscnt 0x2
	v_dual_add_f32 v0, v48, v0 :: v_dual_add_f32 v1, v49, v1
	s_delay_alu instid0(VALU_DEP_1) | instskip(SKIP_3) | instid1(VALU_DEP_1)
	v_dual_add_f32 v12, v0, v2 :: v_dual_add_f32 v13, v1, v3
	ds_load_2addr_b64 v[0:3], v88 offset0:6 offset1:7
	s_wait_dscnt 0x2
	v_dual_add_f32 v4, v12, v4 :: v_dual_add_f32 v5, v13, v5
	v_dual_add_f32 v4, v4, v6 :: v_dual_add_f32 v5, v5, v7
	s_wait_dscnt 0x1
	s_delay_alu instid0(VALU_DEP_1) | instskip(NEXT) | instid1(VALU_DEP_1)
	v_dual_add_f32 v4, v4, v8 :: v_dual_add_f32 v5, v5, v9
	v_dual_add_f32 v4, v4, v10 :: v_dual_add_f32 v5, v5, v11
	s_wait_dscnt 0x0
	s_delay_alu instid0(VALU_DEP_1) | instskip(NEXT) | instid1(VALU_DEP_1)
	v_dual_add_f32 v0, v4, v0 :: v_dual_add_f32 v1, v5, v1
	v_dual_add_f32 v48, v0, v2 :: v_dual_add_f32 v49, v1, v3
.LBB187_73:                             ;   in Loop: Header=BB187_4 Depth=1
	s_wait_alu 0xfffe
	s_or_b32 exec_lo, exec_lo, s92
	s_mul_u64 s[92:93], s[34:35], s[28:29]
	s_and_not1_b32 vcc_lo, exec_lo, s97
	s_wait_alu 0xfffe
	s_lshl_b64 s[92:93], s[92:93], 3
	s_wait_loadcnt 0x0
	s_wait_alu 0xfffe
	s_add_nc_u64 s[92:93], s[36:37], s[92:93]
	s_barrier_signal -1
	s_barrier_wait -1
	global_inv scope:SCOPE_SE
	s_cbranch_vccnz .LBB187_80
; %bb.74:                               ;   in Loop: Header=BB187_4 Depth=1
	v_add_co_u32 v0, vcc_lo, v18, s90
	s_wait_alu 0xfffd
	v_add_co_ci_u32_e64 v1, null, s91, v19, vcc_lo
	s_lshl_b64 s[94:95], s[30:31], 3
	v_add_co_u32 v0, vcc_lo, v0, v40
	s_wait_alu 0xfffd
	v_add_co_ci_u32_e64 v1, null, v1, v41, vcc_lo
	v_mov_b32_e32 v32, v84
	s_delay_alu instid0(VALU_DEP_3) | instskip(SKIP_1) | instid1(VALU_DEP_3)
	v_add_co_u32 v0, vcc_lo, v0, v42
	s_wait_alu 0xfffd
	v_add_co_ci_u32_e64 v1, null, v1, v43, vcc_lo
	s_mov_b32 s101, ttmp9
	v_add_co_u32 v2, vcc_lo, v0, v44
	s_wait_alu 0xfffd
	v_add_co_ci_u32_e64 v3, null, v1, v45, vcc_lo
	s_wait_alu 0xfffe
	s_delay_alu instid0(VALU_DEP_2) | instskip(SKIP_1) | instid1(VALU_DEP_2)
	v_add_co_u32 v2, vcc_lo, v2, s94
	s_wait_alu 0xfffd
	v_add_co_ci_u32_e64 v3, null, s95, v3, vcc_lo
	v_add_co_u32 v0, vcc_lo, 0xffffff00, v0
	s_wait_alu 0xfffd
	v_add_co_ci_u32_e64 v1, null, -1, v1, vcc_lo
	v_add_co_u32 v2, vcc_lo, 0xfffffef8, v2
	s_wait_alu 0xfffd
	v_add_co_ci_u32_e64 v3, null, -1, v3, vcc_lo
	v_add_co_u32 v106, vcc_lo, v16, s88
	s_wait_alu 0xfffd
	v_add_co_ci_u32_e64 v107, null, s89, v17, vcc_lo
	s_delay_alu instid0(VALU_DEP_3)
	v_cndmask_b32_e64 v51, v1, v3, s1
	v_cndmask_b32_e64 v50, v0, v2, s1
	s_mov_b32 s94, 0
	s_branch .LBB187_76
.LBB187_75:                             ;   in Loop: Header=BB187_76 Depth=2
	s_wait_alu 0xfffe
	s_or_b32 exec_lo, exec_lo, s95
	v_dual_mul_f32 v108, v5, v53 :: v_dual_mul_f32 v109, v7, v59
	v_mul_f32_e32 v5, v5, v52
	v_dual_mul_f32 v7, v7, v58 :: v_dual_mul_f32 v110, v1, v57
	s_delay_alu instid0(VALU_DEP_3)
	v_fma_f32 v52, v4, v52, -v108
	v_mul_f32_e32 v108, v3, v55
	v_mul_f32_e32 v3, v3, v54
	v_fma_f32 v58, v6, v58, -v109
	v_add_co_u32 v50, vcc_lo, v50, s52
	v_add_f32_e32 v48, v48, v52
	v_mul_f32_e32 v1, v1, v56
	v_dual_mul_f32 v52, v13, v67 :: v_dual_fmac_f32 v5, v4, v53
	v_fma_f32 v4, v0, v56, -v110
	s_delay_alu instid0(VALU_DEP_4) | instskip(SKIP_3) | instid1(VALU_DEP_4)
	v_add_f32_e32 v48, v48, v58
	v_mul_f32_e32 v13, v13, v66
	v_fmac_f32_e32 v1, v0, v57
	v_fmac_f32_e32 v3, v2, v55
	v_dual_add_f32 v5, v49, v5 :: v_dual_add_f32 v4, v48, v4
	v_fmac_f32_e32 v7, v6, v59
	v_fma_f32 v6, v2, v54, -v108
	s_wait_alu 0xfffd
	v_add_co_ci_u32_e64 v51, null, s53, v51, vcc_lo
	v_add_nc_u32_e32 v32, 64, v32
	s_add_co_i32 s101, s101, -1
	v_dual_add_f32 v4, v4, v6 :: v_dual_mul_f32 v53, v15, v65
	v_dual_add_f32 v0, v5, v7 :: v_dual_mul_f32 v15, v15, v64
	v_mul_f32_e32 v6, v9, v63
	v_fma_f32 v5, v12, v66, -v52
	s_add_co_i32 s94, s94, s98
	s_delay_alu instid0(VALU_DEP_3)
	v_add_f32_e32 v0, v0, v1
	v_fma_f32 v1, v14, v64, -v53
	v_fmac_f32_e32 v13, v12, v67
	s_cmp_eq_u32 s101, 0
	s_wait_loadcnt 0x0
	s_wait_storecnt 0x0
	v_add_f32_e32 v0, v0, v3
	v_fma_f32 v3, v8, v62, -v6
	v_add_f32_e32 v2, v4, v5
	v_mul_f32_e32 v4, v11, v61
	v_mul_f32_e32 v6, v31, v76
	v_add_f32_e32 v0, v0, v13
	s_barrier_signal -1
	v_dual_add_f32 v1, v2, v1 :: v_dual_mul_f32 v2, v9, v62
	v_fma_f32 v4, v10, v60, -v4
	v_dual_mul_f32 v5, v11, v60 :: v_dual_fmac_f32 v6, v30, v77
	s_barrier_wait -1
	s_delay_alu instid0(VALU_DEP_3)
	v_dual_fmac_f32 v2, v8, v63 :: v_dual_fmac_f32 v15, v14, v65
	v_add_f32_e32 v1, v1, v3
	v_mul_f32_e32 v3, v17, v75
	v_fmac_f32_e32 v5, v10, v61
	global_inv scope:SCOPE_SE
	v_dual_add_f32 v0, v0, v15 :: v_dual_add_f32 v1, v1, v4
	v_mul_f32_e32 v4, v19, v73
	v_fma_f32 v3, v16, v74, -v3
	s_delay_alu instid0(VALU_DEP_3) | instskip(SKIP_1) | instid1(VALU_DEP_3)
	v_add_f32_e32 v0, v0, v2
	v_mul_f32_e32 v2, v17, v74
	v_add_f32_e32 v1, v1, v3
	v_fma_f32 v3, v18, v72, -v4
	v_mul_f32_e32 v4, v21, v71
	v_dual_add_f32 v0, v0, v5 :: v_dual_mul_f32 v5, v19, v72
	v_fmac_f32_e32 v2, v16, v75
	s_delay_alu instid0(VALU_DEP_4) | instskip(NEXT) | instid1(VALU_DEP_4)
	v_add_f32_e32 v1, v1, v3
	v_fma_f32 v3, v20, v70, -v4
	v_mul_f32_e32 v4, v23, v69
	s_delay_alu instid0(VALU_DEP_4) | instskip(SKIP_1) | instid1(VALU_DEP_4)
	v_dual_fmac_f32 v5, v18, v73 :: v_dual_add_f32 v0, v0, v2
	v_mul_f32_e32 v2, v21, v70
	v_add_f32_e32 v1, v1, v3
	s_delay_alu instid0(VALU_DEP_4) | instskip(NEXT) | instid1(VALU_DEP_4)
	v_fma_f32 v3, v22, v68, -v4
	v_dual_add_f32 v0, v0, v5 :: v_dual_mul_f32 v5, v23, v68
	s_delay_alu instid0(VALU_DEP_4) | instskip(SKIP_1) | instid1(VALU_DEP_4)
	v_fmac_f32_e32 v2, v20, v71
	v_mul_f32_e32 v4, v25, v83
	v_add_f32_e32 v1, v1, v3
	v_mul_f32_e32 v3, v27, v81
	s_delay_alu instid0(VALU_DEP_4) | instskip(NEXT) | instid1(VALU_DEP_4)
	v_dual_fmac_f32 v5, v22, v69 :: v_dual_add_f32 v0, v0, v2
	v_fma_f32 v2, v24, v82, -v4
	s_delay_alu instid0(VALU_DEP_1) | instskip(NEXT) | instid1(VALU_DEP_4)
	v_add_f32_e32 v1, v1, v2
	v_fma_f32 v2, v26, v80, -v3
	v_dual_mul_f32 v3, v27, v80 :: v_dual_mul_f32 v4, v25, v82
	s_delay_alu instid0(VALU_DEP_2) | instskip(NEXT) | instid1(VALU_DEP_2)
	v_dual_add_f32 v0, v0, v5 :: v_dual_add_f32 v1, v1, v2
	v_dual_fmac_f32 v3, v26, v81 :: v_dual_fmac_f32 v4, v24, v83
	v_mul_f32_e32 v5, v29, v79
	v_mul_f32_e32 v2, v29, v78
	s_delay_alu instid0(VALU_DEP_3) | instskip(NEXT) | instid1(VALU_DEP_3)
	v_add_f32_e32 v0, v0, v4
	v_fma_f32 v4, v28, v78, -v5
	s_delay_alu instid0(VALU_DEP_3) | instskip(NEXT) | instid1(VALU_DEP_2)
	v_dual_mul_f32 v5, v31, v77 :: v_dual_fmac_f32 v2, v28, v79
	v_dual_add_f32 v0, v0, v3 :: v_dual_add_f32 v1, v1, v4
	s_delay_alu instid0(VALU_DEP_2) | instskip(NEXT) | instid1(VALU_DEP_2)
	v_fma_f32 v3, v30, v76, -v5
	v_add_f32_e32 v0, v0, v2
	s_delay_alu instid0(VALU_DEP_1)
	v_dual_add_f32 v48, v1, v3 :: v_dual_add_f32 v49, v0, v6
	s_cbranch_scc1 .LBB187_80
.LBB187_76:                             ;   Parent Loop BB187_4 Depth=1
                                        ; =>  This Inner Loop Header: Depth=2
	s_and_saveexec_b32 s102, s0
	s_cbranch_execz .LBB187_78
; %bb.77:                               ;   in Loop: Header=BB187_76 Depth=2
	s_wait_alu 0xfffe
	s_ashr_i32 s95, s94, 31
	s_wait_alu 0xfffe
	s_lshl_b64 vcc, s[94:95], 3
	s_wait_alu 0xfffe
	v_add_co_u32 v0, vcc_lo, v106, vcc_lo
	s_wait_alu 0xfffd
	v_add_co_ci_u32_e64 v1, null, vcc_hi, v107, vcc_lo
	flat_load_b64 v[0:1], v[0:1]
	s_wait_loadcnt_dscnt 0x0
	ds_store_b64 v92, v[0:1]
.LBB187_78:                             ;   in Loop: Header=BB187_76 Depth=2
	s_or_b32 exec_lo, exec_lo, s102
	v_add_co_u32 v0, vcc_lo, v50, s48
	s_wait_alu 0xfffd
	v_add_co_ci_u32_e64 v1, null, s49, v51, vcc_lo
	v_add_co_u32 v2, vcc_lo, v50, s50
	s_wait_loadcnt_dscnt 0x0
	s_barrier_signal -1
	s_barrier_wait -1
	global_inv scope:SCOPE_SE
	flat_load_b64 v[52:53], v[50:51]
	s_wait_alu 0xfffd
	v_add_co_ci_u32_e64 v3, null, s51, v51, vcc_lo
	v_add_co_u32 v4, vcc_lo, v50, s54
	s_wait_alu 0xfffd
	v_add_co_ci_u32_e64 v5, null, s55, v51, vcc_lo
	s_clause 0x2
	flat_load_b64 v[58:59], v[0:1]
	flat_load_b64 v[56:57], v[2:3]
	flat_load_b64 v[54:55], v[4:5]
	ds_load_b64 v[8:9], v86
	ds_load_b128 v[4:7], v93
	ds_load_b128 v[0:3], v93 offset:16
	v_add_co_u32 v10, vcc_lo, v50, s56
	s_wait_alu 0xfffd
	v_add_co_ci_u32_e64 v11, null, s57, v51, vcc_lo
	v_add_co_u32 v14, vcc_lo, v50, s78
	s_wait_alu 0xfffd
	v_add_co_ci_u32_e64 v15, null, s79, v51, vcc_lo
	s_wait_loadcnt_dscnt 0x302
	v_mul_f32_e32 v13, v9, v52
	v_mul_f32_e32 v12, v9, v53
	s_wait_loadcnt 0x2
	s_delay_alu instid0(VALU_DEP_2)
	v_dual_fmac_f32 v13, v8, v53 :: v_dual_mul_f32 v16, v9, v59
	v_mul_f32_e32 v17, v9, v58
	s_wait_loadcnt 0x1
	v_mul_f32_e32 v18, v9, v57
	v_mul_f32_e32 v19, v9, v56
	s_wait_loadcnt 0x0
	v_mul_f32_e32 v20, v9, v55
	v_mul_f32_e32 v21, v8, v55
	v_fma_f32 v12, v8, v52, -v12
	v_fma_f32 v16, v8, v58, -v16
	v_fmac_f32_e32 v17, v8, v59
	v_fma_f32 v18, v8, v56, -v18
	v_fmac_f32_e32 v19, v8, v57
	;; [unrolled: 2-line block ×3, first 2 shown]
	v_add_co_u32 v8, vcc_lo, v50, s58
	s_wait_alu 0xfffd
	v_add_co_ci_u32_e64 v9, null, s59, v51, vcc_lo
	ds_store_2addr_b64 v94, v[12:13], v[16:17] offset1:67
	ds_store_2addr_b64 v94, v[18:19], v[20:21] offset0:134 offset1:201
	s_wait_dscnt 0x0
	s_barrier_signal -1
	s_barrier_wait -1
	global_inv scope:SCOPE_SE
	ds_load_2addr_b64 v[108:111], v95 offset1:1
	ds_load_2addr_b64 v[112:115], v95 offset0:2 offset1:3
	s_wait_loadcnt_dscnt 0x0
	s_barrier_signal -1
	s_barrier_wait -1
	global_inv scope:SCOPE_SE
	flat_load_b64 v[66:67], v[10:11]
	v_add_co_u32 v10, vcc_lo, v50, s60
	s_wait_alu 0xfffd
	v_add_co_ci_u32_e64 v11, null, s61, v51, vcc_lo
	s_clause 0x2
	flat_load_b64 v[64:65], v[14:15]
	flat_load_b64 v[62:63], v[8:9]
	;; [unrolled: 1-line block ×3, first 2 shown]
	ds_load_b64 v[8:9], v86
	ds_load_b128 v[12:15], v93 offset:128
	v_add_co_u32 v16, vcc_lo, v50, s62
	s_wait_alu 0xfffd
	v_add_co_ci_u32_e64 v17, null, s63, v51, vcc_lo
	v_add_co_u32 v18, vcc_lo, v50, s76
	v_add_f32_e32 v108, 0, v108
	s_wait_alu 0xfffd
	v_add_co_ci_u32_e64 v19, null, s77, v51, vcc_lo
	v_add_co_u32 v28, vcc_lo, v50, s64
	s_delay_alu instid0(VALU_DEP_3) | instskip(SKIP_2) | instid1(VALU_DEP_2)
	v_add_f32_e32 v108, v108, v110
	s_wait_alu 0xfffd
	v_add_co_ci_u32_e64 v29, null, s65, v51, vcc_lo
	v_add_f32_e32 v112, v108, v112
	s_delay_alu instid0(VALU_DEP_1)
	v_add_f32_e32 v112, v112, v114
	s_wait_loadcnt_dscnt 0x301
	v_mul_f32_e32 v10, v9, v67
	v_mul_f32_e32 v21, v9, v66
	s_wait_loadcnt 0x2
	v_mul_f32_e32 v11, v9, v65
	v_mul_f32_e32 v23, v9, v64
	s_wait_loadcnt 0x1
	;; [unrolled: 3-line block ×3, first 2 shown]
	v_dual_mul_f32 v26, v9, v61 :: v_dual_fmac_f32 v21, v8, v67
	v_mul_f32_e32 v27, v8, v61
	v_fma_f32 v20, v8, v66, -v10
	v_fma_f32 v22, v8, v64, -v11
	v_fmac_f32_e32 v23, v8, v65
	v_fma_f32 v24, v8, v62, -v24
	v_fmac_f32_e32 v25, v8, v63
	v_fma_f32 v26, v8, v60, -v26
	v_fmac_f32_e32 v27, v9, v60
	ds_load_b128 v[8:11], v93 offset:144
	ds_store_2addr_b64 v94, v[20:21], v[22:23] offset1:67
	ds_store_2addr_b64 v94, v[24:25], v[26:27] offset0:134 offset1:201
	s_wait_dscnt 0x0
	s_barrier_signal -1
	s_barrier_wait -1
	global_inv scope:SCOPE_SE
	ds_load_2addr_b64 v[116:119], v95 offset1:1
	ds_load_2addr_b64 v[120:123], v95 offset0:2 offset1:3
	s_wait_loadcnt_dscnt 0x0
	s_barrier_signal -1
	s_barrier_wait -1
	global_inv scope:SCOPE_SE
	flat_load_b64 v[74:75], v[16:17]
	v_add_co_u32 v16, vcc_lo, v50, s66
	s_wait_alu 0xfffd
	v_add_co_ci_u32_e64 v17, null, s67, v51, vcc_lo
	s_clause 0x2
	flat_load_b64 v[72:73], v[18:19]
	flat_load_b64 v[70:71], v[28:29]
	;; [unrolled: 1-line block ×3, first 2 shown]
	ds_load_b64 v[20:21], v86
	ds_load_b128 v[16:19], v93 offset:256
	v_add_co_u32 v24, vcc_lo, v50, s68
	s_wait_alu 0xfffd
	v_add_co_ci_u32_e64 v25, null, s69, v51, vcc_lo
	v_add_co_u32 v26, vcc_lo, v50, s74
	v_add_f32_e32 v117, 0, v117
	v_dual_add_f32 v109, 0, v109 :: v_dual_add_f32 v116, 0, v116
	s_wait_alu 0xfffd
	v_add_co_ci_u32_e64 v27, null, s75, v51, vcc_lo
	s_delay_alu instid0(VALU_DEP_3) | instskip(NEXT) | instid1(VALU_DEP_3)
	v_add_f32_e32 v114, v117, v119
	v_dual_add_f32 v109, v109, v111 :: v_dual_add_f32 v116, v116, v118
	v_add_co_u32 v132, vcc_lo, v50, s70
	s_delay_alu instid0(VALU_DEP_3) | instskip(NEXT) | instid1(VALU_DEP_3)
	v_add_f32_e32 v118, v114, v121
	v_add_f32_e32 v113, v109, v113
	s_wait_alu 0xfffd
	v_add_co_ci_u32_e64 v133, null, s71, v51, vcc_lo
	s_delay_alu instid0(VALU_DEP_2) | instskip(SKIP_1) | instid1(VALU_DEP_1)
	v_add_f32_e32 v113, v113, v115
	v_add_f32_e32 v115, v116, v120
	v_dual_add_f32 v114, v115, v122 :: v_dual_add_f32 v115, v118, v123
	s_wait_loadcnt_dscnt 0x301
	v_mul_f32_e32 v22, v21, v75
	v_mul_f32_e32 v29, v21, v74
	s_wait_loadcnt 0x2
	v_mul_f32_e32 v23, v21, v73
	v_mul_f32_e32 v31, v21, v72
	s_wait_loadcnt 0x1
	;; [unrolled: 3-line block ×3, first 2 shown]
	v_mul_f32_e32 v78, v21, v69
	v_mul_f32_e32 v79, v20, v69
	v_fma_f32 v28, v20, v74, -v22
	v_fmac_f32_e32 v29, v20, v75
	v_fma_f32 v30, v20, v72, -v23
	v_fmac_f32_e32 v31, v20, v73
	;; [unrolled: 2-line block ×4, first 2 shown]
	ds_load_b128 v[20:23], v93 offset:272
	ds_store_2addr_b64 v94, v[28:29], v[30:31] offset1:67
	ds_store_2addr_b64 v94, v[76:77], v[78:79] offset0:134 offset1:201
	s_wait_dscnt 0x0
	s_barrier_signal -1
	s_barrier_wait -1
	global_inv scope:SCOPE_SE
	ds_load_2addr_b64 v[124:127], v95 offset1:1
	ds_load_2addr_b64 v[128:131], v95 offset0:2 offset1:3
	s_wait_loadcnt_dscnt 0x0
	s_barrier_signal -1
	s_barrier_wait -1
	global_inv scope:SCOPE_SE
	flat_load_b64 v[82:83], v[24:25]
	v_add_co_u32 v24, vcc_lo, v50, s72
	s_wait_alu 0xfffd
	v_add_co_ci_u32_e64 v25, null, s73, v51, vcc_lo
	s_clause 0x2
	flat_load_b64 v[80:81], v[26:27]
	flat_load_b64 v[78:79], v[132:133]
	;; [unrolled: 1-line block ×3, first 2 shown]
	ds_load_b64 v[28:29], v86
	ds_load_b128 v[24:27], v93 offset:384
	v_dual_add_f32 v116, 0, v124 :: v_dual_add_f32 v117, 0, v125
	s_delay_alu instid0(VALU_DEP_1) | instskip(NEXT) | instid1(VALU_DEP_1)
	v_dual_add_f32 v116, v116, v126 :: v_dual_add_f32 v117, v117, v127
	v_dual_add_f32 v116, v116, v128 :: v_dual_add_f32 v117, v117, v129
	s_wait_loadcnt_dscnt 0x301
	v_mul_f32_e32 v30, v29, v83
	v_mul_f32_e32 v133, v29, v82
	s_wait_loadcnt 0x2
	v_mul_f32_e32 v31, v29, v81
	v_mul_f32_e32 v135, v29, v80
	s_wait_loadcnt 0x1
	;; [unrolled: 3-line block ×3, first 2 shown]
	v_dual_mul_f32 v138, v29, v77 :: v_dual_fmac_f32 v133, v28, v83
	v_mul_f32_e32 v139, v28, v77
	v_fma_f32 v132, v28, v82, -v30
	v_fma_f32 v134, v28, v80, -v31
	v_fmac_f32_e32 v135, v28, v81
	v_fma_f32 v136, v28, v78, -v136
	v_fmac_f32_e32 v137, v28, v79
	;; [unrolled: 2-line block ×3, first 2 shown]
	ds_load_b128 v[28:31], v93 offset:400
	ds_store_2addr_b64 v94, v[132:133], v[134:135] offset1:67
	ds_store_2addr_b64 v94, v[136:137], v[138:139] offset0:134 offset1:201
	s_wait_dscnt 0x0
	s_barrier_signal -1
	s_barrier_wait -1
	global_inv scope:SCOPE_SE
	ds_load_2addr_b64 v[132:135], v95 offset1:1
	ds_load_2addr_b64 v[108:111], v95 offset0:2 offset1:3
	s_wait_loadcnt_dscnt 0x0
	s_barrier_signal -1
	s_barrier_wait -1
	global_inv scope:SCOPE_SE
	v_dual_add_f32 v119, 0, v132 :: v_dual_add_f32 v120, 0, v133
	s_delay_alu instid0(VALU_DEP_1) | instskip(NEXT) | instid1(VALU_DEP_1)
	v_dual_add_f32 v119, v119, v134 :: v_dual_add_f32 v120, v120, v135
	v_dual_add_f32 v118, v119, v108 :: v_dual_add_f32 v119, v120, v109
	;; [unrolled: 1-line block ×3, first 2 shown]
	s_delay_alu instid0(VALU_DEP_2)
	v_dual_add_f32 v110, v118, v110 :: v_dual_add_f32 v111, v119, v111
	ds_store_2addr_b64 v104, v[112:113], v[114:115] offset1:16
	ds_store_2addr_b64 v104, v[108:109], v[110:111] offset0:32 offset1:48
	s_wait_loadcnt_dscnt 0x0
	s_barrier_signal -1
	s_barrier_wait -1
	global_inv scope:SCOPE_SE
	s_and_saveexec_b32 s95, s18
	s_cbranch_execz .LBB187_75
; %bb.79:                               ;   in Loop: Header=BB187_76 Depth=2
	ds_load_b64 v[120:121], v96
	ds_load_2addr_b64 v[108:111], v96 offset0:1 offset1:2
	ds_load_2addr_b64 v[112:115], v96 offset0:3 offset1:4
	;; [unrolled: 1-line block ×3, first 2 shown]
	s_wait_dscnt 0x2
	v_dual_add_f32 v108, v108, v120 :: v_dual_add_f32 v109, v109, v121
	s_delay_alu instid0(VALU_DEP_1) | instskip(SKIP_3) | instid1(VALU_DEP_1)
	v_dual_add_f32 v120, v110, v108 :: v_dual_add_f32 v121, v111, v109
	ds_load_2addr_b64 v[108:111], v96 offset0:7 offset1:8
	s_wait_dscnt 0x2
	v_dual_add_f32 v112, v120, v112 :: v_dual_add_f32 v113, v121, v113
	v_dual_add_f32 v120, v112, v114 :: v_dual_add_f32 v121, v113, v115
	ds_load_2addr_b64 v[112:115], v96 offset0:9 offset1:10
	s_wait_dscnt 0x2
	v_dual_add_f32 v116, v120, v116 :: v_dual_add_f32 v117, v121, v117
	s_delay_alu instid0(VALU_DEP_1) | instskip(SKIP_3) | instid1(VALU_DEP_1)
	v_dual_add_f32 v120, v116, v118 :: v_dual_add_f32 v121, v117, v119
	ds_load_2addr_b64 v[116:119], v96 offset0:11 offset1:12
	s_wait_dscnt 0x2
	v_dual_add_f32 v108, v120, v108 :: v_dual_add_f32 v109, v121, v109
	v_dual_add_f32 v120, v108, v110 :: v_dual_add_f32 v121, v109, v111
	ds_load_2addr_b64 v[108:111], v96 offset0:13 offset1:14
	s_wait_dscnt 0x2
	v_dual_add_f32 v112, v120, v112 :: v_dual_add_f32 v113, v121, v113
	s_delay_alu instid0(VALU_DEP_1) | instskip(SKIP_3) | instid1(VALU_DEP_1)
	v_dual_add_f32 v114, v112, v114 :: v_dual_add_f32 v115, v113, v115
	ds_load_b64 v[112:113], v97
	s_wait_dscnt 0x2
	v_dual_add_f32 v114, v114, v116 :: v_dual_add_f32 v115, v115, v117
	v_dual_add_f32 v114, v114, v118 :: v_dual_add_f32 v115, v115, v119
	s_wait_dscnt 0x1
	s_delay_alu instid0(VALU_DEP_1) | instskip(NEXT) | instid1(VALU_DEP_1)
	v_dual_add_f32 v108, v114, v108 :: v_dual_add_f32 v109, v115, v109
	v_dual_add_f32 v110, v108, v110 :: v_dual_add_f32 v111, v109, v111
	v_lshlrev_b64_e32 v[108:109], 3, v[32:33]
	s_wait_dscnt 0x0
	s_delay_alu instid0(VALU_DEP_2) | instskip(NEXT) | instid1(VALU_DEP_2)
	v_dual_add_f32 v110, v110, v112 :: v_dual_add_f32 v111, v111, v113
	v_add_co_u32 v108, vcc_lo, s92, v108
	s_wait_alu 0xfffd
	s_delay_alu instid0(VALU_DEP_3)
	v_add_co_ci_u32_e64 v109, null, s93, v109, vcc_lo
	global_store_b64 v[108:109], v[110:111], off
	s_branch .LBB187_75
.LBB187_80:                             ;   in Loop: Header=BB187_4 Depth=1
	ds_store_b64 v98, v[48:49]
	s_wait_loadcnt_dscnt 0x0
	s_barrier_signal -1
	s_barrier_wait -1
	global_inv scope:SCOPE_SE
	s_and_saveexec_b32 s94, s99
	s_cbranch_execz .LBB187_2
; %bb.81:                               ;   in Loop: Header=BB187_4 Depth=1
	ds_load_2addr_b64 v[0:3], v85 offset1:67
	ds_load_2addr_b64 v[4:7], v85 offset0:134 offset1:201
	s_wait_dscnt 0x1
	v_dual_add_f32 v0, v2, v0 :: v_dual_add_f32 v1, v3, v1
	s_wait_alu 0xfffe
	v_add_co_u32 v2, vcc_lo, s92, v46
	s_wait_alu 0xfffd
	v_add_co_ci_u32_e64 v3, null, s93, v47, vcc_lo
	s_wait_dscnt 0x0
	v_dual_add_f32 v0, v4, v0 :: v_dual_add_f32 v1, v5, v1
	s_delay_alu instid0(VALU_DEP_1)
	v_dual_add_f32 v0, v0, v6 :: v_dual_add_f32 v1, v1, v7
	global_store_b64 v[2:3], v[0:1], off
	s_branch .LBB187_2
.LBB187_82:                             ;   in Loop: Header=BB187_4 Depth=1
	ds_load_b64 v[2:3], v101
	s_wait_dscnt 0x0
	ds_store_b64 v87, v[2:3]
	s_wait_alu 0xfffe
	s_or_b32 exec_lo, exec_lo, s92
	s_and_saveexec_b32 s92, s8
	s_cbranch_execz .LBB187_29
.LBB187_83:                             ;   in Loop: Header=BB187_4 Depth=1
	ds_load_b64 v[2:3], v102
	s_wait_dscnt 0x0
	ds_store_b64 v87, v[2:3] offset:8
	s_wait_alu 0xfffe
	s_or_b32 exec_lo, exec_lo, s92
	s_and_saveexec_b32 s92, s9
	s_cbranch_execz .LBB187_30
.LBB187_84:                             ;   in Loop: Header=BB187_4 Depth=1
	ds_load_b64 v[2:3], v102 offset:264
	s_wait_dscnt 0x0
	ds_store_b64 v87, v[2:3] offset:16
	s_wait_alu 0xfffe
	s_or_b32 exec_lo, exec_lo, s92
	s_and_saveexec_b32 s92, s10
	s_cbranch_execnz .LBB187_31
	s_branch .LBB187_32
.LBB187_85:                             ;   in Loop: Header=BB187_4 Depth=1
	ds_load_b64 v[0:1], v101
	s_wait_dscnt 0x0
	ds_store_b64 v87, v[0:1]
	s_wait_alu 0xfffe
	s_or_b32 exec_lo, exec_lo, s92
	s_and_saveexec_b32 s92, s8
	s_cbranch_execz .LBB187_50
.LBB187_86:                             ;   in Loop: Header=BB187_4 Depth=1
	ds_load_b64 v[0:1], v102
	s_wait_dscnt 0x0
	ds_store_b64 v87, v[0:1] offset:8
	s_wait_alu 0xfffe
	s_or_b32 exec_lo, exec_lo, s92
	s_and_saveexec_b32 s92, s9
	s_cbranch_execz .LBB187_51
.LBB187_87:                             ;   in Loop: Header=BB187_4 Depth=1
	ds_load_b64 v[0:1], v102 offset:264
	s_wait_dscnt 0x0
	ds_store_b64 v87, v[0:1] offset:16
	s_wait_alu 0xfffe
	s_or_b32 exec_lo, exec_lo, s92
	s_and_saveexec_b32 s92, s10
	s_cbranch_execnz .LBB187_52
	s_branch .LBB187_53
.LBB187_88:                             ;   in Loop: Header=BB187_4 Depth=1
	flat_load_b64 v[4:5], v[2:3]
	s_wait_loadcnt_dscnt 0x0
	ds_store_b64 v100, v[4:5]
	s_or_b32 exec_lo, exec_lo, s92
	s_and_saveexec_b32 s92, s4
	s_wait_alu 0xfffe
	s_xor_b32 s92, exec_lo, s92
	s_cbranch_execz .LBB187_20
.LBB187_89:                             ;   in Loop: Header=BB187_4 Depth=1
	v_mov_b32_e32 v32, v33
	ds_store_b64 v100, v[32:33] offset:2112
	s_wait_alu 0xfffe
	s_and_not1_saveexec_b32 s92, s92
	s_cbranch_execz .LBB187_21
.LBB187_90:                             ;   in Loop: Header=BB187_4 Depth=1
	s_lshl_b64 s[94:95], s[38:39], 3
	s_wait_alu 0xfffe
	v_add_co_u32 v4, vcc_lo, v2, s94
	s_wait_alu 0xfffd
	v_add_co_ci_u32_e64 v5, null, s95, v3, vcc_lo
	flat_load_b64 v[4:5], v[4:5]
	s_wait_loadcnt_dscnt 0x0
	ds_store_b64 v100, v[4:5] offset:2112
	s_or_b32 exec_lo, exec_lo, s92
	s_and_saveexec_b32 s92, s5
	s_wait_alu 0xfffe
	s_xor_b32 s92, exec_lo, s92
	s_cbranch_execz .LBB187_22
.LBB187_91:                             ;   in Loop: Header=BB187_4 Depth=1
	v_mov_b32_e32 v32, v33
	ds_store_b64 v100, v[32:33] offset:4224
	s_wait_alu 0xfffe
	s_and_not1_saveexec_b32 s92, s92
	s_cbranch_execz .LBB187_23
.LBB187_92:                             ;   in Loop: Header=BB187_4 Depth=1
	s_lshl_b64 s[94:95], s[40:41], 3
	s_wait_alu 0xfffe
	v_add_co_u32 v4, vcc_lo, v2, s94
	s_wait_alu 0xfffd
	v_add_co_ci_u32_e64 v5, null, s95, v3, vcc_lo
	flat_load_b64 v[4:5], v[4:5]
	s_wait_loadcnt_dscnt 0x0
	ds_store_b64 v100, v[4:5] offset:4224
	s_or_b32 exec_lo, exec_lo, s92
	s_and_saveexec_b32 s92, s6
	s_wait_alu 0xfffe
	s_xor_b32 s92, exec_lo, s92
	s_cbranch_execz .LBB187_24
.LBB187_93:                             ;   in Loop: Header=BB187_4 Depth=1
	v_mov_b32_e32 v32, v33
	ds_store_b64 v100, v[32:33] offset:6336
	s_wait_alu 0xfffe
	s_and_not1_saveexec_b32 s92, s92
	s_cbranch_execnz .LBB187_25
	s_branch .LBB187_26
.LBB187_94:                             ;   in Loop: Header=BB187_4 Depth=1
	flat_load_b64 v[4:5], v[0:1]
	s_wait_loadcnt_dscnt 0x0
	ds_store_b64 v100, v[4:5]
	s_or_b32 exec_lo, exec_lo, s92
	s_and_saveexec_b32 s92, s14
	s_wait_alu 0xfffe
	s_xor_b32 s92, exec_lo, s92
	s_cbranch_execz .LBB187_41
.LBB187_95:                             ;   in Loop: Header=BB187_4 Depth=1
	v_mov_b32_e32 v32, v33
	ds_store_b64 v100, v[32:33] offset:2112
	s_wait_alu 0xfffe
	s_and_not1_saveexec_b32 s92, s92
	s_cbranch_execz .LBB187_42
.LBB187_96:                             ;   in Loop: Header=BB187_4 Depth=1
	s_lshl_b64 s[94:95], s[38:39], 3
	s_wait_alu 0xfffe
	v_add_co_u32 v4, vcc_lo, v0, s94
	s_wait_alu 0xfffd
	v_add_co_ci_u32_e64 v5, null, s95, v1, vcc_lo
	flat_load_b64 v[4:5], v[4:5]
	s_wait_loadcnt_dscnt 0x0
	ds_store_b64 v100, v[4:5] offset:2112
	s_or_b32 exec_lo, exec_lo, s92
	s_and_saveexec_b32 s92, s15
	s_wait_alu 0xfffe
	s_xor_b32 s92, exec_lo, s92
	s_cbranch_execz .LBB187_43
.LBB187_97:                             ;   in Loop: Header=BB187_4 Depth=1
	v_mov_b32_e32 v32, v33
	ds_store_b64 v100, v[32:33] offset:4224
	s_wait_alu 0xfffe
	s_and_not1_saveexec_b32 s92, s92
	s_cbranch_execz .LBB187_44
.LBB187_98:                             ;   in Loop: Header=BB187_4 Depth=1
	s_lshl_b64 s[94:95], s[40:41], 3
	s_wait_alu 0xfffe
	v_add_co_u32 v4, vcc_lo, v0, s94
	s_wait_alu 0xfffd
	v_add_co_ci_u32_e64 v5, null, s95, v1, vcc_lo
	flat_load_b64 v[4:5], v[4:5]
	s_wait_loadcnt_dscnt 0x0
	ds_store_b64 v100, v[4:5] offset:4224
	s_or_b32 exec_lo, exec_lo, s92
	s_and_saveexec_b32 s92, s16
	s_wait_alu 0xfffe
	s_xor_b32 s92, exec_lo, s92
	s_cbranch_execz .LBB187_45
.LBB187_99:                             ;   in Loop: Header=BB187_4 Depth=1
	v_mov_b32_e32 v32, v33
	ds_store_b64 v100, v[32:33] offset:6336
	s_wait_alu 0xfffe
	s_and_not1_saveexec_b32 s92, s92
	s_cbranch_execnz .LBB187_46
	s_branch .LBB187_47
.LBB187_100:                            ;   in Loop: Header=BB187_4 Depth=1
	flat_load_b64 v[2:3], v[0:1]
	s_wait_loadcnt_dscnt 0x0
	ds_store_b64 v100, v[2:3]
	s_or_b32 exec_lo, exec_lo, s92
	s_and_saveexec_b32 s92, s4
	s_wait_alu 0xfffe
	s_xor_b32 s92, exec_lo, s92
	s_cbranch_execz .LBB187_62
.LBB187_101:                            ;   in Loop: Header=BB187_4 Depth=1
	v_mov_b32_e32 v32, v33
	ds_store_b64 v100, v[32:33] offset:2112
	s_wait_alu 0xfffe
	s_and_not1_saveexec_b32 s92, s92
	s_cbranch_execz .LBB187_63
.LBB187_102:                            ;   in Loop: Header=BB187_4 Depth=1
	s_lshl_b64 s[94:95], s[38:39], 3
	s_wait_alu 0xfffe
	v_add_co_u32 v2, vcc_lo, v0, s94
	s_wait_alu 0xfffd
	v_add_co_ci_u32_e64 v3, null, s95, v1, vcc_lo
	flat_load_b64 v[2:3], v[2:3]
	s_wait_loadcnt_dscnt 0x0
	ds_store_b64 v100, v[2:3] offset:2112
	s_or_b32 exec_lo, exec_lo, s92
	s_and_saveexec_b32 s92, s5
	s_wait_alu 0xfffe
	s_xor_b32 s92, exec_lo, s92
	s_cbranch_execz .LBB187_64
.LBB187_103:                            ;   in Loop: Header=BB187_4 Depth=1
	v_mov_b32_e32 v32, v33
	ds_store_b64 v100, v[32:33] offset:4224
	s_wait_alu 0xfffe
	s_and_not1_saveexec_b32 s92, s92
	s_cbranch_execz .LBB187_65
.LBB187_104:                            ;   in Loop: Header=BB187_4 Depth=1
	s_lshl_b64 s[94:95], s[40:41], 3
	s_wait_alu 0xfffe
	v_add_co_u32 v2, vcc_lo, v0, s94
	s_wait_alu 0xfffd
	v_add_co_ci_u32_e64 v3, null, s95, v1, vcc_lo
	flat_load_b64 v[2:3], v[2:3]
	s_wait_loadcnt_dscnt 0x0
	ds_store_b64 v100, v[2:3] offset:4224
	s_or_b32 exec_lo, exec_lo, s92
	s_and_saveexec_b32 s92, s6
	s_wait_alu 0xfffe
	s_xor_b32 s92, exec_lo, s92
	s_cbranch_execz .LBB187_66
.LBB187_105:                            ;   in Loop: Header=BB187_4 Depth=1
	v_mov_b32_e32 v32, v33
	ds_store_b64 v100, v[32:33] offset:6336
	s_wait_alu 0xfffe
	s_and_not1_saveexec_b32 s92, s92
	s_cbranch_execnz .LBB187_67
	s_branch .LBB187_68
.LBB187_106:
	s_nop 0
	s_sendmsg sendmsg(MSG_DEALLOC_VGPRS)
	s_endpgm
	.section	.rodata,"a",@progbits
	.p2align	6, 0x0
	.amdhsa_kernel _ZL26rocblas_hemvn_kernel_lowerILb0ELi64ELi4ELi33ELi32ELi16Ei19rocblas_complex_numIfEPKPKS1_PS1_EviT6_lT7_lT5_lS8_lS9_lS7_lT8_i
		.amdhsa_group_segment_fixed_size 9600
		.amdhsa_private_segment_fixed_size 0
		.amdhsa_kernarg_size 376
		.amdhsa_user_sgpr_count 2
		.amdhsa_user_sgpr_dispatch_ptr 0
		.amdhsa_user_sgpr_queue_ptr 0
		.amdhsa_user_sgpr_kernarg_segment_ptr 1
		.amdhsa_user_sgpr_dispatch_id 0
		.amdhsa_user_sgpr_private_segment_size 0
		.amdhsa_wavefront_size32 1
		.amdhsa_uses_dynamic_stack 0
		.amdhsa_enable_private_segment 0
		.amdhsa_system_sgpr_workgroup_id_x 1
		.amdhsa_system_sgpr_workgroup_id_y 0
		.amdhsa_system_sgpr_workgroup_id_z 1
		.amdhsa_system_sgpr_workgroup_info 0
		.amdhsa_system_vgpr_workitem_id 1
		.amdhsa_next_free_vgpr 140
		.amdhsa_next_free_sgpr 103
		.amdhsa_reserve_vcc 1
		.amdhsa_float_round_mode_32 0
		.amdhsa_float_round_mode_16_64 0
		.amdhsa_float_denorm_mode_32 3
		.amdhsa_float_denorm_mode_16_64 3
		.amdhsa_fp16_overflow 0
		.amdhsa_workgroup_processor_mode 1
		.amdhsa_memory_ordered 1
		.amdhsa_forward_progress 1
		.amdhsa_inst_pref_size 71
		.amdhsa_round_robin_scheduling 0
		.amdhsa_exception_fp_ieee_invalid_op 0
		.amdhsa_exception_fp_denorm_src 0
		.amdhsa_exception_fp_ieee_div_zero 0
		.amdhsa_exception_fp_ieee_overflow 0
		.amdhsa_exception_fp_ieee_underflow 0
		.amdhsa_exception_fp_ieee_inexact 0
		.amdhsa_exception_int_div_zero 0
	.end_amdhsa_kernel
	.section	.text._ZL26rocblas_hemvn_kernel_lowerILb0ELi64ELi4ELi33ELi32ELi16Ei19rocblas_complex_numIfEPKPKS1_PS1_EviT6_lT7_lT5_lS8_lS9_lS7_lT8_i,"axG",@progbits,_ZL26rocblas_hemvn_kernel_lowerILb0ELi64ELi4ELi33ELi32ELi16Ei19rocblas_complex_numIfEPKPKS1_PS1_EviT6_lT7_lT5_lS8_lS9_lS7_lT8_i,comdat
.Lfunc_end187:
	.size	_ZL26rocblas_hemvn_kernel_lowerILb0ELi64ELi4ELi33ELi32ELi16Ei19rocblas_complex_numIfEPKPKS1_PS1_EviT6_lT7_lT5_lS8_lS9_lS7_lT8_i, .Lfunc_end187-_ZL26rocblas_hemvn_kernel_lowerILb0ELi64ELi4ELi33ELi32ELi16Ei19rocblas_complex_numIfEPKPKS1_PS1_EviT6_lT7_lT5_lS8_lS9_lS7_lT8_i
                                        ; -- End function
	.set _ZL26rocblas_hemvn_kernel_lowerILb0ELi64ELi4ELi33ELi32ELi16Ei19rocblas_complex_numIfEPKPKS1_PS1_EviT6_lT7_lT5_lS8_lS9_lS7_lT8_i.num_vgpr, 140
	.set _ZL26rocblas_hemvn_kernel_lowerILb0ELi64ELi4ELi33ELi32ELi16Ei19rocblas_complex_numIfEPKPKS1_PS1_EviT6_lT7_lT5_lS8_lS9_lS7_lT8_i.num_agpr, 0
	.set _ZL26rocblas_hemvn_kernel_lowerILb0ELi64ELi4ELi33ELi32ELi16Ei19rocblas_complex_numIfEPKPKS1_PS1_EviT6_lT7_lT5_lS8_lS9_lS7_lT8_i.numbered_sgpr, 103
	.set _ZL26rocblas_hemvn_kernel_lowerILb0ELi64ELi4ELi33ELi32ELi16Ei19rocblas_complex_numIfEPKPKS1_PS1_EviT6_lT7_lT5_lS8_lS9_lS7_lT8_i.num_named_barrier, 0
	.set _ZL26rocblas_hemvn_kernel_lowerILb0ELi64ELi4ELi33ELi32ELi16Ei19rocblas_complex_numIfEPKPKS1_PS1_EviT6_lT7_lT5_lS8_lS9_lS7_lT8_i.private_seg_size, 0
	.set _ZL26rocblas_hemvn_kernel_lowerILb0ELi64ELi4ELi33ELi32ELi16Ei19rocblas_complex_numIfEPKPKS1_PS1_EviT6_lT7_lT5_lS8_lS9_lS7_lT8_i.uses_vcc, 1
	.set _ZL26rocblas_hemvn_kernel_lowerILb0ELi64ELi4ELi33ELi32ELi16Ei19rocblas_complex_numIfEPKPKS1_PS1_EviT6_lT7_lT5_lS8_lS9_lS7_lT8_i.uses_flat_scratch, 1
	.set _ZL26rocblas_hemvn_kernel_lowerILb0ELi64ELi4ELi33ELi32ELi16Ei19rocblas_complex_numIfEPKPKS1_PS1_EviT6_lT7_lT5_lS8_lS9_lS7_lT8_i.has_dyn_sized_stack, 0
	.set _ZL26rocblas_hemvn_kernel_lowerILb0ELi64ELi4ELi33ELi32ELi16Ei19rocblas_complex_numIfEPKPKS1_PS1_EviT6_lT7_lT5_lS8_lS9_lS7_lT8_i.has_recursion, 0
	.set _ZL26rocblas_hemvn_kernel_lowerILb0ELi64ELi4ELi33ELi32ELi16Ei19rocblas_complex_numIfEPKPKS1_PS1_EviT6_lT7_lT5_lS8_lS9_lS7_lT8_i.has_indirect_call, 0
	.section	.AMDGPU.csdata,"",@progbits
; Kernel info:
; codeLenInByte = 9088
; TotalNumSgprs: 105
; NumVgprs: 140
; ScratchSize: 0
; MemoryBound: 1
; FloatMode: 240
; IeeeMode: 1
; LDSByteSize: 9600 bytes/workgroup (compile time only)
; SGPRBlocks: 0
; VGPRBlocks: 17
; NumSGPRsForWavesPerEU: 105
; NumVGPRsForWavesPerEU: 140
; Occupancy: 10
; WaveLimiterHint : 1
; COMPUTE_PGM_RSRC2:SCRATCH_EN: 0
; COMPUTE_PGM_RSRC2:USER_SGPR: 2
; COMPUTE_PGM_RSRC2:TRAP_HANDLER: 0
; COMPUTE_PGM_RSRC2:TGID_X_EN: 1
; COMPUTE_PGM_RSRC2:TGID_Y_EN: 0
; COMPUTE_PGM_RSRC2:TGID_Z_EN: 1
; COMPUTE_PGM_RSRC2:TIDIG_COMP_CNT: 1
	.section	.text._ZL26rocblas_hemvn_kernel_upperILb0ELi64ELi4ELi33ELi32ELi16ElPK19rocblas_complex_numIdEPKS3_PS1_EviT6_lT7_lT5_lS8_lS9_lS7_lT8_i,"axG",@progbits,_ZL26rocblas_hemvn_kernel_upperILb0ELi64ELi4ELi33ELi32ELi16ElPK19rocblas_complex_numIdEPKS3_PS1_EviT6_lT7_lT5_lS8_lS9_lS7_lT8_i,comdat
	.globl	_ZL26rocblas_hemvn_kernel_upperILb0ELi64ELi4ELi33ELi32ELi16ElPK19rocblas_complex_numIdEPKS3_PS1_EviT6_lT7_lT5_lS8_lS9_lS7_lT8_i ; -- Begin function _ZL26rocblas_hemvn_kernel_upperILb0ELi64ELi4ELi33ELi32ELi16ElPK19rocblas_complex_numIdEPKS3_PS1_EviT6_lT7_lT5_lS8_lS9_lS7_lT8_i
	.p2align	8
	.type	_ZL26rocblas_hemvn_kernel_upperILb0ELi64ELi4ELi33ELi32ELi16ElPK19rocblas_complex_numIdEPKS3_PS1_EviT6_lT7_lT5_lS8_lS9_lS7_lT8_i,@function
_ZL26rocblas_hemvn_kernel_upperILb0ELi64ELi4ELi33ELi32ELi16ElPK19rocblas_complex_numIdEPKS3_PS1_EviT6_lT7_lT5_lS8_lS9_lS7_lT8_i: ; @_ZL26rocblas_hemvn_kernel_upperILb0ELi64ELi4ELi33ELi32ELi16ElPK19rocblas_complex_numIdEPKS3_PS1_EviT6_lT7_lT5_lS8_lS9_lS7_lT8_i
; %bb.0:
	s_clause 0x1
	s_load_b64 s[2:3], s[0:1], 0x84
	s_load_b32 s19, s[0:1], 0x70
	s_lshr_b32 s34, ttmp7, 16
	s_wait_kmcnt 0x0
	s_lshr_b32 s4, s2, 16
	s_and_b32 s2, s2, 0xffff
	s_and_b32 s3, s3, 0xffff
	s_mul_i32 s2, s4, s2
	s_delay_alu instid0(SALU_CYCLE_1) | instskip(NEXT) | instid1(SALU_CYCLE_1)
	s_mul_i32 s2, s2, s3
	s_cmp_lg_u32 s2, 0x100
	s_cselect_b32 s2, -1, 0
	s_cmp_ge_u32 s34, s19
	s_cselect_b32 s3, -1, 0
	s_delay_alu instid0(SALU_CYCLE_1) | instskip(NEXT) | instid1(SALU_CYCLE_1)
	s_or_b32 s2, s2, s3
	s_and_b32 vcc_lo, exec_lo, s2
	s_cbranch_vccnz .LBB188_156
; %bb.1:
	s_clause 0x1
	s_load_b32 s2, s[0:1], 0x0
	s_load_b128 s[36:39], s[0:1], 0x58
	s_add_nc_u64 s[6:7], s[0:1], 0x78
	v_bfe_u32 v14, v0, 10, 10
	s_clause 0x1
	s_load_b256 s[20:27], s[0:1], 0x8
	s_load_b64 s[40:41], s[0:1], 0x48
	s_load_b32 s42, s[6:7], 0x0
	s_clause 0x2
	s_load_b64 s[62:63], s[0:1], 0x28
	s_load_b128 s[28:31], s[0:1], 0x38
	s_load_b64 s[6:7], s[0:1], 0x68
	v_and_b32_e32 v181, 0x3ff, v0
	v_lshlrev_b32_e32 v19, 6, v14
	s_lshl_b32 s60, ttmp9, 6
	v_dual_mov_b32 v1, 0 :: v_dual_and_b32 v4, 31, v0
	s_delay_alu instid0(VALU_DEP_3) | instskip(NEXT) | instid1(VALU_DEP_3)
	v_add_nc_u32_e32 v2, s60, v181
	v_add_nc_u32_e32 v15, v19, v181
	s_mov_b32 s4, ttmp9
	s_delay_alu instid0(VALU_DEP_3)
	v_mov_b32_e32 v5, v1
	s_mov_b32 s35, 0
	v_ashrrev_i32_e32 v3, 31, v2
	v_lshrrev_b32_e32 v12, 5, v15
	s_mov_b32 s43, s35
	s_wait_kmcnt 0x0
	s_ashr_i32 s3, s2, 31
	v_cmp_gt_u32_e64 s10, 32, v15
	s_lshr_b32 s0, s3, 26
	v_lshlrev_b32_e32 v18, 2, v12
	v_mad_co_u64_u32 v[8:9], null, s62, v12, v[4:5]
	s_add_co_i32 s0, s2, s0
	v_mul_lo_u32 v10, s40, v3
	v_mul_lo_u32 v11, s41, v2
	v_mad_co_u64_u32 v[6:7], null, s40, v2, 0
	s_and_not1_b32 s0, s0, 63
	s_add_co_i32 s1, s42, -1
	s_sub_co_i32 s33, s2, s0
	v_dual_mov_b32 v5, v9 :: v_dual_lshlrev_b32 v182, 4, v181
	s_cmp_eq_u32 ttmp9, s1
	v_add3_u32 v7, v7, v10, v11
	s_cselect_b32 s44, s33, 0
	s_delay_alu instid0(VALU_DEP_2)
	v_mad_co_u64_u32 v[9:10], null, s63, v12, v[5:6]
	s_cmp_lg_u32 s44, 0
	v_lshlrev_b32_e32 v5, 4, v4
	s_cselect_b32 s72, -1, 0
	s_cmp_eq_u32 s44, 0
	v_or_b32_e32 v22, 1, v18
	s_cselect_b32 s1, -1, 0
	s_ashr_i32 s5, ttmp9, 31
	v_lshl_or_b32 v20, v4, 9, v5
	v_lshlrev_b32_e32 v21, 6, v12
	s_mul_u64 s[4:5], s[2:3], s[4:5]
	v_mad_u32_u24 v184, 0x210, v12, v5
	s_lshl_b64 s[4:5], s[4:5], 4
	v_mad_u32_u24 v189, 0x840, v12, v5
	v_mad_u32_u24 v190, 0x210, v22, v5
	v_mul_u32_u24_e32 v5, 33, v4
	s_add_nc_u64 s[48:49], s[6:7], s[4:5]
	v_cmp_gt_u32_e64 s6, v18, v4
	v_add_nc_u32_e32 v237, v20, v21
	v_or_b32_e32 v20, 2, v18
	v_cmp_ge_u32_e64 s7, v18, v4
	v_or_b32_e32 v18, 3, v18
	v_lshlrev_b32_e32 v192, 4, v5
	v_or_b32_e32 v5, 32, v4
	v_add_nc_u32_e32 v13, 8, v12
	s_mul_u64 s[46:47], s[42:43], s[2:3]
	v_cmp_gt_u32_e64 s9, v18, v4
	v_add_nc_u32_e32 v18, 0x220, v19
	v_sub_co_u32 v10, s2, 0, v4
	v_add_nc_u32_e32 v16, 16, v12
	v_cmp_gt_u32_e64 s8, v20, v4
	v_lshlrev_b32_e32 v20, 4, v12
	v_cmp_gt_i32_e64 s11, s44, v5
	s_sub_co_i32 s15, s44, 32
	v_lshrrev_b32_e32 v5, 4, v15
	v_cmp_gt_i32_e32 vcc_lo, s44, v181
	v_sub_co_ci_u32_e64 v11, null, 0, 0, s2
	v_cmp_le_i32_e64 s2, s44, v12
	v_cmp_le_i32_e64 s3, s44, v13
	v_add_nc_u32_e32 v17, 24, v12
	v_add_nc_u32_e32 v194, 0x4700, v21
	;; [unrolled: 1-line block ×3, first 2 shown]
	v_cmp_le_i32_e64 s12, s15, v12
	v_cmp_le_i32_e64 s13, s15, v13
	v_cmp_eq_u32_e64 s16, 1, v12
	v_mul_i32_i24_e32 v21, 0xffffffd0, v12
	v_mad_co_u64_u32 v[12:13], null, s62, v18, 0
	v_cmp_le_i32_e64 s4, s44, v16
	v_add_nc_u32_e32 v195, v192, v20
	v_cmp_le_i32_e64 s14, s15, v16
	v_add_nc_u32_e32 v197, 0x4700, v20
	v_and_b32_e32 v16, 15, v0
	v_lshlrev_b32_e32 v20, 6, v5
	s_or_b32 s18, s1, vcc_lo
	s_add_co_i32 s17, ttmp9, 1
	s_xor_b32 s73, s18, -1
	s_ashr_i32 s61, s60, 31
	s_ashr_i32 s45, s44, 31
	s_lshl_b64 s[50:51], s[62:63], 7
	s_lshl_b64 s[52:53], s[62:63], 8
	;; [unrolled: 1-line block ×3, first 2 shown]
	s_cmp_lt_u32 s17, s42
	v_mad_u32_u24 v201, 0x430, v16, v20
	v_mul_i32_i24_e32 v20, 0xffffffd0, v5
	v_cmp_gt_u32_e64 s17, 64, v15
	v_mov_b32_e32 v5, v13
	v_mad_u32_u24 v13, 0x430, v14, v182
	v_add_nc_u32_e32 v15, 0x530, v19
	v_cmp_eq_u32_e64 s0, 0, v14
	v_lshlrev_b32_e32 v198, 2, v14
	v_mad_u32_u24 v200, 0x10c0, v14, v182
	v_lshlrev_b64_e32 v[173:174], 4, v[8:9]
	v_mad_co_u64_u32 v[8:9], null, s62, v15, 0
	v_lshlrev_b64_e32 v[2:3], 4, v[2:3]
	scratch_store_b32 off, v13, off         ; 4-byte Folded Spill
	v_mad_co_u64_u32 v[13:14], null, s63, v18, v[5:6]
	v_sub_co_u32 v12, vcc_lo, v12, v173
	v_cmp_le_i32_e64 s5, s44, v17
	v_cmp_le_i32_e64 s15, s15, v17
	v_and_b32_e32 v17, 48, v0
	v_or_b32_e32 v22, 0xf0, v182
	v_sub_co_ci_u32_e64 v5, null, v13, v174, vcc_lo
	v_sub_co_u32 v8, vcc_lo, v8, v173
	s_delay_alu instid0(VALU_DEP_4) | instskip(NEXT) | instid1(VALU_DEP_4)
	v_lshlrev_b32_e32 v17, 4, v17
	v_mad_u32_u24 v203, 0x430, v16, v22
	v_add_nc_u32_e32 v22, 0x500, v19
	s_delay_alu instid0(VALU_DEP_4)
	v_or_b32_e32 v8, 8, v8
	scratch_store_b32 off, v5, off offset:8 ; 4-byte Folded Spill
	v_mov_b32_e32 v5, v9
	v_or_b32_e32 v9, 8, v12
	v_mad_u32_u24 v202, 0x430, v16, v17
	scratch_store_b32 off, v8, off offset:20 ; 4-byte Folded Spill
	s_cselect_b32 s43, -1, 0
	v_mad_co_u64_u32 v[12:13], null, s63, v15, v[5:6]
	v_mad_co_u64_u32 v[15:16], null, s62, v22, 0
	s_and_b32 s75, s0, s18
	s_wait_alu 0xfffe
	s_mul_u64 s[56:57], s[40:41], s[60:61]
	v_lshlrev_b64_e32 v[235:236], 4, v[6:7]
	v_lshlrev_b64_e32 v[179:180], 4, v[10:11]
	s_wait_alu 0xfffd
	v_sub_co_ci_u32_e64 v5, null, v12, v174, vcc_lo
	scratch_store_b32 off, v9, off offset:12 ; 4-byte Folded Spill
	v_dual_mov_b32 v8, v16 :: v_dual_add_nc_u32 v9, 0x210, v19
	scratch_store_b32 off, v5, off offset:16 ; 4-byte Folded Spill
	v_cmp_gt_i32_e64 s1, s44, v4
	v_add_nc_u32_e32 v191, 0x210, v190
	v_mad_co_u64_u32 v[13:14], null, s62, v9, 0
	v_add_nc_u32_e32 v204, 0x3180, v184
	v_add_nc_u32_e32 v193, 0x420, v190
	;; [unrolled: 1-line block ×3, first 2 shown]
	v_lshlrev_b32_e32 v239, 4, v4
	s_mul_u64 s[64:65], s[62:63], s[60:61]
	s_sub_nc_u64 s[68:69], 0, s[56:57]
	v_dual_mov_b32 v5, v14 :: v_dual_add_nc_u32 v14, 0x200, v19
	s_mul_u64 s[54:55], s[62:63], 0x180
	s_add_co_i32 s74, s42, -2
	s_sub_nc_u64 s[56:57], 0, s[44:45]
	s_delay_alu instid0(VALU_DEP_1)
	v_mad_co_u64_u32 v[16:17], null, s63, v9, v[5:6]
	v_sub_co_u32 v5, vcc_lo, v13, v173
	v_mad_co_u64_u32 v[17:18], null, s62, v14, 0
	v_mad_co_u64_u32 v[8:9], null, s63, v22, v[8:9]
	scratch_store_b32 off, v5, off offset:24 ; 4-byte Folded Spill
	s_wait_alu 0xfffd
	v_sub_co_ci_u32_e64 v5, null, v16, v174, vcc_lo
	v_sub_co_u32 v15, vcc_lo, v15, v173
	v_add_nc_u32_e32 v22, 0x510, v19
	s_wait_alu 0xfffd
	v_sub_co_ci_u32_e64 v8, null, v8, v174, vcc_lo
	scratch_store_b32 off, v5, off offset:28 ; 4-byte Folded Spill
	v_mov_b32_e32 v5, v18
	v_mad_co_u64_u32 v[12:13], null, s62, v22, 0
	scratch_store_b32 off, v8, off offset:32 ; 4-byte Folded Spill
	v_add_nc_u32_e32 v16, 0x230, v19
	v_mad_co_u64_u32 v[8:9], null, s63, v14, v[5:6]
	v_or_b32_e32 v5, 8, v15
	v_sub_co_u32 v9, vcc_lo, v17, v173
	s_add_co_i32 s76, s60, 64
	s_lshl_b64 s[58:59], s[62:63], 10
	scratch_store_b32 off, v5, off offset:36 ; 4-byte Folded Spill
	v_mov_b32_e32 v5, v13
	v_mad_co_u64_u32 v[13:14], null, s62, v16, 0
	s_wait_alu 0xfffd
	v_sub_co_ci_u32_e64 v8, null, v8, v174, vcc_lo
	scratch_store_b32 off, v9, off offset:40 ; 4-byte Folded Spill
	v_sub_co_u32 v12, vcc_lo, v12, v173
	scratch_store_b32 off, v8, off offset:44 ; 4-byte Folded Spill
	v_mad_co_u64_u32 v[8:9], null, s63, v22, v[5:6]
	v_mov_b32_e32 v5, v14
	v_add_nc_u32_e32 v9, 0x520, v19
	v_add_nc_u32_e32 v22, 0x320, v19
	s_lshl_b64 s[30:31], s[30:31], 4
	s_lshl_b64 s[26:27], s[26:27], 4
	v_mad_co_u64_u32 v[16:17], null, s63, v16, v[5:6]
	s_wait_alu 0xfffd
	v_sub_co_ci_u32_e64 v5, null, v8, v174, vcc_lo
	v_mad_co_u64_u32 v[14:15], null, s62, v9, 0
	v_sub_co_u32 v8, vcc_lo, v13, v173
	scratch_store_b32 off, v5, off offset:48 ; 4-byte Folded Spill
	v_or_b32_e32 v5, 8, v12
	v_mad_co_u64_u32 v[17:18], null, s62, v22, 0
	scratch_store_b32 off, v8, off offset:56 ; 4-byte Folded Spill
	s_wait_alu 0xfffd
	v_sub_co_ci_u32_e64 v8, null, v16, v174, vcc_lo
	scratch_store_b32 off, v5, off offset:52 ; 4-byte Folded Spill
	v_mov_b32_e32 v5, v15
	s_lshl_b64 s[60:61], s[60:61], 4
	scratch_store_b64 off, v[2:3], off offset:136 ; 8-byte Folded Spill
	v_mad_co_u64_u32 v[12:13], null, s63, v9, v[5:6]
	v_sub_co_u32 v5, vcc_lo, v14, v173
	scratch_store_b32 off, v8, off offset:60 ; 4-byte Folded Spill
	v_mov_b32_e32 v8, v18
	v_add_nc_u32_e32 v18, 0x430, v19
	scratch_store_b32 off, v5, off offset:64 ; 4-byte Folded Spill
	s_wait_alu 0xfffd
	v_sub_co_ci_u32_e64 v5, null, v12, v174, vcc_lo
	v_mad_co_u64_u32 v[8:9], null, s63, v22, v[8:9]
	v_mad_co_u64_u32 v[15:16], null, s62, v18, 0
	v_sub_co_u32 v17, vcc_lo, v17, v173
	scratch_store_b32 off, v5, off offset:68 ; 4-byte Folded Spill
	v_add_nc_u32_e32 v22, 0x310, v19
	s_wait_alu 0xfffd
	v_sub_co_ci_u32_e64 v5, null, v8, v174, vcc_lo
	v_sub_co_u32 v15, vcc_lo, v15, v173
	s_delay_alu instid0(VALU_DEP_3) | instskip(SKIP_3) | instid1(VALU_DEP_2)
	v_mad_co_u64_u32 v[8:9], null, s62, v22, 0
	scratch_store_b32 off, v5, off offset:72 ; 4-byte Folded Spill
	v_dual_mov_b32 v5, v16 :: v_dual_add_nc_u32 v16, 0x400, v19
	v_add_nc_u32_e32 v199, 0x4300, v19
	v_mad_co_u64_u32 v[12:13], null, s63, v18, v[5:6]
	v_or_b32_e32 v5, 8, v17
	s_delay_alu instid0(VALU_DEP_4)
	v_mad_co_u64_u32 v[13:14], null, s62, v16, 0
	v_add_nc_u32_e32 v18, 0x300, v19
	scratch_store_b32 off, v5, off offset:76 ; 4-byte Folded Spill
	v_mov_b32_e32 v5, v9
	s_wait_alu 0xfffd
	v_sub_co_ci_u32_e64 v9, null, v12, v174, vcc_lo
	scratch_store_b32 off, v9, off offset:80 ; 4-byte Folded Spill
	v_or_b32_e32 v9, 8, v15
	scratch_store_b32 off, v9, off offset:84 ; 4-byte Folded Spill
	v_mov_b32_e32 v9, v14
	v_mad_co_u64_u32 v[14:15], null, s63, v22, v[5:6]
	v_sub_co_u32 v5, s18, v8, v173
	s_delay_alu instid0(VALU_DEP_3) | instskip(SKIP_3) | instid1(VALU_DEP_3)
	v_mad_co_u64_u32 v[15:16], null, s63, v16, v[9:10]
	v_add_nc_u32_e32 v9, 0x410, v19
	v_mad_co_u64_u32 v[16:17], null, s62, v18, 0
	v_sub_co_u32 v22, vcc_lo, v13, v173
	v_mad_co_u64_u32 v[12:13], null, s62, v9, 0
	s_wait_alu 0xfffd
	v_sub_co_ci_u32_e64 v8, null, v15, v174, vcc_lo
	scratch_store_b32 off, v5, off offset:88 ; 4-byte Folded Spill
	v_sub_co_ci_u32_e64 v5, null, v14, v174, s18
	v_add_nc_u32_e32 v0, 0x4300, v182
	scratch_store_b32 off, v8, off offset:96 ; 4-byte Folded Spill
	v_or_b32_e32 v8, 8, v22
	scratch_store_b32 off, v5, off offset:92 ; 4-byte Folded Spill
	v_dual_mov_b32 v5, v17 :: v_dual_add_nc_u32 v22, 0x330, v19
	v_add_nc_u32_e32 v19, 0x420, v19
	scratch_store_b32 off, v8, off offset:100 ; 4-byte Folded Spill
	v_mov_b32_e32 v8, v13
	v_mad_co_u64_u32 v[13:14], null, s63, v18, v[5:6]
	v_sub_co_u32 v5, vcc_lo, v16, v173
	v_mad_co_u64_u32 v[14:15], null, s62, v22, 0
	s_delay_alu instid0(VALU_DEP_4)
	v_mad_co_u64_u32 v[8:9], null, s63, v9, v[8:9]
	scratch_store_b32 off, v5, off offset:104 ; 4-byte Folded Spill
	s_wait_alu 0xfffd
	v_sub_co_ci_u32_e64 v5, null, v13, v174, vcc_lo
	v_sub_co_u32 v9, vcc_lo, v12, v173
	v_mad_co_u64_u32 v[17:18], null, s62, v19, 0
	s_wait_alu 0xfffd
	v_sub_co_ci_u32_e64 v8, null, v8, v174, vcc_lo
	s_delay_alu instid0(VALU_DEP_3) | instskip(SKIP_3) | instid1(VALU_DEP_2)
	v_or_b32_e32 v9, 8, v9
	scratch_store_b32 off, v5, off offset:108 ; 4-byte Folded Spill
	v_mov_b32_e32 v5, v15
	v_add_nc_u32_e32 v183, 0x4700, v182
	v_mad_co_u64_u32 v[12:13], null, s63, v22, v[5:6]
	v_sub_co_u32 v5, vcc_lo, v17, v173
	s_delay_alu instid0(VALU_DEP_1)
	v_or_b32_e32 v5, 8, v5
	s_clause 0x1
	scratch_store_b32 off, v9, off offset:116
	scratch_store_b32 off, v5, off offset:132
	v_add_nc_u32_e32 v5, v196, v21
	scratch_store_b32 off, v8, off offset:112 ; 4-byte Folded Spill
	v_mov_b32_e32 v8, v18
	scratch_store_b32 off, v5, off offset:4 ; 4-byte Folded Spill
	v_mad_co_u64_u32 v[8:9], null, s63, v19, v[8:9]
	v_sub_co_u32 v9, s18, v14, v173
	s_lshl_b64 s[62:63], s[64:65], 4
	s_lshl_b64 s[64:65], s[66:67], 4
	;; [unrolled: 1-line block ×3, first 2 shown]
	s_wait_alu 0xfffd
	v_sub_co_ci_u32_e64 v8, null, v8, v174, vcc_lo
	scratch_store_b32 off, v9, off offset:120 ; 4-byte Folded Spill
	s_wait_alu 0xf1ff
	v_sub_co_ci_u32_e64 v9, null, v12, v174, s18
	s_clause 0x1
	scratch_store_b32 off, v8, off offset:128
	scratch_store_b32 off, v9, off offset:124
	s_branch .LBB188_4
.LBB188_2:                              ;   in Loop: Header=BB188_4 Depth=1
	s_wait_alu 0xfffe
	s_or_b32 exec_lo, exec_lo, s18
.LBB188_3:                              ;   in Loop: Header=BB188_4 Depth=1
	s_add_co_i32 s34, s34, 0x10000
	s_delay_alu instid0(SALU_CYCLE_1)
	s_cmp_lt_u32 s34, s19
	s_cbranch_scc0 .LBB188_156
.LBB188_4:                              ; =>This Loop Header: Depth=1
                                        ;     Child Loop BB188_78 Depth 2
	s_mul_u64 s[68:69], s[22:23], s[34:35]
	s_wait_alu 0xfffe
	s_lshl_b64 s[68:69], s[68:69], 4
	s_wait_alu 0xfffe
	s_add_nc_u64 s[68:69], s[20:21], s[68:69]
	global_load_b128 v[2:5], v1, s[68:69]
	s_wait_loadcnt 0x0
	v_cmp_neq_f64_e32 vcc_lo, 0, v[2:3]
	v_cmp_neq_f64_e64 s18, 0, v[4:5]
	s_or_b32 s18, vcc_lo, s18
	s_wait_alu 0xfffe
	s_and_b32 vcc_lo, exec_lo, s18
	s_mov_b32 s18, -1
	s_wait_alu 0xfffe
	s_cbranch_vccz .LBB188_6
; %bb.5:                                ;   in Loop: Header=BB188_4 Depth=1
	s_and_not1_b32 vcc_lo, exec_lo, s18
	s_wait_alu 0xfffe
	s_cbranch_vccnz .LBB188_3
	s_branch .LBB188_7
.LBB188_6:                              ;   in Loop: Header=BB188_4 Depth=1
	s_mul_u64 s[68:69], s[38:39], s[34:35]
	s_wait_alu 0xfffe
	s_lshl_b64 s[68:69], s[68:69], 4
	s_wait_alu 0xfffe
	s_add_nc_u64 s[68:69], s[36:37], s[68:69]
	global_load_b128 v[2:5], v1, s[68:69]
	s_wait_loadcnt 0x0
	v_cmp_eq_f64_e32 vcc_lo, 1.0, v[2:3]
	v_cmp_eq_f64_e64 s18, 0, v[4:5]
	s_and_b32 s18, vcc_lo, s18
	s_wait_alu 0xfffe
	s_and_not1_b32 vcc_lo, exec_lo, s18
	s_cbranch_execnz .LBB188_3
.LBB188_7:                              ;   in Loop: Header=BB188_4 Depth=1
	s_lshl_b64 s[68:69], s[34:35], 3
	s_wait_alu 0xfffe
	s_add_nc_u64 s[70:71], s[28:29], s[68:69]
	s_add_nc_u64 s[68:69], s[24:25], s[68:69]
	s_clause 0x1
	global_load_b64 v[2:3], v1, s[70:71]
	global_load_b64 v[5:6], v1, s[68:69]
	s_wait_loadcnt 0x1
	v_add_co_u32 v2, vcc_lo, v2, s30
	s_wait_alu 0xfffd
	v_add_co_ci_u32_e64 v3, null, s31, v3, vcc_lo
	s_delay_alu instid0(VALU_DEP_2) | instskip(SKIP_1) | instid1(VALU_DEP_2)
	v_add_co_u32 v41, vcc_lo, v2, v235
	s_wait_alu 0xfffd
	v_add_co_ci_u32_e64 v42, null, v3, v236, vcc_lo
	s_and_saveexec_b32 s18, s0
	s_cbranch_execz .LBB188_12
; %bb.8:                                ;   in Loop: Header=BB188_4 Depth=1
	s_and_saveexec_b32 s68, s73
	s_wait_alu 0xfffe
	s_xor_b32 s68, exec_lo, s68
; %bb.9:                                ;   in Loop: Header=BB188_4 Depth=1
	v_dual_mov_b32 v2, v1 :: v_dual_mov_b32 v3, v1
	v_mov_b32_e32 v4, v1
	ds_store_b128 v183, v[1:4]
; %bb.10:                               ;   in Loop: Header=BB188_4 Depth=1
	s_wait_alu 0xfffe
	s_and_not1_saveexec_b32 s68, s68
	s_cbranch_execz .LBB188_12
; %bb.11:                               ;   in Loop: Header=BB188_4 Depth=1
	flat_load_b128 v[7:10], v[41:42]
	s_wait_loadcnt_dscnt 0x0
	ds_store_2addr_b64 v183, v[7:8], v[9:10] offset1:1
.LBB188_12:                             ;   in Loop: Header=BB188_4 Depth=1
	s_wait_alu 0xfffe
	s_or_b32 exec_lo, exec_lo, s18
	s_wait_loadcnt 0x0
	v_add_co_u32 v2, vcc_lo, v5, s26
	s_wait_alu 0xfffd
	v_add_co_ci_u32_e64 v3, null, s27, v6, vcc_lo
	s_mov_b32 s18, -1
	v_add_co_u32 v2, vcc_lo, v2, s60
	s_wait_alu 0xfffd
	v_add_co_ci_u32_e64 v3, null, s61, v3, vcc_lo
	s_delay_alu instid0(VALU_DEP_2) | instskip(SKIP_1) | instid1(VALU_DEP_2)
	v_add_co_u32 v2, vcc_lo, v2, v173
	s_wait_alu 0xfffd
	v_add_co_ci_u32_e64 v3, null, v3, v174, vcc_lo
	s_delay_alu instid0(VALU_DEP_2) | instskip(SKIP_1) | instid1(VALU_DEP_2)
	v_add_co_u32 v5, vcc_lo, v2, s62
	s_wait_alu 0xfffd
	v_add_co_ci_u32_e64 v6, null, s63, v3, vcc_lo
	s_and_b32 vcc_lo, exec_lo, s72
                                        ; implicit-def: $vgpr2_vgpr3
	s_wait_alu 0xfffe
	s_cbranch_vccz .LBB188_24
; %bb.13:                               ;   in Loop: Header=BB188_4 Depth=1
	s_and_saveexec_b32 s18, s2
	s_wait_alu 0xfffe
	s_xor_b32 s18, exec_lo, s18
; %bb.14:                               ;   in Loop: Header=BB188_4 Depth=1
	v_dual_mov_b32 v2, v1 :: v_dual_mov_b32 v3, v1
	v_mov_b32_e32 v4, v1
	ds_store_b128 v184, v[1:4]
; %bb.15:                               ;   in Loop: Header=BB188_4 Depth=1
	s_wait_alu 0xfffe
	s_or_saveexec_b32 s18, s18
	v_add_co_u32 v2, vcc_lo, v5, v179
	s_wait_alu 0xfffd
	v_add_co_ci_u32_e64 v3, null, v6, v180, vcc_lo
	s_lshl_b64 s[68:69], s[44:45], 4
	s_wait_alu 0xfffe
	v_add_co_u32 v2, vcc_lo, v2, s68
	s_wait_alu 0xfffd
	v_add_co_ci_u32_e64 v3, null, s69, v3, vcc_lo
	s_delay_alu instid0(VALU_DEP_2) | instskip(SKIP_1) | instid1(VALU_DEP_2)
	v_add_co_u32 v2, vcc_lo, v2, -16
	s_wait_alu 0xfffd
	v_add_co_ci_u32_e64 v3, null, -1, v3, vcc_lo
	s_delay_alu instid0(VALU_DEP_2) | instskip(NEXT) | instid1(VALU_DEP_2)
	v_cndmask_b32_e64 v7, v2, v5, s1
	v_cndmask_b32_e64 v8, v3, v6, s1
	s_xor_b32 exec_lo, exec_lo, s18
	s_cbranch_execnz .LBB188_138
; %bb.16:                               ;   in Loop: Header=BB188_4 Depth=1
	s_or_b32 exec_lo, exec_lo, s18
	s_and_saveexec_b32 s18, s3
	s_wait_alu 0xfffe
	s_xor_b32 s18, exec_lo, s18
	s_cbranch_execnz .LBB188_139
.LBB188_17:                             ;   in Loop: Header=BB188_4 Depth=1
	s_wait_alu 0xfffe
	s_and_not1_saveexec_b32 s18, s18
	s_cbranch_execnz .LBB188_140
.LBB188_18:                             ;   in Loop: Header=BB188_4 Depth=1
	s_wait_alu 0xfffe
	s_or_b32 exec_lo, exec_lo, s18
	s_and_saveexec_b32 s18, s4
	s_wait_alu 0xfffe
	s_xor_b32 s18, exec_lo, s18
	s_cbranch_execnz .LBB188_141
.LBB188_19:                             ;   in Loop: Header=BB188_4 Depth=1
	s_wait_alu 0xfffe
	s_and_not1_saveexec_b32 s18, s18
	s_cbranch_execnz .LBB188_142
.LBB188_20:                             ;   in Loop: Header=BB188_4 Depth=1
	s_wait_alu 0xfffe
	s_or_b32 exec_lo, exec_lo, s18
	s_and_saveexec_b32 s18, s5
	s_wait_alu 0xfffe
	s_xor_b32 s18, exec_lo, s18
	s_cbranch_execnz .LBB188_143
.LBB188_21:                             ;   in Loop: Header=BB188_4 Depth=1
	s_wait_alu 0xfffe
	s_and_not1_saveexec_b32 s18, s18
	s_cbranch_execz .LBB188_23
.LBB188_22:                             ;   in Loop: Header=BB188_4 Depth=1
	v_add_co_u32 v2, vcc_lo, v7, s54
	s_wait_alu 0xfffd
	v_add_co_ci_u32_e64 v3, null, s55, v8, vcc_lo
	flat_load_b128 v[9:12], v[2:3]
	s_wait_loadcnt_dscnt 0x0
	ds_store_2addr_b64 v204, v[9:10], v[11:12] offset1:1
.LBB188_23:                             ;   in Loop: Header=BB188_4 Depth=1
	s_wait_alu 0xfffe
	s_or_b32 exec_lo, exec_lo, s18
	v_add_co_u32 v2, vcc_lo, v7, v239
	s_wait_alu 0xfffd
	v_add_co_ci_u32_e64 v3, null, 0, v8, vcc_lo
	s_lshl_b64 s[68:69], s[56:57], 4
	s_mov_b32 s18, 0
	s_wait_alu 0xfffe
	v_add_co_u32 v2, vcc_lo, v2, s68
	s_wait_alu 0xfffd
	v_add_co_ci_u32_e64 v3, null, s69, v3, vcc_lo
	s_delay_alu instid0(VALU_DEP_2) | instskip(SKIP_1) | instid1(VALU_DEP_2)
	v_add_co_u32 v2, vcc_lo, v2, 16
	s_wait_alu 0xfffd
	v_add_co_ci_u32_e64 v3, null, 0, v3, vcc_lo
	s_delay_alu instid0(VALU_DEP_2) | instskip(NEXT) | instid1(VALU_DEP_2)
	v_cndmask_b32_e64 v2, v2, v5, s1
	v_cndmask_b32_e64 v3, v3, v6, s1
.LBB188_24:                             ;   in Loop: Header=BB188_4 Depth=1
	s_and_b32 vcc_lo, exec_lo, s18
	s_wait_alu 0xfffe
	s_cbranch_vccz .LBB188_26
; %bb.25:                               ;   in Loop: Header=BB188_4 Depth=1
	flat_load_b128 v[7:10], v[5:6]
	v_add_co_u32 v2, vcc_lo, v5, s50
	s_wait_alu 0xfffd
	v_add_co_ci_u32_e64 v3, null, s51, v6, vcc_lo
	v_add_nc_u32_e32 v4, 0x1080, v184
	s_wait_loadcnt_dscnt 0x0
	ds_store_2addr_b64 v184, v[7:8], v[9:10] offset1:1
	flat_load_b128 v[7:10], v[2:3]
	v_add_co_u32 v2, vcc_lo, v2, s50
	s_wait_alu 0xfffd
	v_add_co_ci_u32_e64 v3, null, s51, v3, vcc_lo
	s_wait_loadcnt_dscnt 0x0
	ds_store_2addr_b64 v4, v[7:8], v[9:10] offset1:1
	flat_load_b128 v[7:10], v[2:3]
	v_add_co_u32 v2, vcc_lo, v2, s50
	v_add_nc_u32_e32 v4, 0x2100, v184
	s_wait_alu 0xfffd
	v_add_co_ci_u32_e64 v3, null, s51, v3, vcc_lo
	s_wait_loadcnt_dscnt 0x0
	ds_store_2addr_b64 v4, v[7:8], v[9:10] offset1:1
	flat_load_b128 v[7:10], v[2:3]
	v_dual_mov_b32 v2, v5 :: v_dual_mov_b32 v3, v6
	s_wait_loadcnt_dscnt 0x0
	ds_store_2addr_b64 v204, v[7:8], v[9:10] offset1:1
.LBB188_26:                             ;   in Loop: Header=BB188_4 Depth=1
	s_wait_storecnt_dscnt 0x0
	s_barrier_signal -1
	s_barrier_wait -1
	global_inv scope:SCOPE_SE
	s_and_saveexec_b32 s18, s6
	s_cbranch_execnz .LBB188_132
; %bb.27:                               ;   in Loop: Header=BB188_4 Depth=1
	s_wait_alu 0xfffe
	s_or_b32 exec_lo, exec_lo, s18
	s_and_saveexec_b32 s18, s7
	s_cbranch_execnz .LBB188_133
.LBB188_28:                             ;   in Loop: Header=BB188_4 Depth=1
	s_wait_alu 0xfffe
	s_or_b32 exec_lo, exec_lo, s18
	s_and_saveexec_b32 s18, s8
	s_cbranch_execnz .LBB188_134
.LBB188_29:                             ;   in Loop: Header=BB188_4 Depth=1
	s_wait_alu 0xfffe
	s_or_b32 exec_lo, exec_lo, s18
	s_and_saveexec_b32 s18, s9
	s_cbranch_execz .LBB188_31
.LBB188_30:                             ;   in Loop: Header=BB188_4 Depth=1
	ds_load_b128 v[4:7], v193
	v_add_nc_u32_e32 v8, 48, v237
	s_wait_dscnt 0x0
	ds_store_b128 v8, v[4:7]
.LBB188_31:                             ;   in Loop: Header=BB188_4 Depth=1
	s_wait_alu 0xfffe
	s_or_b32 exec_lo, exec_lo, s18
	s_wait_loadcnt_dscnt 0x0
	s_barrier_signal -1
	s_barrier_wait -1
	global_inv scope:SCOPE_SE
	ds_load_b128 v[4:7], v189
	ds_load_b128 v[8:11], v194
	ds_load_b128 v[12:15], v194 offset:16
	ds_load_b128 v[16:19], v190
	s_wait_dscnt 0x2
	v_mul_f64_e32 v[20:21], v[10:11], v[6:7]
	v_mul_f64_e32 v[6:7], v[8:9], v[6:7]
	s_wait_dscnt 0x0
	v_mul_f64_e32 v[26:27], v[14:15], v[18:19]
	v_mul_f64_e32 v[28:29], v[12:13], v[18:19]
	s_delay_alu instid0(VALU_DEP_4) | instskip(NEXT) | instid1(VALU_DEP_4)
	v_fma_f64 v[30:31], v[8:9], v[4:5], -v[20:21]
	v_fma_f64 v[32:33], v[10:11], v[4:5], v[6:7]
	ds_load_b128 v[4:7], v191
	ds_load_b128 v[8:11], v194 offset:32
	ds_load_b128 v[18:21], v194 offset:48
	ds_load_b128 v[22:25], v193
	v_fma_f64 v[12:13], v[12:13], v[16:17], -v[26:27]
	v_fma_f64 v[14:15], v[14:15], v[16:17], v[28:29]
	s_wait_loadcnt_dscnt 0x0
	s_barrier_signal -1
	s_barrier_wait -1
	global_inv scope:SCOPE_SE
	v_mul_f64_e32 v[34:35], v[10:11], v[6:7]
	v_mul_f64_e32 v[6:7], v[8:9], v[6:7]
	;; [unrolled: 1-line block ×4, first 2 shown]
	v_add_f64_e32 v[16:17], 0, v[30:31]
	v_add_f64_e32 v[26:27], 0, v[32:33]
	v_fma_f64 v[8:9], v[8:9], v[4:5], -v[34:35]
	v_fma_f64 v[4:5], v[10:11], v[4:5], v[6:7]
	s_delay_alu instid0(VALU_DEP_4) | instskip(NEXT) | instid1(VALU_DEP_4)
	v_add_f64_e32 v[6:7], v[16:17], v[12:13]
	v_add_f64_e32 v[10:11], v[26:27], v[14:15]
	v_fma_f64 v[12:13], v[18:19], v[22:23], -v[28:29]
	v_fma_f64 v[14:15], v[20:21], v[22:23], v[24:25]
	s_delay_alu instid0(VALU_DEP_4) | instskip(NEXT) | instid1(VALU_DEP_4)
	v_add_f64_e32 v[6:7], v[6:7], v[8:9]
	v_add_f64_e32 v[4:5], v[10:11], v[4:5]
	s_delay_alu instid0(VALU_DEP_2) | instskip(NEXT) | instid1(VALU_DEP_2)
	v_add_f64_e32 v[9:10], v[6:7], v[12:13]
	v_add_f64_e32 v[11:12], v[4:5], v[14:15]
	v_mov_b32_e32 v5, 0
	v_dual_mov_b32 v6, 0 :: v_dual_mov_b32 v7, 0
	v_mov_b32_e32 v8, 0
	ds_store_b128 v195, v[9:12]
	s_wait_loadcnt_dscnt 0x0
	s_barrier_signal -1
	s_barrier_wait -1
	global_inv scope:SCOPE_SE
	s_and_saveexec_b32 s18, s10
	s_cbranch_execz .LBB188_33
; %bb.32:                               ;   in Loop: Header=BB188_4 Depth=1
	ds_load_b128 v[4:7], v192
	ds_load_b128 v[8:11], v192 offset:16
	s_wait_dscnt 0x0
	v_add_f64_e32 v[12:13], v[8:9], v[4:5]
	v_add_f64_e32 v[14:15], v[10:11], v[6:7]
	ds_load_b128 v[4:7], v192 offset:32
	ds_load_b128 v[8:11], v192 offset:48
	s_wait_dscnt 0x1
	v_add_f64_e32 v[4:5], v[12:13], v[4:5]
	v_add_f64_e32 v[6:7], v[14:15], v[6:7]
	s_wait_dscnt 0x0
	s_delay_alu instid0(VALU_DEP_2) | instskip(NEXT) | instid1(VALU_DEP_2)
	v_add_f64_e32 v[12:13], v[4:5], v[8:9]
	v_add_f64_e32 v[14:15], v[6:7], v[10:11]
	ds_load_b128 v[4:7], v192 offset:64
	ds_load_b128 v[8:11], v192 offset:80
	s_wait_dscnt 0x1
	v_add_f64_e32 v[4:5], v[12:13], v[4:5]
	v_add_f64_e32 v[6:7], v[14:15], v[6:7]
	s_wait_dscnt 0x0
	s_delay_alu instid0(VALU_DEP_2) | instskip(NEXT) | instid1(VALU_DEP_2)
	;; [unrolled: 9-line block ×3, first 2 shown]
	v_add_f64_e32 v[5:6], v[4:5], v[8:9]
	v_add_f64_e32 v[7:8], v[12:13], v[10:11]
.LBB188_33:                             ;   in Loop: Header=BB188_4 Depth=1
	s_wait_alu 0xfffe
	s_or_b32 exec_lo, exec_lo, s18
	v_add_co_u32 v13, vcc_lo, v2, s64
	s_wait_alu 0xfffd
	v_add_co_ci_u32_e64 v14, null, s65, v3, vcc_lo
	s_mov_b32 s18, -1
	v_add_co_u32 v11, vcc_lo, 0x200, v13
	s_wait_alu 0xfffd
	v_add_co_ci_u32_e64 v12, null, 0, v14, vcc_lo
	s_and_b32 vcc_lo, exec_lo, s72
	s_wait_loadcnt 0x0
	s_barrier_signal -1
	s_barrier_wait -1
	global_inv scope:SCOPE_SE
                                        ; implicit-def: $vgpr9_vgpr10
	s_wait_alu 0xfffe
	s_cbranch_vccz .LBB188_45
; %bb.34:                               ;   in Loop: Header=BB188_4 Depth=1
	s_and_saveexec_b32 s18, s12
	s_wait_alu 0xfffe
	s_xor_b32 s18, exec_lo, s18
; %bb.35:                               ;   in Loop: Header=BB188_4 Depth=1
	v_dual_mov_b32 v2, v1 :: v_dual_mov_b32 v3, v1
	v_mov_b32_e32 v4, v1
	ds_store_b128 v184, v[1:4]
; %bb.36:                               ;   in Loop: Header=BB188_4 Depth=1
	s_wait_alu 0xfffe
	s_or_saveexec_b32 s18, s18
	v_add_co_u32 v2, vcc_lo, v13, v179
	s_wait_alu 0xfffd
	v_add_co_ci_u32_e64 v3, null, v14, v180, vcc_lo
	s_lshl_b64 s[68:69], s[44:45], 4
	s_wait_alu 0xfffe
	v_add_co_u32 v2, vcc_lo, v2, s68
	s_wait_alu 0xfffd
	v_add_co_ci_u32_e64 v3, null, s69, v3, vcc_lo
	s_delay_alu instid0(VALU_DEP_2) | instskip(SKIP_1) | instid1(VALU_DEP_2)
	v_add_co_u32 v2, vcc_lo, v2, -16
	s_wait_alu 0xfffd
	v_add_co_ci_u32_e64 v3, null, -1, v3, vcc_lo
	s_delay_alu instid0(VALU_DEP_2) | instskip(NEXT) | instid1(VALU_DEP_2)
	v_cndmask_b32_e64 v9, v2, v11, s11
	v_cndmask_b32_e64 v10, v3, v12, s11
	s_xor_b32 exec_lo, exec_lo, s18
	s_cbranch_execnz .LBB188_144
; %bb.37:                               ;   in Loop: Header=BB188_4 Depth=1
	s_or_b32 exec_lo, exec_lo, s18
	s_and_saveexec_b32 s18, s13
	s_wait_alu 0xfffe
	s_xor_b32 s18, exec_lo, s18
	s_cbranch_execnz .LBB188_145
.LBB188_38:                             ;   in Loop: Header=BB188_4 Depth=1
	s_wait_alu 0xfffe
	s_and_not1_saveexec_b32 s18, s18
	s_cbranch_execnz .LBB188_146
.LBB188_39:                             ;   in Loop: Header=BB188_4 Depth=1
	s_wait_alu 0xfffe
	s_or_b32 exec_lo, exec_lo, s18
	s_and_saveexec_b32 s18, s14
	s_wait_alu 0xfffe
	s_xor_b32 s18, exec_lo, s18
	s_cbranch_execnz .LBB188_147
.LBB188_40:                             ;   in Loop: Header=BB188_4 Depth=1
	s_wait_alu 0xfffe
	s_and_not1_saveexec_b32 s18, s18
	s_cbranch_execnz .LBB188_148
.LBB188_41:                             ;   in Loop: Header=BB188_4 Depth=1
	s_wait_alu 0xfffe
	s_or_b32 exec_lo, exec_lo, s18
	s_and_saveexec_b32 s18, s15
	s_wait_alu 0xfffe
	s_xor_b32 s18, exec_lo, s18
	s_cbranch_execnz .LBB188_149
.LBB188_42:                             ;   in Loop: Header=BB188_4 Depth=1
	s_wait_alu 0xfffe
	s_and_not1_saveexec_b32 s18, s18
	s_cbranch_execz .LBB188_44
.LBB188_43:                             ;   in Loop: Header=BB188_4 Depth=1
	v_add_co_u32 v2, vcc_lo, v9, s54
	s_wait_alu 0xfffd
	v_add_co_ci_u32_e64 v3, null, s55, v10, vcc_lo
	flat_load_b128 v[15:18], v[2:3]
	s_wait_loadcnt_dscnt 0x0
	ds_store_2addr_b64 v204, v[15:16], v[17:18] offset1:1
.LBB188_44:                             ;   in Loop: Header=BB188_4 Depth=1
	s_wait_alu 0xfffe
	s_or_b32 exec_lo, exec_lo, s18
	v_add_co_u32 v2, vcc_lo, v9, v239
	s_wait_alu 0xfffd
	v_add_co_ci_u32_e64 v3, null, 0, v10, vcc_lo
	s_lshl_b64 s[68:69], s[56:57], 4
	s_mov_b32 s18, 0
	s_wait_alu 0xfffe
	v_add_co_u32 v2, vcc_lo, v2, s68
	s_wait_alu 0xfffd
	v_add_co_ci_u32_e64 v3, null, s69, v3, vcc_lo
	s_delay_alu instid0(VALU_DEP_2) | instskip(SKIP_1) | instid1(VALU_DEP_2)
	v_add_co_u32 v2, vcc_lo, 0x210, v2
	s_wait_alu 0xfffd
	v_add_co_ci_u32_e64 v3, null, 0, v3, vcc_lo
	s_delay_alu instid0(VALU_DEP_2) | instskip(NEXT) | instid1(VALU_DEP_2)
	v_cndmask_b32_e64 v9, v2, v11, s11
	v_cndmask_b32_e64 v10, v3, v12, s11
.LBB188_45:                             ;   in Loop: Header=BB188_4 Depth=1
	s_and_b32 vcc_lo, exec_lo, s18
	s_wait_alu 0xfffe
	s_cbranch_vccz .LBB188_47
; %bb.46:                               ;   in Loop: Header=BB188_4 Depth=1
	flat_load_b128 v[15:18], v[11:12]
	v_add_co_u32 v2, vcc_lo, v13, s50
	s_wait_alu 0xfffd
	v_add_co_ci_u32_e64 v3, null, s51, v14, vcc_lo
	v_dual_mov_b32 v9, v11 :: v_dual_add_nc_u32 v4, 0x1080, v184
	v_mov_b32_e32 v10, v12
	s_wait_loadcnt_dscnt 0x0
	ds_store_2addr_b64 v184, v[15:16], v[17:18] offset1:1
	flat_load_b128 v[13:16], v[2:3] offset:512
	v_add_co_u32 v2, vcc_lo, v2, s50
	s_wait_alu 0xfffd
	v_add_co_ci_u32_e64 v3, null, s51, v3, vcc_lo
	s_wait_loadcnt_dscnt 0x0
	ds_store_2addr_b64 v4, v[13:14], v[15:16] offset1:1
	flat_load_b128 v[13:16], v[2:3] offset:512
	v_add_co_u32 v2, vcc_lo, v2, s50
	v_add_nc_u32_e32 v4, 0x2100, v184
	s_wait_alu 0xfffd
	v_add_co_ci_u32_e64 v3, null, s51, v3, vcc_lo
	s_wait_loadcnt_dscnt 0x0
	ds_store_2addr_b64 v4, v[13:14], v[15:16] offset1:1
	flat_load_b128 v[13:16], v[2:3] offset:512
	s_wait_loadcnt_dscnt 0x0
	ds_store_2addr_b64 v204, v[13:14], v[15:16] offset1:1
.LBB188_47:                             ;   in Loop: Header=BB188_4 Depth=1
	s_wait_loadcnt_dscnt 0x0
	s_barrier_signal -1
	s_barrier_wait -1
	global_inv scope:SCOPE_SE
	s_and_saveexec_b32 s18, s6
	s_cbranch_execnz .LBB188_135
; %bb.48:                               ;   in Loop: Header=BB188_4 Depth=1
	s_wait_alu 0xfffe
	s_or_b32 exec_lo, exec_lo, s18
	s_and_saveexec_b32 s18, s7
	s_cbranch_execnz .LBB188_136
.LBB188_49:                             ;   in Loop: Header=BB188_4 Depth=1
	s_wait_alu 0xfffe
	s_or_b32 exec_lo, exec_lo, s18
	s_and_saveexec_b32 s18, s8
	s_cbranch_execnz .LBB188_137
.LBB188_50:                             ;   in Loop: Header=BB188_4 Depth=1
	s_wait_alu 0xfffe
	s_or_b32 exec_lo, exec_lo, s18
	s_and_saveexec_b32 s18, s9
	s_cbranch_execz .LBB188_52
.LBB188_51:                             ;   in Loop: Header=BB188_4 Depth=1
	ds_load_b128 v[11:14], v193
	v_add_nc_u32_e32 v2, 48, v196
	s_wait_dscnt 0x0
	ds_store_b128 v2, v[11:14]
.LBB188_52:                             ;   in Loop: Header=BB188_4 Depth=1
	s_wait_alu 0xfffe
	s_or_b32 exec_lo, exec_lo, s18
	s_wait_loadcnt_dscnt 0x0
	s_barrier_signal -1
	s_barrier_wait -1
	global_inv scope:SCOPE_SE
	ds_load_b128 v[11:14], v189
	ds_load_b128 v[15:18], v194 offset:512
	ds_load_b128 v[19:22], v194 offset:528
	ds_load_b128 v[23:26], v190
	s_wait_dscnt 0x2
	v_mul_f64_e32 v[2:3], v[17:18], v[13:14]
	v_mul_f64_e32 v[13:14], v[15:16], v[13:14]
	s_wait_dscnt 0x0
	v_mul_f64_e32 v[33:34], v[21:22], v[25:26]
	v_mul_f64_e32 v[35:36], v[19:20], v[25:26]
	s_delay_alu instid0(VALU_DEP_4) | instskip(NEXT) | instid1(VALU_DEP_4)
	v_fma_f64 v[2:3], v[15:16], v[11:12], -v[2:3]
	v_fma_f64 v[37:38], v[17:18], v[11:12], v[13:14]
	ds_load_b128 v[11:14], v191
	ds_load_b128 v[15:18], v194 offset:544
	ds_load_b128 v[25:28], v194 offset:560
	ds_load_b128 v[29:32], v193
	v_fma_f64 v[19:20], v[19:20], v[23:24], -v[33:34]
	v_fma_f64 v[21:22], v[21:22], v[23:24], v[35:36]
	s_wait_loadcnt_dscnt 0x0
	s_barrier_signal -1
	s_barrier_wait -1
	global_inv scope:SCOPE_SE
	v_mul_f64_e32 v[39:40], v[17:18], v[13:14]
	v_mul_f64_e32 v[13:14], v[15:16], v[13:14]
	;; [unrolled: 1-line block ×4, first 2 shown]
	v_add_f64_e32 v[2:3], 0, v[2:3]
	v_add_f64_e32 v[23:24], 0, v[37:38]
	v_fma_f64 v[15:16], v[15:16], v[11:12], -v[39:40]
	v_fma_f64 v[11:12], v[17:18], v[11:12], v[13:14]
	v_fma_f64 v[17:18], v[25:26], v[29:30], -v[33:34]
	v_add_f64_e32 v[2:3], v[2:3], v[19:20]
	v_add_f64_e32 v[13:14], v[23:24], v[21:22]
	v_fma_f64 v[19:20], v[27:28], v[29:30], v[31:32]
	s_delay_alu instid0(VALU_DEP_3) | instskip(NEXT) | instid1(VALU_DEP_3)
	v_add_f64_e32 v[2:3], v[2:3], v[15:16]
	v_add_f64_e32 v[13:14], v[13:14], v[11:12]
	s_delay_alu instid0(VALU_DEP_2) | instskip(NEXT) | instid1(VALU_DEP_2)
	v_add_f64_e32 v[11:12], v[2:3], v[17:18]
	v_add_f64_e32 v[13:14], v[13:14], v[19:20]
	ds_store_b128 v195, v[11:14]
	s_wait_loadcnt_dscnt 0x0
	s_barrier_signal -1
	s_barrier_wait -1
	global_inv scope:SCOPE_SE
	s_and_saveexec_b32 s18, s16
	s_cbranch_execz .LBB188_54
; %bb.53:                               ;   in Loop: Header=BB188_4 Depth=1
	ds_load_b128 v[2:5], v192
	ds_load_b128 v[11:14], v192 offset:16
	s_wait_dscnt 0x0
	v_add_f64_e32 v[6:7], v[11:12], v[2:3]
	v_add_f64_e32 v[15:16], v[13:14], v[4:5]
	ds_load_b128 v[2:5], v192 offset:32
	ds_load_b128 v[11:14], v192 offset:48
	s_wait_dscnt 0x1
	v_add_f64_e32 v[2:3], v[6:7], v[2:3]
	v_add_f64_e32 v[4:5], v[15:16], v[4:5]
	s_wait_dscnt 0x0
	s_delay_alu instid0(VALU_DEP_2) | instskip(NEXT) | instid1(VALU_DEP_2)
	v_add_f64_e32 v[6:7], v[2:3], v[11:12]
	v_add_f64_e32 v[15:16], v[4:5], v[13:14]
	ds_load_b128 v[2:5], v192 offset:64
	ds_load_b128 v[11:14], v192 offset:80
	s_wait_dscnt 0x1
	v_add_f64_e32 v[2:3], v[6:7], v[2:3]
	v_add_f64_e32 v[4:5], v[15:16], v[4:5]
	s_wait_dscnt 0x0
	s_delay_alu instid0(VALU_DEP_2) | instskip(NEXT) | instid1(VALU_DEP_2)
	;; [unrolled: 9-line block ×3, first 2 shown]
	v_add_f64_e32 v[5:6], v[2:3], v[11:12]
	v_add_f64_e32 v[7:8], v[7:8], v[13:14]
.LBB188_54:                             ;   in Loop: Header=BB188_4 Depth=1
	s_wait_alu 0xfffe
	s_or_b32 exec_lo, exec_lo, s18
	v_add_co_u32 v11, vcc_lo, 0xfffffe00, v9
	s_wait_alu 0xfffd
	v_add_co_ci_u32_e64 v12, null, -1, v10, vcc_lo
	s_and_b32 vcc_lo, exec_lo, s72
	s_mov_b32 s18, -1
	s_wait_loadcnt 0x0
	s_barrier_signal -1
	s_barrier_wait -1
	global_inv scope:SCOPE_SE
                                        ; implicit-def: $vgpr2_vgpr3
	s_wait_alu 0xfffe
	s_cbranch_vccz .LBB188_66
; %bb.55:                               ;   in Loop: Header=BB188_4 Depth=1
	s_and_saveexec_b32 s18, s12
	s_wait_alu 0xfffe
	s_xor_b32 s18, exec_lo, s18
; %bb.56:                               ;   in Loop: Header=BB188_4 Depth=1
	v_dual_mov_b32 v2, v1 :: v_dual_mov_b32 v3, v1
	v_mov_b32_e32 v4, v1
	ds_store_b128 v184, v[1:4]
; %bb.57:                               ;   in Loop: Header=BB188_4 Depth=1
	s_wait_alu 0xfffe
	s_or_saveexec_b32 s18, s18
	v_add_co_u32 v2, vcc_lo, v9, v179
	s_wait_alu 0xfffd
	v_add_co_ci_u32_e64 v3, null, v10, v180, vcc_lo
	s_lshl_b64 s[68:69], s[44:45], 4
	s_wait_alu 0xfffe
	v_add_co_u32 v2, vcc_lo, v2, s68
	s_wait_alu 0xfffd
	v_add_co_ci_u32_e64 v3, null, s69, v3, vcc_lo
	s_delay_alu instid0(VALU_DEP_2) | instskip(SKIP_1) | instid1(VALU_DEP_2)
	v_add_co_u32 v2, vcc_lo, 0xfffffdf0, v2
	s_wait_alu 0xfffd
	v_add_co_ci_u32_e64 v3, null, -1, v3, vcc_lo
	s_delay_alu instid0(VALU_DEP_2) | instskip(NEXT) | instid1(VALU_DEP_2)
	v_cndmask_b32_e64 v13, v2, v11, s1
	v_cndmask_b32_e64 v14, v3, v12, s1
	s_xor_b32 exec_lo, exec_lo, s18
	s_cbranch_execnz .LBB188_150
; %bb.58:                               ;   in Loop: Header=BB188_4 Depth=1
	s_or_b32 exec_lo, exec_lo, s18
	s_and_saveexec_b32 s18, s13
	s_wait_alu 0xfffe
	s_xor_b32 s18, exec_lo, s18
	s_cbranch_execnz .LBB188_151
.LBB188_59:                             ;   in Loop: Header=BB188_4 Depth=1
	s_wait_alu 0xfffe
	s_and_not1_saveexec_b32 s18, s18
	s_cbranch_execnz .LBB188_152
.LBB188_60:                             ;   in Loop: Header=BB188_4 Depth=1
	s_wait_alu 0xfffe
	s_or_b32 exec_lo, exec_lo, s18
	s_and_saveexec_b32 s18, s14
	s_wait_alu 0xfffe
	s_xor_b32 s18, exec_lo, s18
	s_cbranch_execnz .LBB188_153
.LBB188_61:                             ;   in Loop: Header=BB188_4 Depth=1
	s_wait_alu 0xfffe
	s_and_not1_saveexec_b32 s18, s18
	s_cbranch_execnz .LBB188_154
.LBB188_62:                             ;   in Loop: Header=BB188_4 Depth=1
	s_wait_alu 0xfffe
	s_or_b32 exec_lo, exec_lo, s18
	s_and_saveexec_b32 s18, s15
	s_wait_alu 0xfffe
	s_xor_b32 s18, exec_lo, s18
	s_cbranch_execnz .LBB188_155
.LBB188_63:                             ;   in Loop: Header=BB188_4 Depth=1
	s_wait_alu 0xfffe
	s_and_not1_saveexec_b32 s18, s18
	s_cbranch_execz .LBB188_65
.LBB188_64:                             ;   in Loop: Header=BB188_4 Depth=1
	v_add_co_u32 v2, vcc_lo, v13, s54
	s_wait_alu 0xfffd
	v_add_co_ci_u32_e64 v3, null, s55, v14, vcc_lo
	flat_load_b128 v[15:18], v[2:3]
	s_wait_loadcnt_dscnt 0x0
	ds_store_2addr_b64 v204, v[15:16], v[17:18] offset1:1
.LBB188_65:                             ;   in Loop: Header=BB188_4 Depth=1
	s_wait_alu 0xfffe
	s_or_b32 exec_lo, exec_lo, s18
	v_add_co_u32 v2, vcc_lo, v13, v239
	s_wait_alu 0xfffd
	v_add_co_ci_u32_e64 v3, null, 0, v14, vcc_lo
	s_lshl_b64 s[68:69], s[56:57], 4
	s_mov_b32 s18, 0
	s_wait_alu 0xfffe
	v_add_co_u32 v2, vcc_lo, v2, s68
	s_wait_alu 0xfffd
	v_add_co_ci_u32_e64 v3, null, s69, v3, vcc_lo
	s_delay_alu instid0(VALU_DEP_2) | instskip(SKIP_1) | instid1(VALU_DEP_2)
	v_add_co_u32 v2, vcc_lo, v2, 16
	s_wait_alu 0xfffd
	v_add_co_ci_u32_e64 v3, null, 0, v3, vcc_lo
	s_delay_alu instid0(VALU_DEP_2) | instskip(NEXT) | instid1(VALU_DEP_2)
	v_cndmask_b32_e64 v2, v2, v11, s1
	v_cndmask_b32_e64 v3, v3, v12, s1
.LBB188_66:                             ;   in Loop: Header=BB188_4 Depth=1
	s_and_b32 vcc_lo, exec_lo, s18
	s_wait_alu 0xfffe
	s_cbranch_vccz .LBB188_68
; %bb.67:                               ;   in Loop: Header=BB188_4 Depth=1
	flat_load_b128 v[13:16], v[11:12]
	v_add_co_u32 v2, vcc_lo, v9, s50
	s_wait_alu 0xfffd
	v_add_co_ci_u32_e64 v3, null, s51, v10, vcc_lo
	v_add_nc_u32_e32 v4, 0x1080, v184
	s_wait_loadcnt_dscnt 0x0
	ds_store_2addr_b64 v184, v[13:14], v[15:16] offset1:1
	flat_load_b128 v[13:16], v[2:3] offset:-512
	v_add_co_u32 v2, vcc_lo, v2, s50
	s_wait_alu 0xfffd
	v_add_co_ci_u32_e64 v3, null, s51, v3, vcc_lo
	s_wait_loadcnt_dscnt 0x0
	ds_store_2addr_b64 v4, v[13:14], v[15:16] offset1:1
	flat_load_b128 v[13:16], v[2:3] offset:-512
	v_add_co_u32 v2, vcc_lo, v2, s50
	v_add_nc_u32_e32 v4, 0x2100, v184
	s_wait_alu 0xfffd
	v_add_co_ci_u32_e64 v3, null, s51, v3, vcc_lo
	s_wait_loadcnt_dscnt 0x0
	ds_store_2addr_b64 v4, v[13:14], v[15:16] offset1:1
	flat_load_b128 v[13:16], v[2:3] offset:-512
	v_dual_mov_b32 v2, v11 :: v_dual_mov_b32 v3, v12
	s_wait_loadcnt_dscnt 0x0
	ds_store_2addr_b64 v204, v[13:14], v[15:16] offset1:1
.LBB188_68:                             ;   in Loop: Header=BB188_4 Depth=1
	s_wait_loadcnt_dscnt 0x0
	s_barrier_signal -1
	s_barrier_wait -1
	global_inv scope:SCOPE_SE
	scratch_load_b32 v4, off, off offset:4  ; 4-byte Folded Reload
	s_wait_loadcnt 0x0
	ds_load_b128 v[9:12], v4
	ds_load_b128 v[13:16], v197
	ds_load_b128 v[17:20], v195 offset:384
	ds_load_b128 v[21:24], v197 offset:384
	;; [unrolled: 1-line block ×6, first 2 shown]
	s_wait_dscnt 0x6
	v_mul_f64_e32 v[43:44], v[11:12], v[15:16]
	v_mul_f64_e32 v[15:16], v[9:10], v[15:16]
	s_wait_dscnt 0x2
	v_mul_f64_e32 v[45:46], v[31:32], v[27:28]
	v_mul_f64_e32 v[27:28], v[29:30], v[27:28]
	s_delay_alu instid0(VALU_DEP_4) | instskip(NEXT) | instid1(VALU_DEP_4)
	v_fma_f64 v[9:10], v[9:10], v[13:14], -v[43:44]
	v_fma_f64 v[11:12], v[11:12], v[13:14], v[15:16]
	s_wait_dscnt 0x0
	v_mul_f64_e32 v[13:14], v[35:36], v[39:40]
	v_mul_f64_e32 v[15:16], v[33:34], v[39:40]
	v_fma_f64 v[29:30], v[29:30], v[25:26], -v[45:46]
	v_fma_f64 v[25:26], v[31:32], v[25:26], v[27:28]
	v_mul_f64_e32 v[27:28], v[19:20], v[23:24]
	v_mul_f64_e32 v[23:24], v[17:18], v[23:24]
	v_add_f64_e32 v[9:10], 0, v[9:10]
	v_add_f64_e32 v[11:12], 0, v[11:12]
	v_fma_f64 v[13:14], v[33:34], v[37:38], -v[13:14]
	v_fma_f64 v[15:16], v[35:36], v[37:38], v[15:16]
	v_fma_f64 v[17:18], v[17:18], v[21:22], -v[27:28]
	v_fma_f64 v[19:20], v[19:20], v[21:22], v[23:24]
	v_add_f64_e32 v[9:10], v[9:10], v[29:30]
	v_add_f64_e32 v[11:12], v[11:12], v[25:26]
	s_delay_alu instid0(VALU_DEP_2) | instskip(NEXT) | instid1(VALU_DEP_2)
	v_add_f64_e32 v[9:10], v[9:10], v[13:14]
	v_add_f64_e32 v[11:12], v[11:12], v[15:16]
	s_delay_alu instid0(VALU_DEP_2) | instskip(NEXT) | instid1(VALU_DEP_2)
	v_add_f64_e32 v[43:44], v[9:10], v[17:18]
	v_add_f64_e32 v[45:46], v[11:12], v[19:20]
	ds_load_b128 v[33:36], v194 offset:512
	ds_load_b128 v[25:28], v194 offset:528
	;; [unrolled: 1-line block ×4, first 2 shown]
	ds_load_b128 v[37:40], v189
	ds_load_b128 v[29:32], v190
	ds_load_b128 v[21:24], v191
	ds_load_b128 v[17:20], v193
	s_wait_dscnt 0x0
	s_barrier_signal -1
	s_barrier_wait -1
	global_inv scope:SCOPE_SE
	ds_store_b128 v195, v[43:46]
	s_wait_loadcnt_dscnt 0x0
	s_barrier_signal -1
	s_barrier_wait -1
	global_inv scope:SCOPE_SE
	s_and_saveexec_b32 s18, s16
	s_cbranch_execz .LBB188_70
; %bb.69:                               ;   in Loop: Header=BB188_4 Depth=1
	ds_load_b128 v[43:46], v192
	ds_load_b128 v[47:50], v192 offset:16
	s_wait_dscnt 0x1
	v_add_f64_e32 v[4:5], v[5:6], v[43:44]
	v_add_f64_e32 v[6:7], v[7:8], v[45:46]
	s_wait_dscnt 0x0
	s_delay_alu instid0(VALU_DEP_2) | instskip(NEXT) | instid1(VALU_DEP_2)
	v_add_f64_e32 v[47:48], v[4:5], v[47:48]
	v_add_f64_e32 v[49:50], v[6:7], v[49:50]
	ds_load_b128 v[4:7], v192 offset:32
	ds_load_b128 v[43:46], v192 offset:48
	s_wait_dscnt 0x1
	v_add_f64_e32 v[4:5], v[47:48], v[4:5]
	v_add_f64_e32 v[6:7], v[49:50], v[6:7]
	s_wait_dscnt 0x0
	s_delay_alu instid0(VALU_DEP_2) | instskip(NEXT) | instid1(VALU_DEP_2)
	v_add_f64_e32 v[47:48], v[4:5], v[43:44]
	v_add_f64_e32 v[49:50], v[6:7], v[45:46]
	ds_load_b128 v[4:7], v192 offset:64
	;; [unrolled: 9-line block ×3, first 2 shown]
	ds_load_b128 v[43:46], v192 offset:112
	s_wait_dscnt 0x1
	v_add_f64_e32 v[4:5], v[47:48], v[4:5]
	v_add_f64_e32 v[7:8], v[49:50], v[6:7]
	s_wait_dscnt 0x0
	s_delay_alu instid0(VALU_DEP_2) | instskip(NEXT) | instid1(VALU_DEP_2)
	v_add_f64_e32 v[5:6], v[4:5], v[43:44]
	v_add_f64_e32 v[7:8], v[7:8], v[45:46]
.LBB188_70:                             ;   in Loop: Header=BB188_4 Depth=1
	s_wait_alu 0xfffe
	s_or_b32 exec_lo, exec_lo, s18
	v_mul_f64_e32 v[43:44], v[35:36], v[39:40]
	v_mul_f64_e32 v[39:40], v[33:34], v[39:40]
	;; [unrolled: 1-line block ×4, first 2 shown]
	s_wait_loadcnt 0x0
	s_barrier_signal -1
	s_barrier_wait -1
	global_inv scope:SCOPE_SE
	v_fma_f64 v[33:34], v[33:34], v[37:38], -v[43:44]
	v_fma_f64 v[35:36], v[35:36], v[37:38], v[39:40]
	v_mul_f64_e32 v[37:38], v[15:16], v[23:24]
	v_mul_f64_e32 v[23:24], v[13:14], v[23:24]
	v_fma_f64 v[25:26], v[25:26], v[29:30], -v[45:46]
	v_fma_f64 v[27:28], v[27:28], v[29:30], v[31:32]
	v_add_f64_e32 v[29:30], 0, v[33:34]
	v_add_f64_e32 v[31:32], 0, v[35:36]
	v_mul_f64_e32 v[33:34], v[11:12], v[19:20]
	v_mul_f64_e32 v[19:20], v[9:10], v[19:20]
	v_fma_f64 v[13:14], v[13:14], v[21:22], -v[37:38]
	v_fma_f64 v[15:16], v[15:16], v[21:22], v[23:24]
	v_add_f64_e32 v[21:22], v[29:30], v[25:26]
	v_add_f64_e32 v[23:24], v[31:32], v[27:28]
	v_fma_f64 v[9:10], v[9:10], v[17:18], -v[33:34]
	v_fma_f64 v[11:12], v[11:12], v[17:18], v[19:20]
	s_delay_alu instid0(VALU_DEP_4) | instskip(NEXT) | instid1(VALU_DEP_4)
	v_add_f64_e32 v[13:14], v[21:22], v[13:14]
	v_add_f64_e32 v[15:16], v[23:24], v[15:16]
	s_delay_alu instid0(VALU_DEP_2) | instskip(NEXT) | instid1(VALU_DEP_2)
	v_add_f64_e32 v[9:10], v[13:14], v[9:10]
	v_add_f64_e32 v[11:12], v[15:16], v[11:12]
	ds_store_b128 v195, v[9:12]
	s_wait_loadcnt_dscnt 0x0
	s_barrier_signal -1
	s_barrier_wait -1
	global_inv scope:SCOPE_SE
	s_and_saveexec_b32 s18, s10
	s_cbranch_execz .LBB188_72
; %bb.71:                               ;   in Loop: Header=BB188_4 Depth=1
	ds_load_b128 v[9:12], v192
	ds_load_b128 v[13:16], v192 offset:16
	s_wait_dscnt 0x1
	v_add_f64_e32 v[4:5], v[5:6], v[9:10]
	v_add_f64_e32 v[6:7], v[7:8], v[11:12]
	s_wait_dscnt 0x0
	s_delay_alu instid0(VALU_DEP_2) | instskip(NEXT) | instid1(VALU_DEP_2)
	v_add_f64_e32 v[12:13], v[4:5], v[13:14]
	v_add_f64_e32 v[14:15], v[6:7], v[15:16]
	ds_load_b128 v[4:7], v192 offset:32
	ds_load_b128 v[8:11], v192 offset:48
	s_wait_dscnt 0x1
	v_add_f64_e32 v[4:5], v[12:13], v[4:5]
	v_add_f64_e32 v[6:7], v[14:15], v[6:7]
	s_wait_dscnt 0x0
	s_delay_alu instid0(VALU_DEP_2) | instskip(NEXT) | instid1(VALU_DEP_2)
	v_add_f64_e32 v[12:13], v[4:5], v[8:9]
	v_add_f64_e32 v[14:15], v[6:7], v[10:11]
	ds_load_b128 v[4:7], v192 offset:64
	ds_load_b128 v[8:11], v192 offset:80
	s_wait_dscnt 0x1
	v_add_f64_e32 v[4:5], v[12:13], v[4:5]
	v_add_f64_e32 v[6:7], v[14:15], v[6:7]
	s_wait_dscnt 0x0
	s_delay_alu instid0(VALU_DEP_2) | instskip(NEXT) | instid1(VALU_DEP_2)
	v_add_f64_e32 v[12:13], v[4:5], v[8:9]
	v_add_f64_e32 v[14:15], v[6:7], v[10:11]
	ds_load_b128 v[4:7], v192 offset:96
	ds_load_b128 v[8:11], v192 offset:112
	s_wait_dscnt 0x1
	v_add_f64_e32 v[4:5], v[12:13], v[4:5]
	v_add_f64_e32 v[12:13], v[14:15], v[6:7]
	s_wait_dscnt 0x0
	s_delay_alu instid0(VALU_DEP_2) | instskip(NEXT) | instid1(VALU_DEP_2)
	v_add_f64_e32 v[5:6], v[4:5], v[8:9]
	v_add_f64_e32 v[7:8], v[12:13], v[10:11]
.LBB188_72:                             ;   in Loop: Header=BB188_4 Depth=1
	s_wait_alu 0xfffe
	s_or_b32 exec_lo, exec_lo, s18
	s_mul_u64 s[68:69], s[46:47], s[34:35]
	s_and_not1_b32 vcc_lo, exec_lo, s43
	s_wait_alu 0xfffe
	s_lshl_b64 s[68:69], s[68:69], 4
	s_wait_loadcnt 0x0
	s_wait_alu 0xfffe
	s_add_nc_u64 s[68:69], s[48:49], s[68:69]
	s_barrier_signal -1
	s_barrier_wait -1
	global_inv scope:SCOPE_SE
	s_cbranch_vccnz .LBB188_130
; %bb.73:                               ;   in Loop: Header=BB188_4 Depth=1
	scratch_load_b32 v4, off, off offset:12 ; 4-byte Folded Reload
	v_add_co_u32 v240, vcc_lo, v41, s66
	s_wait_alu 0xfffd
	v_add_co_ci_u32_e64 v241, null, s67, v42, vcc_lo
	s_mov_b32 s77, ttmp9
	s_mov_b32 s70, s76
	s_wait_loadcnt 0x0
	v_add_co_u32 v242, vcc_lo, v2, v4
	scratch_load_b32 v4, off, off offset:8  ; 4-byte Folded Reload
	s_wait_loadcnt 0x0
	s_wait_alu 0xfffd
	v_add_co_ci_u32_e64 v243, null, v3, v4, vcc_lo
	scratch_load_b32 v4, off, off offset:20 ; 4-byte Folded Reload
	s_wait_loadcnt 0x0
	v_add_co_u32 v244, vcc_lo, v2, v4
	scratch_load_b32 v4, off, off offset:16 ; 4-byte Folded Reload
	s_wait_loadcnt 0x0
	s_wait_alu 0xfffd
	v_add_co_ci_u32_e64 v245, null, v3, v4, vcc_lo
	scratch_load_b32 v4, off, off offset:24 ; 4-byte Folded Reload
	s_wait_loadcnt 0x0
	v_add_co_u32 v246, vcc_lo, v2, v4
	scratch_load_b32 v4, off, off offset:28 ; 4-byte Folded Reload
	;; [unrolled: 7-line block ×15, first 2 shown]
	s_wait_loadcnt 0x0
	s_wait_alu 0xfffd
	v_add_co_ci_u32_e64 v222, null, v3, v2, vcc_lo
	s_cmp_eq_u32 s74, s77
	s_cselect_b32 s78, s33, 0
	s_and_saveexec_b32 s18, s0
	s_cbranch_execz .LBB188_78
.LBB188_74:                             ;   in Loop: Header=BB188_4 Depth=1
	s_wait_alu 0xfffe
	v_cmp_le_i32_e32 vcc_lo, s78, v181
	s_cmp_lg_u32 s78, 0
	s_cselect_b32 s71, -1, 0
	s_wait_alu 0xfffe
	s_and_b32 s71, s71, vcc_lo
	s_wait_alu 0xfffe
	s_and_saveexec_b32 s79, s71
	s_wait_alu 0xfffe
	s_xor_b32 s71, exec_lo, s79
; %bb.75:                               ;   in Loop: Header=BB188_4 Depth=1
	v_dual_mov_b32 v2, v1 :: v_dual_mov_b32 v3, v1
	v_mov_b32_e32 v4, v1
	ds_store_b128 v0, v[1:4]
; %bb.76:                               ;   in Loop: Header=BB188_4 Depth=1
	s_wait_alu 0xfffe
	s_and_not1_saveexec_b32 s71, s71
	s_cbranch_execz .LBB188_78
; %bb.77:                               ;   in Loop: Header=BB188_4 Depth=1
	s_ashr_i32 s71, s70, 31
	s_wait_alu 0xfffe
	s_mul_u64 s[80:81], s[40:41], s[70:71]
	s_wait_alu 0xfffe
	s_lshl_b64 s[80:81], s[80:81], 4
	s_wait_alu 0xfffe
	v_add_co_u32 v2, vcc_lo, v240, s80
	s_wait_alu 0xfffd
	v_add_co_ci_u32_e64 v3, null, s81, v241, vcc_lo
	flat_load_b128 v[9:12], v[2:3]
	s_wait_loadcnt_dscnt 0x0
	ds_store_2addr_b64 v0, v[9:10], v[11:12] offset1:1
.LBB188_78:                             ;   Parent Loop BB188_4 Depth=1
                                        ; =>  This Inner Loop Header: Depth=2
	s_wait_alu 0xfffe
	s_or_b32 exec_lo, exec_lo, s18
	s_cmp_eq_u32 s78, 0
	v_add_co_u32 v2, vcc_lo, v250, v182
	s_cselect_b32 s71, -1, 0
	s_cmp_lg_u32 s78, 0
	s_wait_alu 0xfffd
	v_add_co_ci_u32_e64 v3, null, 0, v251, vcc_lo
	s_cselect_b32 s18, -1, 0
	s_wait_dscnt 0x0
	s_wait_alu 0xfffe
	s_and_b32 vcc_lo, exec_lo, s18
	s_barrier_signal -1
	s_barrier_wait -1
	global_inv scope:SCOPE_SE
	s_wait_alu 0xfffe
	s_cbranch_vccz .LBB188_86
; %bb.79:                               ;   in Loop: Header=BB188_78 Depth=2
	v_mov_b32_e32 v9, 0
	v_dual_mov_b32 v10, 0 :: v_dual_mov_b32 v13, 0
	v_dual_mov_b32 v15, 0 :: v_dual_mov_b32 v14, 0
	v_mov_b32_e32 v16, 0
	s_mov_b32 s79, exec_lo
	v_cmpx_gt_i32_e64 s78, v198
	s_cbranch_execz .LBB188_81
; %bb.80:                               ;   in Loop: Header=BB188_78 Depth=2
	flat_load_b128 v[13:16], v[2:3]
.LBB188_81:                             ;   in Loop: Header=BB188_78 Depth=2
	s_wait_alu 0xfffe
	s_or_b32 exec_lo, exec_lo, s79
	v_mov_b32_e32 v11, 0
	v_or_b32_e32 v4, 1, v198
	v_mov_b32_e32 v12, 0
	s_mov_b32 s79, exec_lo
	s_delay_alu instid0(VALU_DEP_2)
	v_cmpx_gt_i32_e64 s78, v4
	s_cbranch_execz .LBB188_83
; %bb.82:                               ;   in Loop: Header=BB188_78 Depth=2
	v_add_co_u32 v9, vcc_lo, v246, v182
	s_wait_alu 0xfffd
	v_add_co_ci_u32_e64 v10, null, 0, v247, vcc_lo
	flat_load_b128 v[9:12], v[9:10]
.LBB188_83:                             ;   in Loop: Header=BB188_78 Depth=2
	s_wait_alu 0xfffe
	s_or_b32 exec_lo, exec_lo, s79
	v_mov_b32_e32 v17, 0
	v_dual_mov_b32 v18, 0 :: v_dual_mov_b32 v19, 0
	v_or_b32_e32 v4, 2, v198
	v_mov_b32_e32 v20, 0
	s_mov_b32 s79, exec_lo
	s_delay_alu instid0(VALU_DEP_2)
	v_cmpx_gt_i32_e64 s78, v4
	s_cbranch_execz .LBB188_85
; %bb.84:                               ;   in Loop: Header=BB188_78 Depth=2
	v_add_co_u32 v17, vcc_lo, v242, v182
	s_wait_alu 0xfffd
	v_add_co_ci_u32_e64 v18, null, 0, v243, vcc_lo
	flat_load_b128 v[17:20], v[17:18] offset:-8
.LBB188_85:                             ;   in Loop: Header=BB188_78 Depth=2
	s_wait_alu 0xfffe
	s_or_b32 exec_lo, exec_lo, s79
	v_or_b32_e32 v4, 3, v198
	s_delay_alu instid0(VALU_DEP_1)
	v_cmp_gt_i32_e64 s79, s78, v4
	s_branch .LBB188_88
.LBB188_86:                             ;   in Loop: Header=BB188_78 Depth=2
	s_mov_b32 s79, 0
                                        ; implicit-def: $vgpr19_vgpr20
                                        ; implicit-def: $vgpr11_vgpr12
                                        ; implicit-def: $vgpr15_vgpr16
	s_cbranch_execz .LBB188_88
; %bb.87:                               ;   in Loop: Header=BB188_78 Depth=2
	s_wait_loadcnt_dscnt 0x0
	v_add_co_u32 v9, vcc_lo, v246, v182
	s_wait_alu 0xfffd
	v_add_co_ci_u32_e64 v10, null, 0, v247, vcc_lo
	v_add_co_u32 v17, vcc_lo, v242, v182
	s_wait_alu 0xfffd
	v_add_co_ci_u32_e64 v18, null, 0, v243, vcc_lo
	flat_load_b128 v[13:16], v[2:3]
	flat_load_b128 v[9:12], v[9:10]
	flat_load_b128 v[17:20], v[17:18] offset:-8
	s_wait_alu 0xfffe
	s_or_b32 s79, s79, exec_lo
.LBB188_88:                             ;   in Loop: Header=BB188_78 Depth=2
	v_mov_b32_e32 v21, 0
	v_dual_mov_b32 v22, 0 :: v_dual_mov_b32 v23, 0
	v_mov_b32_e32 v24, 0
	s_wait_alu 0xfffe
	s_and_saveexec_b32 s80, s79
	s_cbranch_execz .LBB188_90
; %bb.89:                               ;   in Loop: Header=BB188_78 Depth=2
	v_add_co_u32 v2, vcc_lo, v254, v182
	s_wait_alu 0xfffd
	v_add_co_ci_u32_e64 v3, null, 0, v255, vcc_lo
	flat_load_b128 v[21:24], v[2:3]
.LBB188_90:                             ;   in Loop: Header=BB188_78 Depth=2
	s_wait_alu 0xfffe
	s_or_b32 exec_lo, exec_lo, s80
	ds_load_b128 v[29:32], v183
	ds_load_b128 v[25:28], v199
	v_cndmask_b32_e64 v4, 0, 1, s18
	s_wait_loadcnt_dscnt 0x1
	v_mul_f64_e32 v[2:3], v[15:16], v[31:32]
	v_mul_f64_e32 v[33:34], v[13:14], v[31:32]
	v_mul_f64_e32 v[35:36], v[11:12], v[31:32]
	v_mul_f64_e32 v[37:38], v[9:10], v[31:32]
	v_mul_f64_e32 v[39:40], v[19:20], v[31:32]
	v_mul_f64_e32 v[51:52], v[17:18], v[31:32]
	v_mul_f64_e32 v[53:54], v[23:24], v[31:32]
	v_mul_f64_e32 v[31:32], v[21:22], v[31:32]
	v_fma_f64 v[41:42], v[13:14], v[29:30], -v[2:3]
	v_fma_f64 v[43:44], v[15:16], v[29:30], v[33:34]
	v_fma_f64 v[45:46], v[9:10], v[29:30], -v[35:36]
	v_fma_f64 v[47:48], v[11:12], v[29:30], v[37:38]
	;; [unrolled: 2-line block ×4, first 2 shown]
	ds_load_b128 v[37:40], v199 offset:16
	ds_load_b128 v[33:36], v199 offset:32
	;; [unrolled: 1-line block ×3, first 2 shown]
	v_add_co_u32 v2, vcc_lo, v215, v182
	s_wait_alu 0xfffd
	v_add_co_ci_u32_e64 v3, null, 0, v216, vcc_lo
	s_and_not1_b32 vcc_lo, exec_lo, s18
	ds_store_b128 v200, v[41:44]
	ds_store_b128 v200, v[45:48] offset:1072
	ds_store_b128 v200, v[49:52] offset:2144
	;; [unrolled: 1-line block ×3, first 2 shown]
	s_wait_dscnt 0x0
	s_barrier_signal -1
	s_barrier_wait -1
	global_inv scope:SCOPE_SE
	ds_load_b128 v[97:100], v201
	ds_load_b128 v[93:96], v201 offset:16
	ds_load_b128 v[89:92], v201 offset:32
	;; [unrolled: 1-line block ×3, first 2 shown]
	s_wait_loadcnt_dscnt 0x0
	s_barrier_signal -1
	s_barrier_wait -1
	global_inv scope:SCOPE_SE
	s_wait_alu 0xfffe
	s_cbranch_vccnz .LBB188_98
; %bb.91:                               ;   in Loop: Header=BB188_78 Depth=2
	v_mov_b32_e32 v41, 0
	v_mov_b32_e32 v45, 0
	;; [unrolled: 1-line block ×3, first 2 shown]
	v_dual_mov_b32 v42, 0 :: v_dual_add_nc_u32 v43, 16, v198
	v_mov_b32_e32 v46, 0
	v_mov_b32_e32 v48, 0
	s_mov_b32 s18, exec_lo
	s_delay_alu instid0(VALU_DEP_3)
	v_cmpx_gt_i32_e64 s78, v43
	s_cbranch_execz .LBB188_93
; %bb.92:                               ;   in Loop: Header=BB188_78 Depth=2
	flat_load_b128 v[45:48], v[2:3]
.LBB188_93:                             ;   in Loop: Header=BB188_78 Depth=2
	s_wait_alu 0xfffe
	s_or_b32 exec_lo, exec_lo, s18
	v_mov_b32_e32 v43, 0
	v_dual_mov_b32 v44, 0 :: v_dual_add_nc_u32 v49, 17, v198
	s_mov_b32 s18, exec_lo
	s_delay_alu instid0(VALU_DEP_1)
	v_cmpx_gt_i32_e64 s78, v49
	s_cbranch_execz .LBB188_95
; %bb.94:                               ;   in Loop: Header=BB188_78 Depth=2
	v_add_co_u32 v41, vcc_lo, v211, v182
	s_wait_alu 0xfffd
	v_add_co_ci_u32_e64 v42, null, 0, v212, vcc_lo
	flat_load_b128 v[41:44], v[41:42]
.LBB188_95:                             ;   in Loop: Header=BB188_78 Depth=2
	s_wait_alu 0xfffe
	s_or_b32 exec_lo, exec_lo, s18
	v_mov_b32_e32 v49, 0
	v_mov_b32_e32 v51, 0
	v_dual_mov_b32 v50, 0 :: v_dual_add_nc_u32 v53, 18, v198
	v_mov_b32_e32 v52, 0
	s_mov_b32 s18, exec_lo
	s_delay_alu instid0(VALU_DEP_2)
	v_cmpx_gt_i32_e64 s78, v53
	s_cbranch_execz .LBB188_97
; %bb.96:                               ;   in Loop: Header=BB188_78 Depth=2
	v_add_co_u32 v49, vcc_lo, v207, v182
	s_wait_alu 0xfffd
	v_add_co_ci_u32_e64 v50, null, 0, v208, vcc_lo
	flat_load_b128 v[49:52], v[49:50] offset:-8
.LBB188_97:                             ;   in Loop: Header=BB188_78 Depth=2
	s_wait_alu 0xfffe
	s_or_b32 exec_lo, exec_lo, s18
	v_add_nc_u32_e32 v53, 19, v198
	s_delay_alu instid0(VALU_DEP_1)
	v_cmp_gt_i32_e64 s18, s78, v53
	s_branch .LBB188_100
.LBB188_98:                             ;   in Loop: Header=BB188_78 Depth=2
	s_mov_b32 s18, 0
                                        ; implicit-def: $vgpr51_vgpr52
                                        ; implicit-def: $vgpr43_vgpr44
                                        ; implicit-def: $vgpr47_vgpr48
	s_cbranch_execz .LBB188_100
; %bb.99:                               ;   in Loop: Header=BB188_78 Depth=2
	s_wait_loadcnt_dscnt 0x0
	v_add_co_u32 v41, vcc_lo, v211, v182
	s_wait_alu 0xfffd
	v_add_co_ci_u32_e64 v42, null, 0, v212, vcc_lo
	v_add_co_u32 v49, vcc_lo, v207, v182
	s_wait_alu 0xfffd
	v_add_co_ci_u32_e64 v50, null, 0, v208, vcc_lo
	flat_load_b128 v[45:48], v[2:3]
	flat_load_b128 v[41:44], v[41:42]
	flat_load_b128 v[49:52], v[49:50] offset:-8
	s_wait_alu 0xfffe
	s_or_b32 s18, s18, exec_lo
.LBB188_100:                            ;   in Loop: Header=BB188_78 Depth=2
	v_mov_b32_e32 v53, 0
	v_dual_mov_b32 v54, 0 :: v_dual_mov_b32 v55, 0
	v_mov_b32_e32 v56, 0
	s_wait_alu 0xfffe
	s_and_saveexec_b32 s79, s18
	s_cbranch_execz .LBB188_102
; %bb.101:                              ;   in Loop: Header=BB188_78 Depth=2
	v_add_co_u32 v2, vcc_lo, v219, v182
	s_wait_alu 0xfffd
	v_add_co_ci_u32_e64 v3, null, 0, v220, vcc_lo
	flat_load_b128 v[53:56], v[2:3]
.LBB188_102:                            ;   in Loop: Header=BB188_78 Depth=2
	s_wait_alu 0xfffe
	s_or_b32 exec_lo, exec_lo, s79
	ds_load_b128 v[61:64], v183
	ds_load_b128 v[57:60], v199 offset:256
	v_cmp_ne_u32_e32 vcc_lo, 1, v4
	s_and_b32 vcc_lo, exec_lo, vcc_lo
	s_wait_loadcnt_dscnt 0x1
	v_mul_f64_e32 v[2:3], v[47:48], v[63:64]
	v_mul_f64_e32 v[65:66], v[45:46], v[63:64]
	;; [unrolled: 1-line block ×8, first 2 shown]
	v_fma_f64 v[73:74], v[45:46], v[61:62], -v[2:3]
	v_fma_f64 v[75:76], v[47:48], v[61:62], v[65:66]
	v_fma_f64 v[77:78], v[41:42], v[61:62], -v[67:68]
	v_fma_f64 v[79:80], v[43:44], v[61:62], v[69:70]
	;; [unrolled: 2-line block ×4, first 2 shown]
	ds_load_b128 v[69:72], v199 offset:272
	ds_load_b128 v[65:68], v199 offset:288
	ds_load_b128 v[61:64], v199 offset:304
	v_add_co_u32 v2, s18, v213, v182
	s_wait_alu 0xf1ff
	v_add_co_ci_u32_e64 v3, null, 0, v214, s18
	ds_store_b128 v200, v[73:76]
	ds_store_b128 v200, v[77:80] offset:1072
	ds_store_b128 v200, v[81:84] offset:2144
	;; [unrolled: 1-line block ×3, first 2 shown]
	s_wait_dscnt 0x0
	s_barrier_signal -1
	s_barrier_wait -1
	global_inv scope:SCOPE_SE
	ds_load_b128 v[145:148], v201
	ds_load_b128 v[141:144], v201 offset:16
	ds_load_b128 v[137:140], v201 offset:32
	;; [unrolled: 1-line block ×3, first 2 shown]
	s_wait_loadcnt_dscnt 0x0
	s_barrier_signal -1
	s_barrier_wait -1
	global_inv scope:SCOPE_SE
	s_wait_alu 0xfffe
	s_cbranch_vccnz .LBB188_110
; %bb.103:                              ;   in Loop: Header=BB188_78 Depth=2
	v_mov_b32_e32 v73, 0
	v_mov_b32_e32 v77, 0
	;; [unrolled: 1-line block ×3, first 2 shown]
	v_dual_mov_b32 v74, 0 :: v_dual_add_nc_u32 v75, 32, v198
	v_mov_b32_e32 v78, 0
	v_mov_b32_e32 v80, 0
	s_mov_b32 s18, exec_lo
	s_delay_alu instid0(VALU_DEP_3)
	v_cmpx_gt_i32_e64 s78, v75
	s_cbranch_execz .LBB188_105
; %bb.104:                              ;   in Loop: Header=BB188_78 Depth=2
	flat_load_b128 v[77:80], v[2:3] offset:-8
.LBB188_105:                            ;   in Loop: Header=BB188_78 Depth=2
	s_wait_alu 0xfffe
	s_or_b32 exec_lo, exec_lo, s18
	v_mov_b32_e32 v75, 0
	v_dual_mov_b32 v76, 0 :: v_dual_add_nc_u32 v81, 33, v198
	s_mov_b32 s18, exec_lo
	s_delay_alu instid0(VALU_DEP_1)
	v_cmpx_gt_i32_e64 s78, v81
	s_cbranch_execz .LBB188_107
; %bb.106:                              ;   in Loop: Header=BB188_78 Depth=2
	v_add_co_u32 v73, vcc_lo, v217, v182
	s_wait_alu 0xfffd
	v_add_co_ci_u32_e64 v74, null, 0, v218, vcc_lo
	flat_load_b128 v[73:76], v[73:74] offset:-8
.LBB188_107:                            ;   in Loop: Header=BB188_78 Depth=2
	s_wait_alu 0xfffe
	s_or_b32 exec_lo, exec_lo, s18
	v_mov_b32_e32 v81, 0
	v_mov_b32_e32 v83, 0
	v_dual_mov_b32 v82, 0 :: v_dual_add_nc_u32 v101, 34, v198
	v_mov_b32_e32 v84, 0
	s_mov_b32 s18, exec_lo
	s_delay_alu instid0(VALU_DEP_2)
	v_cmpx_gt_i32_e64 s78, v101
	s_cbranch_execz .LBB188_109
; %bb.108:                              ;   in Loop: Header=BB188_78 Depth=2
	v_add_co_u32 v81, vcc_lo, v221, v182
	s_wait_alu 0xfffd
	v_add_co_ci_u32_e64 v82, null, 0, v222, vcc_lo
	flat_load_b128 v[81:84], v[81:82] offset:-8
.LBB188_109:                            ;   in Loop: Header=BB188_78 Depth=2
	s_wait_alu 0xfffe
	s_or_b32 exec_lo, exec_lo, s18
	v_add_nc_u32_e32 v101, 35, v198
	s_delay_alu instid0(VALU_DEP_1)
	v_cmp_gt_i32_e64 s18, s78, v101
	s_branch .LBB188_112
.LBB188_110:                            ;   in Loop: Header=BB188_78 Depth=2
	s_mov_b32 s18, 0
                                        ; implicit-def: $vgpr83_vgpr84
                                        ; implicit-def: $vgpr75_vgpr76
                                        ; implicit-def: $vgpr79_vgpr80
	s_cbranch_execz .LBB188_112
; %bb.111:                              ;   in Loop: Header=BB188_78 Depth=2
	s_wait_loadcnt_dscnt 0x0
	v_add_co_u32 v73, vcc_lo, v217, v182
	s_wait_alu 0xfffd
	v_add_co_ci_u32_e64 v74, null, 0, v218, vcc_lo
	v_add_co_u32 v81, vcc_lo, v221, v182
	s_wait_alu 0xfffd
	v_add_co_ci_u32_e64 v82, null, 0, v222, vcc_lo
	flat_load_b128 v[77:80], v[2:3] offset:-8
	flat_load_b128 v[73:76], v[73:74] offset:-8
	;; [unrolled: 1-line block ×3, first 2 shown]
	s_wait_alu 0xfffe
	s_or_b32 s18, s18, exec_lo
.LBB188_112:                            ;   in Loop: Header=BB188_78 Depth=2
	v_mov_b32_e32 v101, 0
	v_dual_mov_b32 v102, 0 :: v_dual_mov_b32 v103, 0
	v_mov_b32_e32 v104, 0
	s_wait_alu 0xfffe
	s_and_saveexec_b32 s79, s18
	s_cbranch_execz .LBB188_114
; %bb.113:                              ;   in Loop: Header=BB188_78 Depth=2
	v_add_co_u32 v2, vcc_lo, v209, v182
	s_wait_alu 0xfffd
	v_add_co_ci_u32_e64 v3, null, 0, v210, vcc_lo
	flat_load_b128 v[101:104], v[2:3] offset:-8
.LBB188_114:                            ;   in Loop: Header=BB188_78 Depth=2
	s_wait_alu 0xfffe
	s_or_b32 exec_lo, exec_lo, s79
	ds_load_b128 v[109:112], v183
	ds_load_b128 v[105:108], v199 offset:512
	v_cmp_ne_u32_e32 vcc_lo, 1, v4
	s_and_b32 vcc_lo, exec_lo, vcc_lo
	s_wait_loadcnt_dscnt 0x1
	v_mul_f64_e32 v[2:3], v[79:80], v[111:112]
	v_mul_f64_e32 v[115:116], v[77:78], v[111:112]
	;; [unrolled: 1-line block ×5, first 2 shown]
	v_fma_f64 v[113:114], v[77:78], v[109:110], -v[2:3]
	v_mul_f64_e32 v[2:3], v[81:82], v[111:112]
	v_fma_f64 v[115:116], v[79:80], v[109:110], v[115:116]
	v_fma_f64 v[117:118], v[73:74], v[109:110], -v[117:118]
	v_fma_f64 v[119:120], v[75:76], v[109:110], v[119:120]
	v_fma_f64 v[121:122], v[81:82], v[109:110], -v[121:122]
	ds_store_b128 v200, v[113:116]
	ds_store_b128 v200, v[117:120] offset:1072
	v_fma_f64 v[123:124], v[83:84], v[109:110], v[2:3]
	v_mul_f64_e32 v[2:3], v[103:104], v[111:112]
	v_mul_f64_e32 v[111:112], v[101:102], v[111:112]
	s_delay_alu instid0(VALU_DEP_2) | instskip(NEXT) | instid1(VALU_DEP_2)
	v_fma_f64 v[125:126], v[101:102], v[109:110], -v[2:3]
	v_fma_f64 v[127:128], v[103:104], v[109:110], v[111:112]
	ds_load_b128 v[113:116], v199 offset:528
	ds_load_b128 v[109:112], v199 offset:544
	ds_store_b128 v200, v[121:124] offset:2144
	ds_load_b128 v[117:120], v199 offset:560
	v_add_co_u32 v2, s18, v248, v182
	s_wait_alu 0xf1ff
	v_add_co_ci_u32_e64 v3, null, 0, v249, s18
	ds_store_b128 v200, v[125:128] offset:3216
	s_wait_dscnt 0x0
	s_barrier_signal -1
	s_barrier_wait -1
	global_inv scope:SCOPE_SE
	ds_load_b128 v[169:172], v201
	ds_load_b128 v[165:168], v201 offset:16
	ds_load_b128 v[161:164], v201 offset:32
	;; [unrolled: 1-line block ×3, first 2 shown]
	s_wait_loadcnt_dscnt 0x0
	s_barrier_signal -1
	s_barrier_wait -1
	global_inv scope:SCOPE_SE
	s_wait_alu 0xfffe
	s_cbranch_vccnz .LBB188_122
; %bb.115:                              ;   in Loop: Header=BB188_78 Depth=2
	v_dual_mov_b32 v121, 0 :: v_dual_add_nc_u32 v4, 48, v198
	v_dual_mov_b32 v122, 0 :: v_dual_mov_b32 v125, 0
	v_dual_mov_b32 v126, 0 :: v_dual_mov_b32 v127, 0
	v_mov_b32_e32 v128, 0
	s_mov_b32 s18, exec_lo
	v_cmpx_gt_i32_e64 s78, v4
	s_cbranch_execz .LBB188_117
; %bb.116:                              ;   in Loop: Header=BB188_78 Depth=2
	flat_load_b128 v[125:128], v[2:3] offset:-8
.LBB188_117:                            ;   in Loop: Header=BB188_78 Depth=2
	s_wait_alu 0xfffe
	s_or_b32 exec_lo, exec_lo, s18
	v_dual_mov_b32 v123, 0 :: v_dual_add_nc_u32 v4, 49, v198
	v_mov_b32_e32 v124, 0
	s_mov_b32 s18, exec_lo
	s_delay_alu instid0(VALU_DEP_2)
	v_cmpx_gt_i32_e64 s78, v4
	s_cbranch_execz .LBB188_119
; %bb.118:                              ;   in Loop: Header=BB188_78 Depth=2
	v_add_co_u32 v121, vcc_lo, v252, v182
	s_wait_alu 0xfffd
	v_add_co_ci_u32_e64 v122, null, 0, v253, vcc_lo
	flat_load_b128 v[121:124], v[121:122] offset:-8
.LBB188_119:                            ;   in Loop: Header=BB188_78 Depth=2
	s_wait_alu 0xfffe
	s_or_b32 exec_lo, exec_lo, s18
	v_dual_mov_b32 v129, 0 :: v_dual_add_nc_u32 v4, 50, v198
	v_dual_mov_b32 v130, 0 :: v_dual_mov_b32 v131, 0
	v_mov_b32_e32 v132, 0
	s_mov_b32 s18, exec_lo
	s_delay_alu instid0(VALU_DEP_3)
	v_cmpx_gt_i32_e64 s78, v4
	s_cbranch_execz .LBB188_121
; %bb.120:                              ;   in Loop: Header=BB188_78 Depth=2
	v_add_co_u32 v129, vcc_lo, v205, v182
	s_wait_alu 0xfffd
	v_add_co_ci_u32_e64 v130, null, 0, v206, vcc_lo
	flat_load_b128 v[129:132], v[129:130]
.LBB188_121:                            ;   in Loop: Header=BB188_78 Depth=2
	s_wait_alu 0xfffe
	s_or_b32 exec_lo, exec_lo, s18
	v_add_nc_u32_e32 v4, 51, v198
	s_delay_alu instid0(VALU_DEP_1)
	v_cmp_gt_i32_e64 s18, s78, v4
	s_branch .LBB188_124
.LBB188_122:                            ;   in Loop: Header=BB188_78 Depth=2
	s_mov_b32 s18, 0
                                        ; implicit-def: $vgpr131_vgpr132
                                        ; implicit-def: $vgpr123_vgpr124
                                        ; implicit-def: $vgpr127_vgpr128
	s_cbranch_execz .LBB188_124
; %bb.123:                              ;   in Loop: Header=BB188_78 Depth=2
	s_wait_loadcnt_dscnt 0x0
	v_add_co_u32 v121, vcc_lo, v252, v182
	s_wait_alu 0xfffd
	v_add_co_ci_u32_e64 v122, null, 0, v253, vcc_lo
	v_add_co_u32 v129, vcc_lo, v205, v182
	s_wait_alu 0xfffd
	v_add_co_ci_u32_e64 v130, null, 0, v206, vcc_lo
	flat_load_b128 v[125:128], v[2:3] offset:-8
	flat_load_b128 v[121:124], v[121:122] offset:-8
	flat_load_b128 v[129:132], v[129:130]
	s_wait_alu 0xfffe
	s_or_b32 s18, s18, exec_lo
.LBB188_124:                            ;   in Loop: Header=BB188_78 Depth=2
	v_mov_b32_e32 v149, 0
	v_dual_mov_b32 v150, 0 :: v_dual_mov_b32 v151, 0
	v_mov_b32_e32 v152, 0
	s_wait_alu 0xfffe
	s_and_saveexec_b32 s79, s18
	s_cbranch_execz .LBB188_126
; %bb.125:                              ;   in Loop: Header=BB188_78 Depth=2
	v_add_co_u32 v2, vcc_lo, v244, v182
	s_wait_alu 0xfffd
	v_add_co_ci_u32_e64 v3, null, 0, v245, vcc_lo
	flat_load_b128 v[149:152], v[2:3] offset:-8
.LBB188_126:                            ;   in Loop: Header=BB188_78 Depth=2
	s_wait_alu 0xfffe
	s_or_b32 exec_lo, exec_lo, s79
	ds_load_b128 v[223:226], v183
	ds_load_b128 v[153:156], v199 offset:768
	v_cmp_gt_i32_e32 vcc_lo, s78, v181
	s_or_b32 s18, s71, vcc_lo
	s_wait_alu 0xfffe
	s_and_b32 s71, s17, s18
	s_wait_loadcnt_dscnt 0x1
	v_mul_f64_e32 v[2:3], v[127:128], v[225:226]
	v_mul_f64_e32 v[175:176], v[125:126], v[225:226]
	;; [unrolled: 1-line block ×3, first 2 shown]
	s_delay_alu instid0(VALU_DEP_3) | instskip(SKIP_1) | instid1(VALU_DEP_4)
	v_fma_f64 v[227:228], v[125:126], v[223:224], -v[2:3]
	v_mul_f64_e32 v[2:3], v[123:124], v[225:226]
	v_fma_f64 v[229:230], v[127:128], v[223:224], v[175:176]
	v_mul_f64_e32 v[175:176], v[121:122], v[225:226]
	v_fma_f64 v[177:178], v[151:152], v[223:224], v[177:178]
	s_delay_alu instid0(VALU_DEP_4) | instskip(SKIP_1) | instid1(VALU_DEP_4)
	v_fma_f64 v[231:232], v[121:122], v[223:224], -v[2:3]
	v_mul_f64_e32 v[2:3], v[131:132], v[225:226]
	v_fma_f64 v[233:234], v[123:124], v[223:224], v[175:176]
	v_mul_f64_e32 v[175:176], v[129:130], v[225:226]
	s_delay_alu instid0(VALU_DEP_3) | instskip(SKIP_1) | instid1(VALU_DEP_3)
	v_fma_f64 v[185:186], v[129:130], v[223:224], -v[2:3]
	v_mul_f64_e32 v[2:3], v[151:152], v[225:226]
	v_fma_f64 v[187:188], v[131:132], v[223:224], v[175:176]
	s_delay_alu instid0(VALU_DEP_2)
	v_fma_f64 v[175:176], v[149:150], v[223:224], -v[2:3]
	v_add_f64_e32 v[2:3], 0, v[169:170]
	v_add_f64_e32 v[169:170], 0, v[171:172]
	ds_store_b128 v200, v[227:230]
	ds_store_b128 v200, v[231:234] offset:1072
	ds_store_b128 v200, v[185:188] offset:2144
	;; [unrolled: 1-line block ×3, first 2 shown]
	v_add_f64_e32 v[2:3], v[2:3], v[165:166]
	v_add_f64_e32 v[165:166], v[169:170], v[167:168]
	s_delay_alu instid0(VALU_DEP_2) | instskip(NEXT) | instid1(VALU_DEP_2)
	v_add_f64_e32 v[2:3], v[2:3], v[161:162]
	v_add_f64_e32 v[161:162], v[165:166], v[163:164]
	s_delay_alu instid0(VALU_DEP_2) | instskip(SKIP_2) | instid1(VALU_DEP_4)
	v_add_f64_e32 v[157:158], v[2:3], v[157:158]
	v_add_f64_e32 v[2:3], 0, v[97:98]
	;; [unrolled: 1-line block ×4, first 2 shown]
	s_delay_alu instid0(VALU_DEP_3) | instskip(NEXT) | instid1(VALU_DEP_3)
	v_add_f64_e32 v[2:3], v[2:3], v[93:94]
	v_add_f64_e32 v[93:94], v[97:98], v[95:96]
	s_delay_alu instid0(VALU_DEP_2) | instskip(NEXT) | instid1(VALU_DEP_2)
	v_add_f64_e32 v[2:3], v[2:3], v[89:90]
	v_add_f64_e32 v[89:90], v[93:94], v[91:92]
	s_delay_alu instid0(VALU_DEP_2) | instskip(SKIP_2) | instid1(VALU_DEP_4)
	v_add_f64_e32 v[97:98], v[2:3], v[85:86]
	v_add_f64_e32 v[85:86], 0, v[147:148]
	;; [unrolled: 1-line block ×4, first 2 shown]
	s_delay_alu instid0(VALU_DEP_3) | instskip(NEXT) | instid1(VALU_DEP_3)
	v_add_f64_e32 v[85:86], v[85:86], v[143:144]
	v_add_f64_e32 v[2:3], v[2:3], v[141:142]
	s_delay_alu instid0(VALU_DEP_2) | instskip(NEXT) | instid1(VALU_DEP_2)
	v_add_f64_e32 v[85:86], v[85:86], v[139:140]
	v_add_f64_e32 v[2:3], v[2:3], v[137:138]
	s_delay_alu instid0(VALU_DEP_2)
	v_add_f64_e32 v[135:136], v[85:86], v[135:136]
	ds_load_b128 v[93:96], v199 offset:784
	ds_load_b128 v[89:92], v199 offset:800
	;; [unrolled: 1-line block ×3, first 2 shown]
	s_wait_dscnt 0x0
	s_barrier_signal -1
	s_barrier_wait -1
	global_inv scope:SCOPE_SE
	ds_load_b128 v[137:140], v201
	ds_load_b128 v[141:144], v201 offset:16
	v_add_f64_e32 v[133:134], v[2:3], v[133:134]
	s_wait_dscnt 0x1
	v_add_f64_e32 v[2:3], 0, v[137:138]
	v_add_f64_e32 v[137:138], 0, v[139:140]
	s_wait_dscnt 0x0
	s_delay_alu instid0(VALU_DEP_2) | instskip(NEXT) | instid1(VALU_DEP_2)
	v_add_f64_e32 v[2:3], v[2:3], v[141:142]
	v_add_f64_e32 v[145:146], v[137:138], v[143:144]
	ds_load_b128 v[137:140], v201 offset:32
	ds_load_b128 v[141:144], v201 offset:48
	s_wait_loadcnt_dscnt 0x0
	s_barrier_signal -1
	s_barrier_wait -1
	global_inv scope:SCOPE_SE
	ds_store_b128 v238, v[97:100]
	ds_store_b128 v238, v[133:136] offset:256
	ds_store_b128 v238, v[157:160] offset:512
	v_add_f64_e32 v[2:3], v[2:3], v[137:138]
	v_add_f64_e32 v[139:140], v[145:146], v[139:140]
	s_delay_alu instid0(VALU_DEP_2) | instskip(NEXT) | instid1(VALU_DEP_2)
	v_add_f64_e32 v[137:138], v[2:3], v[141:142]
	v_add_f64_e32 v[139:140], v[139:140], v[143:144]
	ds_store_b128 v238, v[137:140] offset:768
	s_wait_loadcnt_dscnt 0x0
	s_barrier_signal -1
	s_barrier_wait -1
	global_inv scope:SCOPE_SE
	s_wait_alu 0xfffe
	s_and_saveexec_b32 s18, s71
	s_cbranch_execz .LBB188_128
; %bb.127:                              ;   in Loop: Header=BB188_78 Depth=2
	ds_load_b128 v[97:100], v202
	ds_load_b128 v[133:136], v202 offset:16
	s_wait_dscnt 0x0
	v_add_f64_e32 v[2:3], v[133:134], v[97:98]
	v_add_f64_e32 v[137:138], v[135:136], v[99:100]
	ds_load_b128 v[97:100], v202 offset:32
	ds_load_b128 v[133:136], v202 offset:48
	s_wait_dscnt 0x1
	v_add_f64_e32 v[2:3], v[2:3], v[97:98]
	v_add_f64_e32 v[97:98], v[137:138], v[99:100]
	s_wait_dscnt 0x0
	s_delay_alu instid0(VALU_DEP_2) | instskip(NEXT) | instid1(VALU_DEP_2)
	v_add_f64_e32 v[2:3], v[2:3], v[133:134]
	v_add_f64_e32 v[137:138], v[97:98], v[135:136]
	ds_load_b128 v[97:100], v202 offset:64
	ds_load_b128 v[133:136], v202 offset:80
	s_wait_dscnt 0x1
	v_add_f64_e32 v[2:3], v[2:3], v[97:98]
	v_add_f64_e32 v[97:98], v[137:138], v[99:100]
	s_wait_dscnt 0x0
	s_delay_alu instid0(VALU_DEP_2) | instskip(NEXT) | instid1(VALU_DEP_2)
	v_add_f64_e32 v[2:3], v[2:3], v[133:134]
	v_add_f64_e32 v[137:138], v[97:98], v[135:136]
	ds_load_b128 v[97:100], v202 offset:96
	ds_load_b128 v[133:136], v202 offset:112
	s_wait_dscnt 0x1
	v_add_f64_e32 v[2:3], v[2:3], v[97:98]
	v_add_f64_e32 v[97:98], v[137:138], v[99:100]
	s_wait_dscnt 0x0
	s_delay_alu instid0(VALU_DEP_2) | instskip(NEXT) | instid1(VALU_DEP_2)
	v_add_f64_e32 v[2:3], v[2:3], v[133:134]
	v_add_f64_e32 v[137:138], v[97:98], v[135:136]
	ds_load_b128 v[97:100], v202 offset:128
	ds_load_b128 v[133:136], v202 offset:144
	s_wait_dscnt 0x1
	v_add_f64_e32 v[2:3], v[2:3], v[97:98]
	v_add_f64_e32 v[97:98], v[137:138], v[99:100]
	s_wait_dscnt 0x0
	s_delay_alu instid0(VALU_DEP_2) | instskip(NEXT) | instid1(VALU_DEP_2)
	v_add_f64_e32 v[2:3], v[2:3], v[133:134]
	v_add_f64_e32 v[137:138], v[97:98], v[135:136]
	ds_load_b128 v[97:100], v202 offset:160
	ds_load_b128 v[133:136], v202 offset:176
	s_wait_dscnt 0x1
	v_add_f64_e32 v[2:3], v[2:3], v[97:98]
	v_add_f64_e32 v[97:98], v[137:138], v[99:100]
	s_wait_dscnt 0x0
	s_delay_alu instid0(VALU_DEP_2) | instskip(NEXT) | instid1(VALU_DEP_2)
	v_add_f64_e32 v[2:3], v[2:3], v[133:134]
	v_add_f64_e32 v[137:138], v[97:98], v[135:136]
	ds_load_b128 v[97:100], v202 offset:192
	ds_load_b128 v[133:136], v202 offset:208
	s_wait_dscnt 0x1
	v_add_f64_e32 v[2:3], v[2:3], v[97:98]
	v_add_f64_e32 v[97:98], v[137:138], v[99:100]
	s_wait_dscnt 0x0
	s_delay_alu instid0(VALU_DEP_2) | instskip(NEXT) | instid1(VALU_DEP_2)
	v_add_f64_e32 v[2:3], v[2:3], v[133:134]
	v_add_f64_e32 v[137:138], v[97:98], v[135:136]
	ds_load_b128 v[97:100], v202 offset:224
	ds_load_b128 v[133:136], v203
	s_wait_dscnt 0x1
	v_add_f64_e32 v[2:3], v[2:3], v[97:98]
	v_add_f64_e32 v[99:100], v[137:138], v[99:100]
	s_wait_dscnt 0x0
	s_delay_alu instid0(VALU_DEP_2) | instskip(NEXT) | instid1(VALU_DEP_2)
	v_add_f64_e32 v[97:98], v[2:3], v[133:134]
	v_add_f64_e32 v[99:100], v[99:100], v[135:136]
	v_add_nc_u32_e32 v2, s70, v181
	s_delay_alu instid0(VALU_DEP_1) | instskip(NEXT) | instid1(VALU_DEP_1)
	v_ashrrev_i32_e32 v3, 31, v2
	v_lshlrev_b64_e32 v[2:3], 4, v[2:3]
	s_delay_alu instid0(VALU_DEP_1) | instskip(SKIP_1) | instid1(VALU_DEP_2)
	v_add_co_u32 v2, vcc_lo, s68, v2
	s_wait_alu 0xfffd
	v_add_co_ci_u32_e64 v3, null, s69, v3, vcc_lo
	global_store_b128 v[2:3], v[97:100], off
.LBB188_128:                            ;   in Loop: Header=BB188_78 Depth=2
	s_wait_alu 0xfffe
	s_or_b32 exec_lo, exec_lo, s18
	v_mul_f64_e32 v[2:3], v[15:16], v[27:28]
	v_add_co_u32 v242, vcc_lo, v242, s58
	s_wait_alu 0xfffd
	v_add_co_ci_u32_e64 v243, null, s59, v243, vcc_lo
	v_add_co_u32 v244, vcc_lo, v244, s58
	s_wait_alu 0xfffd
	v_add_co_ci_u32_e64 v245, null, s59, v245, vcc_lo
	;; [unrolled: 3-line block ×9, first 2 shown]
	v_add_co_u32 v209, vcc_lo, v209, s58
	v_fma_f64 v[2:3], v[13:14], v[25:26], -v[2:3]
	v_mul_f64_e32 v[13:14], v[13:14], v[27:28]
	v_mul_f64_e32 v[27:28], v[43:44], v[71:72]
	s_wait_alu 0xfffd
	v_add_co_ci_u32_e64 v210, null, s59, v210, vcc_lo
	v_add_co_u32 v211, vcc_lo, v211, s58
	s_wait_alu 0xfffd
	v_add_co_ci_u32_e64 v212, null, s59, v212, vcc_lo
	v_add_co_u32 v213, vcc_lo, v213, s58
	;; [unrolled: 3-line block ×6, first 2 shown]
	s_wait_alu 0xfffd
	v_add_co_ci_u32_e64 v222, null, s59, v222, vcc_lo
	s_add_co_i32 s71, s77, 2
	s_add_co_i32 s18, s77, 1
	;; [unrolled: 1-line block ×3, first 2 shown]
	s_wait_alu 0xfffe
	s_cmp_ge_u32 s71, s42
	s_wait_loadcnt 0x0
	s_wait_storecnt 0x0
	s_barrier_signal -1
	s_barrier_wait -1
	global_inv scope:SCOPE_SE
	v_add_f64_e32 v[2:3], v[5:6], v[2:3]
	v_fma_f64 v[13:14], v[15:16], v[25:26], v[13:14]
	v_mul_f64_e32 v[15:16], v[11:12], v[39:40]
	v_mul_f64_e32 v[25:26], v[45:46], v[59:60]
	v_fma_f64 v[27:28], v[41:42], v[69:70], -v[27:28]
	s_delay_alu instid0(VALU_DEP_4) | instskip(NEXT) | instid1(VALU_DEP_4)
	v_add_f64_e32 v[4:5], v[7:8], v[13:14]
	v_fma_f64 v[15:16], v[9:10], v[37:38], -v[15:16]
	v_mul_f64_e32 v[9:10], v[9:10], v[39:40]
	v_fma_f64 v[25:26], v[47:48], v[57:58], v[25:26]
	v_mul_f64_e32 v[39:40], v[79:80], v[107:108]
	s_delay_alu instid0(VALU_DEP_4) | instskip(NEXT) | instid1(VALU_DEP_4)
	v_add_f64_e32 v[2:3], v[2:3], v[15:16]
	v_fma_f64 v[9:10], v[11:12], v[37:38], v[9:10]
	v_mul_f64_e32 v[11:12], v[19:20], v[35:36]
	v_mul_f64_e32 v[37:38], v[53:54], v[63:64]
	v_fma_f64 v[39:40], v[77:78], v[105:106], -v[39:40]
	s_delay_alu instid0(VALU_DEP_4) | instskip(NEXT) | instid1(VALU_DEP_4)
	v_add_f64_e32 v[4:5], v[4:5], v[9:10]
	v_fma_f64 v[11:12], v[17:18], v[33:34], -v[11:12]
	v_mul_f64_e32 v[17:18], v[17:18], v[35:36]
	v_mul_f64_e32 v[35:36], v[55:56], v[63:64]
	v_fma_f64 v[37:38], v[55:56], v[61:62], v[37:38]
	v_mul_f64_e32 v[55:56], v[127:128], v[155:156]
	v_mul_f64_e32 v[63:64], v[131:132], v[91:92]
	v_add_f64_e32 v[2:3], v[2:3], v[11:12]
	v_fma_f64 v[17:18], v[19:20], v[33:34], v[17:18]
	v_mul_f64_e32 v[19:20], v[23:24], v[31:32]
	v_mul_f64_e32 v[33:34], v[49:50], v[67:68]
	v_fma_f64 v[35:36], v[53:54], v[61:62], -v[35:36]
	v_mul_f64_e32 v[53:54], v[101:102], v[119:120]
	v_fma_f64 v[55:56], v[125:126], v[153:154], -v[55:56]
	;; [unrolled: 2-line block ×3, first 2 shown]
	v_add_f64_e32 v[4:5], v[4:5], v[17:18]
	v_fma_f64 v[19:20], v[21:22], v[29:30], -v[19:20]
	v_mul_f64_e32 v[21:22], v[21:22], v[31:32]
	v_mul_f64_e32 v[31:32], v[51:52], v[67:68]
	v_fma_f64 v[33:34], v[51:52], v[65:66], v[33:34]
	v_mul_f64_e32 v[51:52], v[103:104], v[119:120]
	v_fma_f64 v[53:54], v[103:104], v[117:118], v[53:54]
	v_fma_f64 v[61:62], v[123:124], v[93:94], v[61:62]
	v_mul_f64_e32 v[67:68], v[151:152], v[87:88]
	v_add_f64_e32 v[2:3], v[2:3], v[19:20]
	v_fma_f64 v[21:22], v[23:24], v[29:30], v[21:22]
	v_mul_f64_e32 v[23:24], v[47:48], v[59:60]
	v_mul_f64_e32 v[29:30], v[41:42], v[71:72]
	v_fma_f64 v[31:32], v[49:50], v[65:66], -v[31:32]
	v_mul_f64_e32 v[41:42], v[77:78], v[107:108]
	v_mul_f64_e32 v[47:48], v[83:84], v[111:112]
	v_mul_f64_e32 v[49:50], v[81:82], v[111:112]
	v_fma_f64 v[51:52], v[101:102], v[117:118], -v[51:52]
	v_mul_f64_e32 v[59:60], v[123:124], v[95:96]
	v_mul_f64_e32 v[65:66], v[129:130], v[91:92]
	v_fma_f64 v[67:68], v[149:150], v[85:86], -v[67:68]
	v_add_f64_e32 v[4:5], v[4:5], v[21:22]
	v_fma_f64 v[23:24], v[45:46], v[57:58], -v[23:24]
	v_fma_f64 v[29:30], v[43:44], v[69:70], v[29:30]
	v_mul_f64_e32 v[43:44], v[75:76], v[115:116]
	v_fma_f64 v[41:42], v[79:80], v[105:106], v[41:42]
	v_mul_f64_e32 v[45:46], v[73:74], v[115:116]
	v_fma_f64 v[47:48], v[81:82], v[109:110], -v[47:48]
	v_fma_f64 v[49:50], v[83:84], v[109:110], v[49:50]
	v_mul_f64_e32 v[57:58], v[125:126], v[155:156]
	v_fma_f64 v[59:60], v[121:122], v[93:94], -v[59:60]
	v_fma_f64 v[65:66], v[131:132], v[89:90], v[65:66]
	v_mul_f64_e32 v[69:70], v[149:150], v[87:88]
	v_add_f64_e32 v[4:5], v[4:5], v[25:26]
	v_add_f64_e32 v[2:3], v[2:3], v[23:24]
	v_fma_f64 v[43:44], v[73:74], v[113:114], -v[43:44]
	v_fma_f64 v[45:46], v[75:76], v[113:114], v[45:46]
	v_fma_f64 v[57:58], v[127:128], v[153:154], v[57:58]
	;; [unrolled: 1-line block ×3, first 2 shown]
	v_add_f64_e32 v[4:5], v[4:5], v[29:30]
	v_add_f64_e32 v[2:3], v[2:3], v[27:28]
	s_delay_alu instid0(VALU_DEP_2) | instskip(NEXT) | instid1(VALU_DEP_2)
	v_add_f64_e32 v[4:5], v[4:5], v[33:34]
	v_add_f64_e32 v[2:3], v[2:3], v[31:32]
	s_delay_alu instid0(VALU_DEP_2) | instskip(NEXT) | instid1(VALU_DEP_2)
	;; [unrolled: 3-line block ×10, first 2 shown]
	v_add_f64_e32 v[7:8], v[7:8], v[69:70]
	v_add_f64_e32 v[5:6], v[2:3], v[67:68]
	s_cbranch_scc1 .LBB188_130
; %bb.129:                              ;   in Loop: Header=BB188_78 Depth=2
	s_mov_b32 s77, s18
	s_delay_alu instid0(SALU_CYCLE_1)
	s_cmp_eq_u32 s74, s77
	s_cselect_b32 s78, s33, 0
	s_and_saveexec_b32 s18, s0
	s_cbranch_execnz .LBB188_74
	s_branch .LBB188_78
.LBB188_130:                            ;   in Loop: Header=BB188_4 Depth=1
	scratch_load_b32 v2, off, off           ; 4-byte Folded Reload
	s_wait_loadcnt 0x0
	ds_store_b128 v2, v[5:8]
	s_wait_dscnt 0x0
	s_barrier_signal -1
	s_barrier_wait -1
	global_inv scope:SCOPE_SE
	s_and_saveexec_b32 s18, s75
	s_cbranch_execz .LBB188_2
; %bb.131:                              ;   in Loop: Header=BB188_4 Depth=1
	ds_load_b128 v[2:5], v182 offset:1072
	ds_load_b128 v[6:9], v182
	s_wait_dscnt 0x0
	v_add_f64_e32 v[10:11], v[2:3], v[6:7]
	v_add_f64_e32 v[12:13], v[4:5], v[8:9]
	ds_load_b128 v[2:5], v182 offset:2144
	ds_load_b128 v[6:9], v182 offset:3216
	s_wait_dscnt 0x1
	v_add_f64_e32 v[2:3], v[10:11], v[2:3]
	v_add_f64_e32 v[4:5], v[12:13], v[4:5]
	s_wait_dscnt 0x0
	s_delay_alu instid0(VALU_DEP_2)
	v_add_f64_e32 v[2:3], v[2:3], v[6:7]
	scratch_load_b64 v[6:7], off, off offset:136 ; 8-byte Folded Reload
	v_add_f64_e32 v[4:5], v[4:5], v[8:9]
	s_wait_loadcnt 0x0
	s_wait_alu 0xfffe
	v_add_co_u32 v6, vcc_lo, s68, v6
	s_wait_alu 0xfffd
	v_add_co_ci_u32_e64 v7, null, s69, v7, vcc_lo
	global_store_b128 v[6:7], v[2:5], off
	s_branch .LBB188_2
.LBB188_132:                            ;   in Loop: Header=BB188_4 Depth=1
	ds_load_b128 v[4:7], v189
	s_wait_dscnt 0x0
	ds_store_b128 v237, v[4:7]
	s_wait_alu 0xfffe
	s_or_b32 exec_lo, exec_lo, s18
	s_and_saveexec_b32 s18, s7
	s_cbranch_execz .LBB188_28
.LBB188_133:                            ;   in Loop: Header=BB188_4 Depth=1
	ds_load_b128 v[4:7], v190
	v_add_nc_u32_e32 v8, 16, v237
	s_wait_dscnt 0x0
	ds_store_b128 v8, v[4:7]
	s_wait_alu 0xfffe
	s_or_b32 exec_lo, exec_lo, s18
	s_and_saveexec_b32 s18, s8
	s_cbranch_execz .LBB188_29
.LBB188_134:                            ;   in Loop: Header=BB188_4 Depth=1
	ds_load_b128 v[4:7], v191
	v_add_nc_u32_e32 v8, 32, v237
	s_wait_dscnt 0x0
	ds_store_b128 v8, v[4:7]
	s_wait_alu 0xfffe
	s_or_b32 exec_lo, exec_lo, s18
	s_and_saveexec_b32 s18, s9
	s_cbranch_execnz .LBB188_30
	s_branch .LBB188_31
.LBB188_135:                            ;   in Loop: Header=BB188_4 Depth=1
	ds_load_b128 v[11:14], v189
	s_wait_dscnt 0x0
	ds_store_b128 v196, v[11:14]
	s_wait_alu 0xfffe
	s_or_b32 exec_lo, exec_lo, s18
	s_and_saveexec_b32 s18, s7
	s_cbranch_execz .LBB188_49
.LBB188_136:                            ;   in Loop: Header=BB188_4 Depth=1
	ds_load_b128 v[11:14], v190
	v_add_nc_u32_e32 v2, 16, v196
	s_wait_dscnt 0x0
	ds_store_b128 v2, v[11:14]
	s_wait_alu 0xfffe
	s_or_b32 exec_lo, exec_lo, s18
	s_and_saveexec_b32 s18, s8
	s_cbranch_execz .LBB188_50
.LBB188_137:                            ;   in Loop: Header=BB188_4 Depth=1
	ds_load_b128 v[11:14], v191
	v_add_nc_u32_e32 v2, 32, v196
	s_wait_dscnt 0x0
	ds_store_b128 v2, v[11:14]
	s_wait_alu 0xfffe
	s_or_b32 exec_lo, exec_lo, s18
	s_and_saveexec_b32 s18, s9
	s_cbranch_execnz .LBB188_51
	s_branch .LBB188_52
.LBB188_138:                            ;   in Loop: Header=BB188_4 Depth=1
	flat_load_b128 v[9:12], v[7:8]
	s_wait_loadcnt_dscnt 0x0
	ds_store_2addr_b64 v184, v[9:10], v[11:12] offset1:1
	s_or_b32 exec_lo, exec_lo, s18
	s_and_saveexec_b32 s18, s3
	s_wait_alu 0xfffe
	s_xor_b32 s18, exec_lo, s18
	s_cbranch_execz .LBB188_17
.LBB188_139:                            ;   in Loop: Header=BB188_4 Depth=1
	v_dual_mov_b32 v2, v1 :: v_dual_mov_b32 v3, v1
	v_dual_mov_b32 v4, v1 :: v_dual_add_nc_u32 v9, 0x1080, v184
	ds_store_b128 v9, v[1:4]
	s_wait_alu 0xfffe
	s_and_not1_saveexec_b32 s18, s18
	s_cbranch_execz .LBB188_18
.LBB188_140:                            ;   in Loop: Header=BB188_4 Depth=1
	v_add_co_u32 v2, vcc_lo, v7, s50
	s_wait_alu 0xfffd
	v_add_co_ci_u32_e64 v3, null, s51, v8, vcc_lo
	flat_load_b128 v[9:12], v[2:3]
	v_add_nc_u32_e32 v2, 0x1080, v184
	s_wait_loadcnt_dscnt 0x0
	ds_store_2addr_b64 v2, v[9:10], v[11:12] offset1:1
	s_wait_alu 0xfffe
	s_or_b32 exec_lo, exec_lo, s18
	s_and_saveexec_b32 s18, s4
	s_wait_alu 0xfffe
	s_xor_b32 s18, exec_lo, s18
	s_cbranch_execz .LBB188_19
.LBB188_141:                            ;   in Loop: Header=BB188_4 Depth=1
	v_dual_mov_b32 v2, v1 :: v_dual_mov_b32 v3, v1
	v_dual_mov_b32 v4, v1 :: v_dual_add_nc_u32 v9, 0x2100, v184
	ds_store_b128 v9, v[1:4]
	s_wait_alu 0xfffe
	s_and_not1_saveexec_b32 s18, s18
	s_cbranch_execz .LBB188_20
.LBB188_142:                            ;   in Loop: Header=BB188_4 Depth=1
	v_add_co_u32 v2, vcc_lo, v7, s52
	s_wait_alu 0xfffd
	v_add_co_ci_u32_e64 v3, null, s53, v8, vcc_lo
	flat_load_b128 v[9:12], v[2:3]
	v_add_nc_u32_e32 v2, 0x2100, v184
	s_wait_loadcnt_dscnt 0x0
	ds_store_2addr_b64 v2, v[9:10], v[11:12] offset1:1
	s_wait_alu 0xfffe
	s_or_b32 exec_lo, exec_lo, s18
	s_and_saveexec_b32 s18, s5
	s_wait_alu 0xfffe
	s_xor_b32 s18, exec_lo, s18
	s_cbranch_execz .LBB188_21
.LBB188_143:                            ;   in Loop: Header=BB188_4 Depth=1
	v_dual_mov_b32 v2, v1 :: v_dual_mov_b32 v3, v1
	v_mov_b32_e32 v4, v1
	ds_store_b128 v204, v[1:4]
	s_wait_alu 0xfffe
	s_and_not1_saveexec_b32 s18, s18
	s_cbranch_execnz .LBB188_22
	s_branch .LBB188_23
.LBB188_144:                            ;   in Loop: Header=BB188_4 Depth=1
	flat_load_b128 v[15:18], v[9:10]
	s_wait_loadcnt_dscnt 0x0
	ds_store_2addr_b64 v184, v[15:16], v[17:18] offset1:1
	s_or_b32 exec_lo, exec_lo, s18
	s_and_saveexec_b32 s18, s13
	s_wait_alu 0xfffe
	s_xor_b32 s18, exec_lo, s18
	s_cbranch_execz .LBB188_38
.LBB188_145:                            ;   in Loop: Header=BB188_4 Depth=1
	v_dual_mov_b32 v2, v1 :: v_dual_mov_b32 v3, v1
	v_dual_mov_b32 v4, v1 :: v_dual_add_nc_u32 v15, 0x1080, v184
	ds_store_b128 v15, v[1:4]
	s_wait_alu 0xfffe
	s_and_not1_saveexec_b32 s18, s18
	s_cbranch_execz .LBB188_39
.LBB188_146:                            ;   in Loop: Header=BB188_4 Depth=1
	v_add_co_u32 v2, vcc_lo, v9, s50
	s_wait_alu 0xfffd
	v_add_co_ci_u32_e64 v3, null, s51, v10, vcc_lo
	flat_load_b128 v[15:18], v[2:3]
	v_add_nc_u32_e32 v2, 0x1080, v184
	s_wait_loadcnt_dscnt 0x0
	ds_store_2addr_b64 v2, v[15:16], v[17:18] offset1:1
	s_wait_alu 0xfffe
	s_or_b32 exec_lo, exec_lo, s18
	s_and_saveexec_b32 s18, s14
	s_wait_alu 0xfffe
	s_xor_b32 s18, exec_lo, s18
	s_cbranch_execz .LBB188_40
.LBB188_147:                            ;   in Loop: Header=BB188_4 Depth=1
	v_dual_mov_b32 v2, v1 :: v_dual_mov_b32 v3, v1
	v_dual_mov_b32 v4, v1 :: v_dual_add_nc_u32 v15, 0x2100, v184
	ds_store_b128 v15, v[1:4]
	s_wait_alu 0xfffe
	s_and_not1_saveexec_b32 s18, s18
	s_cbranch_execz .LBB188_41
.LBB188_148:                            ;   in Loop: Header=BB188_4 Depth=1
	v_add_co_u32 v2, vcc_lo, v9, s52
	s_wait_alu 0xfffd
	v_add_co_ci_u32_e64 v3, null, s53, v10, vcc_lo
	flat_load_b128 v[15:18], v[2:3]
	v_add_nc_u32_e32 v2, 0x2100, v184
	s_wait_loadcnt_dscnt 0x0
	ds_store_2addr_b64 v2, v[15:16], v[17:18] offset1:1
	s_wait_alu 0xfffe
	s_or_b32 exec_lo, exec_lo, s18
	s_and_saveexec_b32 s18, s15
	s_wait_alu 0xfffe
	s_xor_b32 s18, exec_lo, s18
	s_cbranch_execz .LBB188_42
.LBB188_149:                            ;   in Loop: Header=BB188_4 Depth=1
	v_dual_mov_b32 v2, v1 :: v_dual_mov_b32 v3, v1
	v_mov_b32_e32 v4, v1
	ds_store_b128 v204, v[1:4]
	s_wait_alu 0xfffe
	s_and_not1_saveexec_b32 s18, s18
	s_cbranch_execnz .LBB188_43
	s_branch .LBB188_44
.LBB188_150:                            ;   in Loop: Header=BB188_4 Depth=1
	flat_load_b128 v[15:18], v[13:14]
	s_wait_loadcnt_dscnt 0x0
	ds_store_2addr_b64 v184, v[15:16], v[17:18] offset1:1
	s_or_b32 exec_lo, exec_lo, s18
	s_and_saveexec_b32 s18, s13
	s_wait_alu 0xfffe
	s_xor_b32 s18, exec_lo, s18
	s_cbranch_execz .LBB188_59
.LBB188_151:                            ;   in Loop: Header=BB188_4 Depth=1
	v_dual_mov_b32 v2, v1 :: v_dual_mov_b32 v3, v1
	v_dual_mov_b32 v4, v1 :: v_dual_add_nc_u32 v15, 0x1080, v184
	ds_store_b128 v15, v[1:4]
	s_wait_alu 0xfffe
	s_and_not1_saveexec_b32 s18, s18
	s_cbranch_execz .LBB188_60
.LBB188_152:                            ;   in Loop: Header=BB188_4 Depth=1
	v_add_co_u32 v2, vcc_lo, v13, s50
	s_wait_alu 0xfffd
	v_add_co_ci_u32_e64 v3, null, s51, v14, vcc_lo
	flat_load_b128 v[15:18], v[2:3]
	v_add_nc_u32_e32 v2, 0x1080, v184
	s_wait_loadcnt_dscnt 0x0
	ds_store_2addr_b64 v2, v[15:16], v[17:18] offset1:1
	s_wait_alu 0xfffe
	s_or_b32 exec_lo, exec_lo, s18
	s_and_saveexec_b32 s18, s14
	s_wait_alu 0xfffe
	s_xor_b32 s18, exec_lo, s18
	s_cbranch_execz .LBB188_61
.LBB188_153:                            ;   in Loop: Header=BB188_4 Depth=1
	v_dual_mov_b32 v2, v1 :: v_dual_mov_b32 v3, v1
	v_dual_mov_b32 v4, v1 :: v_dual_add_nc_u32 v15, 0x2100, v184
	ds_store_b128 v15, v[1:4]
	s_wait_alu 0xfffe
	s_and_not1_saveexec_b32 s18, s18
	s_cbranch_execz .LBB188_62
.LBB188_154:                            ;   in Loop: Header=BB188_4 Depth=1
	v_add_co_u32 v2, vcc_lo, v13, s52
	s_wait_alu 0xfffd
	v_add_co_ci_u32_e64 v3, null, s53, v14, vcc_lo
	flat_load_b128 v[15:18], v[2:3]
	v_add_nc_u32_e32 v2, 0x2100, v184
	s_wait_loadcnt_dscnt 0x0
	ds_store_2addr_b64 v2, v[15:16], v[17:18] offset1:1
	s_wait_alu 0xfffe
	s_or_b32 exec_lo, exec_lo, s18
	s_and_saveexec_b32 s18, s15
	s_wait_alu 0xfffe
	s_xor_b32 s18, exec_lo, s18
	s_cbranch_execz .LBB188_63
.LBB188_155:                            ;   in Loop: Header=BB188_4 Depth=1
	v_dual_mov_b32 v2, v1 :: v_dual_mov_b32 v3, v1
	v_mov_b32_e32 v4, v1
	ds_store_b128 v204, v[1:4]
	s_wait_alu 0xfffe
	s_and_not1_saveexec_b32 s18, s18
	s_cbranch_execnz .LBB188_64
	s_branch .LBB188_65
.LBB188_156:
	s_nop 0
	s_sendmsg sendmsg(MSG_DEALLOC_VGPRS)
	s_endpgm
	.section	.rodata,"a",@progbits
	.p2align	6, 0x0
	.amdhsa_kernel _ZL26rocblas_hemvn_kernel_upperILb0ELi64ELi4ELi33ELi32ELi16ElPK19rocblas_complex_numIdEPKS3_PS1_EviT6_lT7_lT5_lS8_lS9_lS7_lT8_i
		.amdhsa_group_segment_fixed_size 19200
		.amdhsa_private_segment_fixed_size 148
		.amdhsa_kernarg_size 376
		.amdhsa_user_sgpr_count 2
		.amdhsa_user_sgpr_dispatch_ptr 0
		.amdhsa_user_sgpr_queue_ptr 0
		.amdhsa_user_sgpr_kernarg_segment_ptr 1
		.amdhsa_user_sgpr_dispatch_id 0
		.amdhsa_user_sgpr_private_segment_size 0
		.amdhsa_wavefront_size32 1
		.amdhsa_uses_dynamic_stack 0
		.amdhsa_enable_private_segment 1
		.amdhsa_system_sgpr_workgroup_id_x 1
		.amdhsa_system_sgpr_workgroup_id_y 0
		.amdhsa_system_sgpr_workgroup_id_z 1
		.amdhsa_system_sgpr_workgroup_info 0
		.amdhsa_system_vgpr_workitem_id 1
		.amdhsa_next_free_vgpr 256
		.amdhsa_next_free_sgpr 82
		.amdhsa_reserve_vcc 1
		.amdhsa_float_round_mode_32 0
		.amdhsa_float_round_mode_16_64 0
		.amdhsa_float_denorm_mode_32 3
		.amdhsa_float_denorm_mode_16_64 3
		.amdhsa_fp16_overflow 0
		.amdhsa_workgroup_processor_mode 1
		.amdhsa_memory_ordered 1
		.amdhsa_forward_progress 1
		.amdhsa_inst_pref_size 107
		.amdhsa_round_robin_scheduling 0
		.amdhsa_exception_fp_ieee_invalid_op 0
		.amdhsa_exception_fp_denorm_src 0
		.amdhsa_exception_fp_ieee_div_zero 0
		.amdhsa_exception_fp_ieee_overflow 0
		.amdhsa_exception_fp_ieee_underflow 0
		.amdhsa_exception_fp_ieee_inexact 0
		.amdhsa_exception_int_div_zero 0
	.end_amdhsa_kernel
	.section	.text._ZL26rocblas_hemvn_kernel_upperILb0ELi64ELi4ELi33ELi32ELi16ElPK19rocblas_complex_numIdEPKS3_PS1_EviT6_lT7_lT5_lS8_lS9_lS7_lT8_i,"axG",@progbits,_ZL26rocblas_hemvn_kernel_upperILb0ELi64ELi4ELi33ELi32ELi16ElPK19rocblas_complex_numIdEPKS3_PS1_EviT6_lT7_lT5_lS8_lS9_lS7_lT8_i,comdat
.Lfunc_end188:
	.size	_ZL26rocblas_hemvn_kernel_upperILb0ELi64ELi4ELi33ELi32ELi16ElPK19rocblas_complex_numIdEPKS3_PS1_EviT6_lT7_lT5_lS8_lS9_lS7_lT8_i, .Lfunc_end188-_ZL26rocblas_hemvn_kernel_upperILb0ELi64ELi4ELi33ELi32ELi16ElPK19rocblas_complex_numIdEPKS3_PS1_EviT6_lT7_lT5_lS8_lS9_lS7_lT8_i
                                        ; -- End function
	.set _ZL26rocblas_hemvn_kernel_upperILb0ELi64ELi4ELi33ELi32ELi16ElPK19rocblas_complex_numIdEPKS3_PS1_EviT6_lT7_lT5_lS8_lS9_lS7_lT8_i.num_vgpr, 256
	.set _ZL26rocblas_hemvn_kernel_upperILb0ELi64ELi4ELi33ELi32ELi16ElPK19rocblas_complex_numIdEPKS3_PS1_EviT6_lT7_lT5_lS8_lS9_lS7_lT8_i.num_agpr, 0
	.set _ZL26rocblas_hemvn_kernel_upperILb0ELi64ELi4ELi33ELi32ELi16ElPK19rocblas_complex_numIdEPKS3_PS1_EviT6_lT7_lT5_lS8_lS9_lS7_lT8_i.numbered_sgpr, 82
	.set _ZL26rocblas_hemvn_kernel_upperILb0ELi64ELi4ELi33ELi32ELi16ElPK19rocblas_complex_numIdEPKS3_PS1_EviT6_lT7_lT5_lS8_lS9_lS7_lT8_i.num_named_barrier, 0
	.set _ZL26rocblas_hemvn_kernel_upperILb0ELi64ELi4ELi33ELi32ELi16ElPK19rocblas_complex_numIdEPKS3_PS1_EviT6_lT7_lT5_lS8_lS9_lS7_lT8_i.private_seg_size, 148
	.set _ZL26rocblas_hemvn_kernel_upperILb0ELi64ELi4ELi33ELi32ELi16ElPK19rocblas_complex_numIdEPKS3_PS1_EviT6_lT7_lT5_lS8_lS9_lS7_lT8_i.uses_vcc, 1
	.set _ZL26rocblas_hemvn_kernel_upperILb0ELi64ELi4ELi33ELi32ELi16ElPK19rocblas_complex_numIdEPKS3_PS1_EviT6_lT7_lT5_lS8_lS9_lS7_lT8_i.uses_flat_scratch, 1
	.set _ZL26rocblas_hemvn_kernel_upperILb0ELi64ELi4ELi33ELi32ELi16ElPK19rocblas_complex_numIdEPKS3_PS1_EviT6_lT7_lT5_lS8_lS9_lS7_lT8_i.has_dyn_sized_stack, 0
	.set _ZL26rocblas_hemvn_kernel_upperILb0ELi64ELi4ELi33ELi32ELi16ElPK19rocblas_complex_numIdEPKS3_PS1_EviT6_lT7_lT5_lS8_lS9_lS7_lT8_i.has_recursion, 0
	.set _ZL26rocblas_hemvn_kernel_upperILb0ELi64ELi4ELi33ELi32ELi16ElPK19rocblas_complex_numIdEPKS3_PS1_EviT6_lT7_lT5_lS8_lS9_lS7_lT8_i.has_indirect_call, 0
	.section	.AMDGPU.csdata,"",@progbits
; Kernel info:
; codeLenInByte = 13624
; TotalNumSgprs: 84
; NumVgprs: 256
; ScratchSize: 148
; MemoryBound: 1
; FloatMode: 240
; IeeeMode: 1
; LDSByteSize: 19200 bytes/workgroup (compile time only)
; SGPRBlocks: 0
; VGPRBlocks: 31
; NumSGPRsForWavesPerEU: 84
; NumVGPRsForWavesPerEU: 256
; Occupancy: 5
; WaveLimiterHint : 0
; COMPUTE_PGM_RSRC2:SCRATCH_EN: 1
; COMPUTE_PGM_RSRC2:USER_SGPR: 2
; COMPUTE_PGM_RSRC2:TRAP_HANDLER: 0
; COMPUTE_PGM_RSRC2:TGID_X_EN: 1
; COMPUTE_PGM_RSRC2:TGID_Y_EN: 0
; COMPUTE_PGM_RSRC2:TGID_Z_EN: 1
; COMPUTE_PGM_RSRC2:TIDIG_COMP_CNT: 1
	.section	.text._ZL26rocblas_hemvn_kernel_upperILb0ELi64ELi4ELi33ELi32ELi16EiPK19rocblas_complex_numIdEPKS3_PS1_EviT6_lT7_lT5_lS8_lS9_lS7_lT8_i,"axG",@progbits,_ZL26rocblas_hemvn_kernel_upperILb0ELi64ELi4ELi33ELi32ELi16EiPK19rocblas_complex_numIdEPKS3_PS1_EviT6_lT7_lT5_lS8_lS9_lS7_lT8_i,comdat
	.globl	_ZL26rocblas_hemvn_kernel_upperILb0ELi64ELi4ELi33ELi32ELi16EiPK19rocblas_complex_numIdEPKS3_PS1_EviT6_lT7_lT5_lS8_lS9_lS7_lT8_i ; -- Begin function _ZL26rocblas_hemvn_kernel_upperILb0ELi64ELi4ELi33ELi32ELi16EiPK19rocblas_complex_numIdEPKS3_PS1_EviT6_lT7_lT5_lS8_lS9_lS7_lT8_i
	.p2align	8
	.type	_ZL26rocblas_hemvn_kernel_upperILb0ELi64ELi4ELi33ELi32ELi16EiPK19rocblas_complex_numIdEPKS3_PS1_EviT6_lT7_lT5_lS8_lS9_lS7_lT8_i,@function
_ZL26rocblas_hemvn_kernel_upperILb0ELi64ELi4ELi33ELi32ELi16EiPK19rocblas_complex_numIdEPKS3_PS1_EviT6_lT7_lT5_lS8_lS9_lS7_lT8_i: ; @_ZL26rocblas_hemvn_kernel_upperILb0ELi64ELi4ELi33ELi32ELi16EiPK19rocblas_complex_numIdEPKS3_PS1_EviT6_lT7_lT5_lS8_lS9_lS7_lT8_i
; %bb.0:
	s_clause 0x1
	s_load_b64 s[2:3], s[0:1], 0x84
	s_load_b32 s33, s[0:1], 0x70
	s_lshr_b32 s34, ttmp7, 16
	s_wait_kmcnt 0x0
	s_lshr_b32 s4, s2, 16
	s_and_b32 s2, s2, 0xffff
	s_and_b32 s3, s3, 0xffff
	s_mul_i32 s2, s4, s2
	s_delay_alu instid0(SALU_CYCLE_1) | instskip(NEXT) | instid1(SALU_CYCLE_1)
	s_mul_i32 s2, s2, s3
	s_cmp_lg_u32 s2, 0x100
	s_cselect_b32 s2, -1, 0
	s_cmp_ge_u32 s34, s33
	s_cselect_b32 s3, -1, 0
	s_delay_alu instid0(SALU_CYCLE_1) | instskip(NEXT) | instid1(SALU_CYCLE_1)
	s_or_b32 s2, s2, s3
	s_and_b32 vcc_lo, exec_lo, s2
	s_cbranch_vccnz .LBB189_156
; %bb.1:
	s_clause 0x1
	s_load_b32 s2, s[0:1], 0x0
	s_load_b32 s18, s[0:1], 0x28
	v_bfe_u32 v4, v0, 10, 10
	s_add_nc_u64 s[6:7], s[0:1], 0x78
	s_load_b32 s58, s[0:1], 0x48
	s_load_b32 s40, s[6:7], 0x0
	s_clause 0x1
	s_load_b128 s[28:31], s[0:1], 0x38
	s_load_b256 s[20:27], s[0:1], 0x8
	v_and_b32_e32 v173, 0x3ff, v0
	s_clause 0x1
	s_load_b64 s[6:7], s[0:1], 0x68
	s_load_b128 s[36:39], s[0:1], 0x58
	v_lshlrev_b32_e32 v13, 6, v4
	v_dual_mov_b32 v1, 0 :: v_dual_and_b32 v2, 31, v0
	s_lshl_b32 s62, ttmp9, 6
	s_mov_b32 s4, ttmp9
	s_delay_alu instid0(VALU_DEP_2) | instskip(NEXT) | instid1(VALU_DEP_2)
	v_add_nc_u32_e32 v14, v13, v173
	v_lshlrev_b32_e32 v12, 4, v2
	v_lshlrev_b32_e32 v22, 4, v173
	s_mov_b32 s35, 0
	v_add_nc_u32_e32 v3, s62, v173
	v_lshrrev_b32_e32 v11, 5, v14
	v_lshl_or_b32 v19, v2, 9, v12
	v_cmp_eq_u32_e64 s0, 0, v4
	s_wait_kmcnt 0x0
	s_ashr_i32 s3, s2, 31
	s_ashr_i32 s19, s18, 31
	s_lshr_b32 s1, s3, 26
	s_add_co_i32 s5, s40, -1
	s_add_co_i32 s1, s2, s1
	v_lshlrev_b32_e32 v18, 2, v11
	s_and_not1_b32 s1, s1, 63
	v_lshlrev_b32_e32 v20, 6, v11
	s_sub_co_i32 s72, s2, s1
	s_cmp_eq_u32 ttmp9, s5
	v_or_b32_e32 v21, 1, v18
	s_cselect_b32 s42, s72, 0
	v_mad_u32_u24 v188, 0x210, v11, v12
	s_cmp_lg_u32 s42, 0
	v_add_nc_u32_e32 v19, v19, v20
	s_cselect_b32 s73, -1, 0
	s_cmp_eq_u32 s42, 0
	v_mad_u32_u24 v250, 0x840, v11, v12
	s_cselect_b32 s1, -1, 0
	s_ashr_i32 s5, ttmp9, 31
	v_mad_u32_u24 v208, 0x210, v21, v12
	v_mul_u32_u24_e32 v12, 33, v2
	s_mul_u64 s[4:5], s[2:3], s[4:5]
	v_add_nc_u32_e32 v15, 8, v11
	s_lshl_b64 s[4:5], s[4:5], 4
	v_lshlrev_b32_e32 v201, 2, v4
	v_lshlrev_b32_e32 v196, 4, v12
	v_or_b32_e32 v12, 32, v2
	v_mad_u32_u24 v204, 0x10c0, v4, v22
	v_mad_u32_u24 v4, 0x430, v4, v22
	scratch_store_b32 off, v19, off         ; 4-byte Folded Spill
	v_or_b32_e32 v19, 2, v18
	s_mov_b32 s41, s35
	s_add_nc_u64 s[46:47], s[6:7], s[4:5]
	v_cmp_gt_u32_e64 s6, v18, v2
	v_cmp_ge_u32_e64 s7, v18, v2
	v_or_b32_e32 v18, 3, v18
	s_mul_u64 s[44:45], s[40:41], s[2:3]
	v_sub_co_u32 v9, s2, 0, v2
	s_sub_co_i32 s15, s42, 32
	v_mad_co_u64_u32 v[7:8], null, s18, v11, v[2:3]
	v_sub_co_ci_u32_e64 v10, null, 0, 0, s2
	v_cmp_le_i32_e64 s2, s42, v11
	v_cmp_le_i32_e64 s3, s42, v15
	v_add_nc_u32_e32 v16, 16, v11
	v_add_nc_u32_e32 v17, 24, v11
	v_cmp_gt_u32_e64 s8, v19, v2
	v_lshlrev_b32_e32 v19, 4, v11
	v_cmp_gt_i32_e64 s11, s42, v12
	v_cmp_le_i32_e64 s12, s15, v11
	v_cmp_le_i32_e64 s13, s15, v15
	v_cmp_eq_u32_e64 s16, 1, v11
	v_mul_i32_i24_e32 v15, 0xffffffd0, v11
	v_mad_co_u64_u32 v[11:12], null, s18, v201, v[173:174]
	v_cmp_gt_u32_e64 s9, v18, v2
	v_and_b32_e32 v18, 48, v0
	v_cmp_gt_i32_e32 vcc_lo, s42, v173
	v_cmp_le_i32_e64 s5, s42, v17
	v_cmp_le_i32_e64 s14, s15, v16
	;; [unrolled: 1-line block ×3, first 2 shown]
	v_and_b32_e32 v17, 15, v0
	v_add_nc_u32_e32 v0, 0x4300, v13
	v_lshlrev_b32_e32 v13, 4, v18
	v_cmp_le_i32_e64 s4, s42, v16
	v_lshrrev_b32_e32 v16, 4, v14
	v_ashrrev_i32_e32 v12, 31, v11
	s_lshl_b32 s56, s18, 5
	s_or_b32 s52, s1, vcc_lo
	s_ashr_i32 s57, s56, 31
	v_mad_u32_u24 v206, 0x430, v17, v13
	v_add_co_u32 v13, vcc_lo, s56, v11
	v_add_nc_u32_e32 v252, v196, v19
	v_add_nc_u32_e32 v202, 0x4700, v19
	v_lshlrev_b32_e32 v19, 6, v16
	v_or_b32_e32 v18, 0xf0, v22
	s_mul_i32 s64, s18, s62
	s_lshl_b32 s48, s18, 3
	s_lshl_b32 s66, s18, 4
	s_mul_i32 s50, s18, 24
	v_cmp_gt_u32_e64 s10, 32, v14
	s_mul_i32 s54, s58, s62
	v_cmp_gt_u32_e64 s17, 64, v14
	v_add_co_ci_u32_e64 v14, null, s57, v12, vcc_lo
	s_add_co_i32 s59, ttmp9, 1
	s_xor_b32 s74, s52, -1
	s_ashr_i32 s63, s62, 31
	s_ashr_i32 s65, s64, 31
	;; [unrolled: 1-line block ×7, first 2 shown]
	s_cmp_lt_u32 s59, s40
	v_lshlrev_b64_e32 v[11:12], 4, v[11:12]
	v_ashrrev_i32_e32 v8, 31, v7
	v_mad_u32_u24 v205, 0x430, v17, v19
	v_mad_u32_u24 v207, 0x430, v17, v18
	v_add_nc_u32_e32 v17, 64, v3
	s_cselect_b32 s41, -1, 0
	s_lshl_b64 s[82:83], s[18:19], 5
	s_lshl_b64 s[56:57], s[56:57], 4
	v_lshlrev_b64_e32 v[13:14], 4, v[13:14]
	s_wait_alu 0xfffe
	s_add_nc_u64 s[84:85], s[82:83], s[56:57]
	scratch_store_b32 off, v17, off offset:32 ; 4-byte Folded Spill
	v_lshlrev_b64_e32 v[17:18], 4, v[7:8]
	v_add_co_u32 v7, vcc_lo, s84, v11
	v_add_nc_u32_e32 v186, 0x4700, v20
	v_add_nc_u32_e32 v195, v196, v20
	v_mad_co_i64_i32 v[19:20], null, s66, 48, v[13:14]
	s_mul_i32 s80, s18, 3
	s_wait_alu 0xfffd
	v_add_co_ci_u32_e64 v8, null, s85, v12, vcc_lo
	v_or_b32_e32 v7, 8, v7
	s_ashr_i32 s81, s80, 31
	s_clause 0x3
	scratch_store_b32 off, v4, off offset:8
	scratch_store_b64 off, v[17:18], off offset:12
	scratch_store_b32 off, v8, off offset:44
	scratch_store_b32 off, v7, off offset:48
	s_lshl_b64 s[80:81], s[80:81], 4
	s_lshl_b32 s60, s18, 1
	v_add_co_u32 v7, vcc_lo, v19, s80
	s_wait_alu 0xfffd
	v_add_co_ci_u32_e64 v8, null, s81, v20, vcc_lo
	s_ashr_i32 s61, s60, 31
	v_or_b32_e32 v7, 8, v7
	s_lshl_b64 s[70:71], s[18:19], 4
	s_sub_nc_u64 s[68:69], 0, s[54:55]
	s_lshl_b64 s[54:55], s[18:19], 7
	v_sub_co_u32 v210, s18, 0, v17
	s_add_nc_u64 s[88:89], s[70:71], s[56:57]
	s_lshl_b64 s[90:91], s[60:61], 4
	v_sub_co_ci_u32_e64 v211, null, 0, v18, s18
	scratch_store_b32 off, v8, off offset:52 ; 4-byte Folded Spill
	v_add_co_u32 v8, s18, s88, v11
	scratch_store_b32 off, v7, off offset:56 ; 4-byte Folded Spill
	v_add_co_u32 v7, vcc_lo, v19, s90
	v_or_b32_e32 v19, 8, v19
	v_mul_lo_u32 v5, s58, v3
	v_ashrrev_i32_e32 v4, 31, v3
	s_delay_alu instid0(VALU_DEP_4)
	v_or_b32_e32 v7, 8, v7
	scratch_store_b32 off, v8, off offset:60 ; 4-byte Folded Spill
	s_wait_alu 0xf1ff
	v_add_co_ci_u32_e64 v8, null, s89, v12, s18
	s_add_nc_u64 s[18:19], s[56:57], s[90:91]
	scratch_store_b32 off, v7, off offset:72 ; 4-byte Folded Spill
	v_ashrrev_i32_e32 v6, 31, v5
	scratch_store_b32 off, v8, off offset:64 ; 4-byte Folded Spill
	s_wait_alu 0xfffd
	v_add_co_ci_u32_e64 v8, null, s91, v20, vcc_lo
	v_add_co_u32 v7, vcc_lo, s56, v11
	v_lshlrev_b64_e32 v[5:6], 4, v[5:6]
	scratch_store_b32 off, v8, off offset:68 ; 4-byte Folded Spill
	v_cmp_gt_i32_e64 s1, s42, v2
	scratch_store_b32 off, v7, off offset:76 ; 4-byte Folded Spill
	s_wait_alu 0xfffd
	v_add_co_ci_u32_e64 v7, null, s57, v12, vcc_lo
	v_lshlrev_b64_e32 v[3:4], 4, v[3:4]
	v_lshlrev_b32_e32 v2, 4, v2
	s_mul_u64 s[86:87], s[66:67], 48
	scratch_store_b32 off, v7, off offset:80 ; 4-byte Folded Spill
	s_wait_alu 0xfffe
	v_add_co_u32 v7, vcc_lo, s18, v11
	s_lshl_b64 s[60:61], s[66:67], 4
	s_lshl_b32 s76, s58, 6
	s_mul_i32 s58, s58, s59
	scratch_store_b32 off, v7, off offset:84 ; 4-byte Folded Spill
	s_wait_alu 0xfffd
	v_add_co_ci_u32_e64 v7, null, s19, v12, vcc_lo
	s_add_nc_u64 s[18:19], s[56:57], s[80:81]
	s_wait_alu 0xfffe
	s_lshl_b32 s78, s58, 6
	s_lshl_b64 s[58:59], s[66:67], 6
	scratch_store_b32 off, v7, off offset:88 ; 4-byte Folded Spill
	v_add_co_u32 v7, vcc_lo, v19, s70
	s_clause 0x1
	scratch_store_b32 off, v7, off offset:92
	scratch_store_b64 off, v[19:20], off offset:36
	s_wait_alu 0xfffd
	v_add_co_ci_u32_e64 v7, null, s71, v20, vcc_lo
	s_clause 0x3
	scratch_store_b64 off, v[5:6], off offset:20
	scratch_store_b64 off, v[3:4], off offset:196
	scratch_store_b32 off, v2, off offset:4
	scratch_store_b32 off, v7, off offset:96
	v_add_co_u32 v7, vcc_lo, s18, v11
	v_add_nc_u32_e32 v5, v195, v15
	s_lshl_b64 s[66:67], s[66:67], 5
	v_mul_i32_i24_e32 v16, 0xffffffd0, v16
	scratch_store_b32 off, v7, off offset:100 ; 4-byte Folded Spill
	s_wait_alu 0xfffd
	v_add_co_ci_u32_e64 v7, null, s19, v12, vcc_lo
	s_add_nc_u64 s[18:19], s[86:87], s[82:83]
	s_wait_alu 0xfffe
	s_add_nc_u64 s[82:83], s[66:67], s[56:57]
	s_add_nc_u64 s[66:67], s[84:85], s[66:67]
	scratch_store_b32 off, v7, off offset:104 ; 4-byte Folded Spill
	v_add_co_u32 v7, vcc_lo, s18, v13
	s_add_nc_u64 s[86:87], s[82:83], s[80:81]
	s_add_nc_u64 s[70:71], s[82:83], s[70:71]
	v_lshlrev_b64_e32 v[174:175], 4, v[9:10]
	scratch_store_b32 off, v7, off offset:108 ; 4-byte Folded Spill
	s_wait_alu 0xfffd
	v_add_co_ci_u32_e64 v7, null, s19, v14, vcc_lo
	s_add_nc_u64 s[18:19], s[84:85], s[60:61]
	v_add_nc_u32_e32 v187, 0x4700, v22
	v_add_nc_u32_e32 v203, 0x4300, v22
	scratch_store_b32 off, v7, off offset:112 ; 4-byte Folded Spill
	s_wait_alu 0xfffe
	v_add_co_u32 v7, vcc_lo, s18, v11
	s_wait_alu 0xfffd
	v_add_co_ci_u32_e64 v13, null, s19, v12, vcc_lo
	v_add_co_u32 v8, s18, s86, v11
	s_delay_alu instid0(VALU_DEP_3)
	v_or_b32_e32 v7, 8, v7
	scratch_store_b32 off, v13, off offset:116 ; 4-byte Folded Spill
	v_add_nc_u32_e32 v251, v205, v16
	s_add_co_i32 s75, s40, -2
	s_and_b32 s77, s0, s52
	scratch_store_b32 off, v7, off offset:120 ; 4-byte Folded Spill
	s_wait_alu 0xf1ff
	v_add_co_ci_u32_e64 v7, null, s87, v12, s18
	s_add_nc_u64 s[18:19], s[88:89], s[60:61]
	s_add_nc_u64 s[86:87], s[82:83], s[90:91]
	s_sub_nc_u64 s[52:53], 0, s[42:43]
	scratch_store_b32 off, v7, off offset:124 ; 4-byte Folded Spill
	v_or_b32_e32 v7, 8, v8
	s_wait_alu 0xfffe
	v_add_co_u32 v8, s18, s18, v11
	s_lshl_b64 s[30:31], s[30:31], 4
	s_lshl_b64 s[26:27], s[26:27], 4
	scratch_store_b32 off, v7, off offset:128 ; 4-byte Folded Spill
	v_add_co_u32 v7, vcc_lo, s86, v11
	s_lshl_b64 s[62:63], s[62:63], 4
	s_lshl_b64 s[64:65], s[64:65], 4
	scratch_store_b32 off, v5, off offset:28 ; 4-byte Folded Spill
	v_or_b32_e32 v7, 8, v7
	scratch_store_b32 off, v8, off offset:132 ; 4-byte Folded Spill
	v_add_co_ci_u32_e64 v8, null, s19, v12, s18
	s_clause 0x1
	scratch_store_b32 off, v7, off offset:144
	scratch_store_b32 off, v8, off offset:136
	s_wait_alu 0xfffd
	v_add_co_ci_u32_e64 v8, null, s87, v12, vcc_lo
	v_add_co_u32 v7, vcc_lo, s82, v11
	s_add_nc_u64 s[86:87], s[56:57], s[60:61]
	v_or_b32_e32 v7, 8, v7
	scratch_store_b32 off, v8, off offset:140 ; 4-byte Folded Spill
	s_wait_alu 0xfffe
	v_add_co_u32 v8, s18, s86, v11
	s_clause 0x1
	scratch_store_b32 off, v7, off offset:160
	scratch_store_b32 off, v8, off offset:148
	s_wait_alu 0xf1ff
	v_add_co_ci_u32_e64 v8, null, s87, v12, s18
	s_add_nc_u64 s[18:19], s[86:87], s[90:91]
	scratch_store_b32 off, v8, off offset:152 ; 4-byte Folded Spill
	s_wait_alu 0xfffd
	v_add_co_ci_u32_e64 v8, null, s83, v12, vcc_lo
	v_add_co_u32 v7, vcc_lo, s70, v11
	s_delay_alu instid0(VALU_DEP_1)
	v_or_b32_e32 v7, 8, v7
	scratch_store_b32 off, v8, off offset:156 ; 4-byte Folded Spill
	s_wait_alu 0xfffe
	v_add_co_u32 v8, s18, s18, v11
	s_clause 0x1
	scratch_store_b32 off, v7, off offset:176
	scratch_store_b32 off, v8, off offset:164
	s_wait_alu 0xf1ff
	v_add_co_ci_u32_e64 v8, null, s19, v12, s18
	s_add_nc_u64 s[18:19], s[86:87], s[80:81]
	scratch_store_b32 off, v8, off offset:168 ; 4-byte Folded Spill
	s_wait_alu 0xfffd
	v_add_co_ci_u32_e64 v8, null, s71, v12, vcc_lo
	v_add_co_u32 v7, vcc_lo, s66, v11
	s_delay_alu instid0(VALU_DEP_1)
	v_or_b32_e32 v7, 8, v7
	scratch_store_b32 off, v8, off offset:172 ; 4-byte Folded Spill
	s_wait_alu 0xfffe
	v_add_co_u32 v8, s18, s18, v11
	s_clause 0x1
	scratch_store_b32 off, v7, off offset:192
	scratch_store_b32 off, v8, off offset:180
	s_wait_alu 0xf1ff
	v_add_co_ci_u32_e64 v8, null, s19, v12, s18
	scratch_store_b32 off, v8, off offset:184 ; 4-byte Folded Spill
	s_wait_alu 0xfffd
	v_add_co_ci_u32_e64 v8, null, s67, v12, vcc_lo
	s_lshl_b64 s[66:67], s[68:69], 4
	scratch_store_b32 off, v8, off offset:188 ; 4-byte Folded Spill
	s_branch .LBB189_4
.LBB189_2:                              ;   in Loop: Header=BB189_4 Depth=1
	s_wait_alu 0xfffe
	s_or_b32 exec_lo, exec_lo, s18
.LBB189_3:                              ;   in Loop: Header=BB189_4 Depth=1
	s_add_co_i32 s34, s34, 0x10000
	s_delay_alu instid0(SALU_CYCLE_1)
	s_cmp_lt_u32 s34, s33
	s_cbranch_scc0 .LBB189_156
.LBB189_4:                              ; =>This Loop Header: Depth=1
                                        ;     Child Loop BB189_78 Depth 2
	s_mul_u64 s[18:19], s[22:23], s[34:35]
	s_wait_alu 0xfffe
	s_lshl_b64 s[18:19], s[18:19], 4
	s_wait_alu 0xfffe
	s_add_nc_u64 s[18:19], s[20:21], s[18:19]
	global_load_b128 v[2:5], v1, s[18:19]
	s_wait_loadcnt 0x0
	v_cmp_neq_f64_e32 vcc_lo, 0, v[2:3]
	v_cmp_neq_f64_e64 s18, 0, v[4:5]
	s_wait_alu 0xfffe
	s_or_b32 s18, vcc_lo, s18
	s_wait_alu 0xfffe
	s_and_b32 vcc_lo, exec_lo, s18
	s_mov_b32 s18, -1
	s_wait_alu 0xfffe
	s_cbranch_vccz .LBB189_6
; %bb.5:                                ;   in Loop: Header=BB189_4 Depth=1
	s_and_not1_b32 vcc_lo, exec_lo, s18
	s_wait_alu 0xfffe
	s_cbranch_vccnz .LBB189_3
	s_branch .LBB189_7
.LBB189_6:                              ;   in Loop: Header=BB189_4 Depth=1
	s_mul_u64 s[18:19], s[38:39], s[34:35]
	s_wait_alu 0xfffe
	s_lshl_b64 s[18:19], s[18:19], 4
	s_wait_alu 0xfffe
	s_add_nc_u64 s[18:19], s[36:37], s[18:19]
	global_load_b128 v[2:5], v1, s[18:19]
	s_wait_loadcnt 0x0
	v_cmp_eq_f64_e32 vcc_lo, 1.0, v[2:3]
	v_cmp_eq_f64_e64 s18, 0, v[4:5]
	s_wait_alu 0xfffe
	s_and_b32 s18, vcc_lo, s18
	s_wait_alu 0xfffe
	s_and_not1_b32 vcc_lo, exec_lo, s18
	s_cbranch_execnz .LBB189_3
.LBB189_7:                              ;   in Loop: Header=BB189_4 Depth=1
	s_lshl_b64 s[18:19], s[34:35], 3
	scratch_load_b64 v[7:8], off, off offset:20 ; 8-byte Folded Reload
	s_wait_alu 0xfffe
	s_add_nc_u64 s[68:69], s[28:29], s[18:19]
	s_add_nc_u64 s[18:19], s[24:25], s[18:19]
	s_clause 0x1
	global_load_b64 v[2:3], v1, s[68:69]
	global_load_b64 v[5:6], v1, s[18:19]
	s_wait_loadcnt 0x1
	v_add_co_u32 v2, vcc_lo, v2, s30
	s_wait_alu 0xfffd
	v_add_co_ci_u32_e64 v3, null, s31, v3, vcc_lo
	s_delay_alu instid0(VALU_DEP_2) | instskip(SKIP_1) | instid1(VALU_DEP_2)
	v_add_co_u32 v41, vcc_lo, v2, v7
	s_wait_alu 0xfffd
	v_add_co_ci_u32_e64 v42, null, v3, v8, vcc_lo
	s_and_saveexec_b32 s18, s0
	s_cbranch_execz .LBB189_12
; %bb.8:                                ;   in Loop: Header=BB189_4 Depth=1
	s_and_saveexec_b32 s19, s74
	s_wait_alu 0xfffe
	s_xor_b32 s19, exec_lo, s19
; %bb.9:                                ;   in Loop: Header=BB189_4 Depth=1
	v_dual_mov_b32 v2, v1 :: v_dual_mov_b32 v3, v1
	v_mov_b32_e32 v4, v1
	ds_store_b128 v187, v[1:4]
; %bb.10:                               ;   in Loop: Header=BB189_4 Depth=1
	s_wait_alu 0xfffe
	s_and_not1_saveexec_b32 s19, s19
	s_cbranch_execz .LBB189_12
; %bb.11:                               ;   in Loop: Header=BB189_4 Depth=1
	flat_load_b128 v[7:10], v[41:42]
	s_wait_loadcnt_dscnt 0x0
	ds_store_2addr_b64 v187, v[7:8], v[9:10] offset1:1
.LBB189_12:                             ;   in Loop: Header=BB189_4 Depth=1
	s_wait_alu 0xfffe
	s_or_b32 exec_lo, exec_lo, s18
	s_wait_loadcnt 0x0
	v_add_co_u32 v2, vcc_lo, v5, s26
	scratch_load_b64 v[4:5], off, off offset:12 ; 8-byte Folded Reload
	s_wait_alu 0xfffd
	v_add_co_ci_u32_e64 v3, null, s27, v6, vcc_lo
	v_add_co_u32 v2, vcc_lo, v2, s62
	s_mov_b32 s18, -1
	s_wait_alu 0xfffd
	v_add_co_ci_u32_e64 v3, null, s63, v3, vcc_lo
	s_wait_loadcnt 0x0
	v_add_co_u32 v2, vcc_lo, v2, v4
	s_wait_alu 0xfffd
	s_delay_alu instid0(VALU_DEP_2) | instskip(NEXT) | instid1(VALU_DEP_2)
	v_add_co_ci_u32_e64 v3, null, v3, v5, vcc_lo
	v_add_co_u32 v5, vcc_lo, v2, s64
	s_wait_alu 0xfffd
	s_delay_alu instid0(VALU_DEP_2)
	v_add_co_ci_u32_e64 v6, null, s65, v3, vcc_lo
	s_and_b32 vcc_lo, exec_lo, s73
                                        ; implicit-def: $vgpr2_vgpr3
	s_wait_alu 0xfffe
	s_cbranch_vccz .LBB189_24
; %bb.13:                               ;   in Loop: Header=BB189_4 Depth=1
	s_and_saveexec_b32 s18, s2
	s_wait_alu 0xfffe
	s_xor_b32 s18, exec_lo, s18
; %bb.14:                               ;   in Loop: Header=BB189_4 Depth=1
	v_dual_mov_b32 v2, v1 :: v_dual_mov_b32 v3, v1
	v_mov_b32_e32 v4, v1
	ds_store_b128 v188, v[1:4]
; %bb.15:                               ;   in Loop: Header=BB189_4 Depth=1
	s_wait_alu 0xfffe
	s_or_saveexec_b32 s18, s18
	v_add_co_u32 v2, vcc_lo, v5, v174
	s_wait_alu 0xfffd
	v_add_co_ci_u32_e64 v3, null, v6, v175, vcc_lo
	s_lshl_b64 s[68:69], s[42:43], 4
	s_wait_alu 0xfffe
	v_add_co_u32 v2, vcc_lo, v2, s68
	s_wait_alu 0xfffd
	v_add_co_ci_u32_e64 v3, null, s69, v3, vcc_lo
	s_delay_alu instid0(VALU_DEP_2) | instskip(SKIP_1) | instid1(VALU_DEP_2)
	v_add_co_u32 v2, vcc_lo, v2, -16
	s_wait_alu 0xfffd
	v_add_co_ci_u32_e64 v3, null, -1, v3, vcc_lo
	s_delay_alu instid0(VALU_DEP_2) | instskip(NEXT) | instid1(VALU_DEP_2)
	v_cndmask_b32_e64 v7, v2, v5, s1
	v_cndmask_b32_e64 v8, v3, v6, s1
	s_xor_b32 exec_lo, exec_lo, s18
	s_cbranch_execnz .LBB189_138
; %bb.16:                               ;   in Loop: Header=BB189_4 Depth=1
	s_or_b32 exec_lo, exec_lo, s18
	s_and_saveexec_b32 s18, s3
	s_wait_alu 0xfffe
	s_xor_b32 s18, exec_lo, s18
	s_cbranch_execnz .LBB189_139
.LBB189_17:                             ;   in Loop: Header=BB189_4 Depth=1
	s_wait_alu 0xfffe
	s_and_not1_saveexec_b32 s18, s18
	s_cbranch_execnz .LBB189_140
.LBB189_18:                             ;   in Loop: Header=BB189_4 Depth=1
	s_wait_alu 0xfffe
	s_or_b32 exec_lo, exec_lo, s18
	s_and_saveexec_b32 s18, s4
	s_wait_alu 0xfffe
	s_xor_b32 s18, exec_lo, s18
	s_cbranch_execnz .LBB189_141
.LBB189_19:                             ;   in Loop: Header=BB189_4 Depth=1
	s_wait_alu 0xfffe
	s_and_not1_saveexec_b32 s18, s18
	s_cbranch_execnz .LBB189_142
.LBB189_20:                             ;   in Loop: Header=BB189_4 Depth=1
	s_wait_alu 0xfffe
	s_or_b32 exec_lo, exec_lo, s18
	s_and_saveexec_b32 s18, s5
	s_wait_alu 0xfffe
	s_xor_b32 s18, exec_lo, s18
	s_cbranch_execnz .LBB189_143
.LBB189_21:                             ;   in Loop: Header=BB189_4 Depth=1
	s_wait_alu 0xfffe
	s_and_not1_saveexec_b32 s18, s18
	s_cbranch_execz .LBB189_23
.LBB189_22:                             ;   in Loop: Header=BB189_4 Depth=1
	s_lshl_b64 s[68:69], s[50:51], 4
	s_wait_alu 0xfffe
	v_add_co_u32 v2, vcc_lo, v7, s68
	s_wait_alu 0xfffd
	v_add_co_ci_u32_e64 v3, null, s69, v8, vcc_lo
	flat_load_b128 v[9:12], v[2:3]
	v_add_nc_u32_e32 v2, 0x3180, v188
	s_wait_loadcnt_dscnt 0x0
	ds_store_2addr_b64 v2, v[9:10], v[11:12] offset1:1
.LBB189_23:                             ;   in Loop: Header=BB189_4 Depth=1
	s_wait_alu 0xfffe
	s_or_b32 exec_lo, exec_lo, s18
	scratch_load_b32 v2, off, off offset:4  ; 4-byte Folded Reload
	s_lshl_b64 s[18:19], s[52:53], 4
	s_wait_loadcnt 0x0
	v_add_co_u32 v2, vcc_lo, v7, v2
	s_wait_alu 0xfffd
	v_add_co_ci_u32_e64 v3, null, 0, v8, vcc_lo
	s_wait_alu 0xfffe
	s_delay_alu instid0(VALU_DEP_2) | instskip(SKIP_1) | instid1(VALU_DEP_2)
	v_add_co_u32 v2, vcc_lo, v2, s18
	s_wait_alu 0xfffd
	v_add_co_ci_u32_e64 v3, null, s19, v3, vcc_lo
	s_mov_b32 s18, 0
	v_add_co_u32 v2, vcc_lo, v2, 16
	s_wait_alu 0xfffd
	v_add_co_ci_u32_e64 v3, null, 0, v3, vcc_lo
	s_delay_alu instid0(VALU_DEP_2) | instskip(NEXT) | instid1(VALU_DEP_2)
	v_cndmask_b32_e64 v2, v2, v5, s1
	v_cndmask_b32_e64 v3, v3, v6, s1
.LBB189_24:                             ;   in Loop: Header=BB189_4 Depth=1
	s_wait_alu 0xfffe
	s_and_b32 vcc_lo, exec_lo, s18
	s_wait_alu 0xfffe
	s_cbranch_vccz .LBB189_26
; %bb.25:                               ;   in Loop: Header=BB189_4 Depth=1
	flat_load_b128 v[7:10], v[5:6]
	s_lshl_b64 s[18:19], s[48:49], 4
	v_add_nc_u32_e32 v4, 0x1080, v188
	s_wait_alu 0xfffe
	v_add_co_u32 v2, vcc_lo, v5, s18
	s_wait_alu 0xfffd
	v_add_co_ci_u32_e64 v3, null, s19, v6, vcc_lo
	s_wait_loadcnt_dscnt 0x0
	ds_store_2addr_b64 v188, v[7:8], v[9:10] offset1:1
	flat_load_b128 v[7:10], v[2:3]
	v_add_co_u32 v2, vcc_lo, v2, s54
	s_wait_alu 0xfffd
	v_add_co_ci_u32_e64 v3, null, s55, v3, vcc_lo
	s_wait_loadcnt_dscnt 0x0
	ds_store_2addr_b64 v4, v[7:8], v[9:10] offset1:1
	flat_load_b128 v[7:10], v[2:3]
	v_add_co_u32 v2, vcc_lo, v2, s54
	v_add_nc_u32_e32 v4, 0x2100, v188
	s_wait_alu 0xfffd
	v_add_co_ci_u32_e64 v3, null, s55, v3, vcc_lo
	s_wait_loadcnt_dscnt 0x0
	ds_store_2addr_b64 v4, v[7:8], v[9:10] offset1:1
	flat_load_b128 v[7:10], v[2:3]
	v_dual_mov_b32 v2, v5 :: v_dual_mov_b32 v3, v6
	v_add_nc_u32_e32 v4, 0x3180, v188
	s_wait_loadcnt_dscnt 0x0
	ds_store_2addr_b64 v4, v[7:8], v[9:10] offset1:1
.LBB189_26:                             ;   in Loop: Header=BB189_4 Depth=1
	s_wait_storecnt_dscnt 0x0
	s_barrier_signal -1
	s_barrier_wait -1
	global_inv scope:SCOPE_SE
	s_and_saveexec_b32 s18, s6
	s_cbranch_execnz .LBB189_132
; %bb.27:                               ;   in Loop: Header=BB189_4 Depth=1
	s_wait_alu 0xfffe
	s_or_b32 exec_lo, exec_lo, s18
	s_and_saveexec_b32 s18, s7
	s_cbranch_execnz .LBB189_133
.LBB189_28:                             ;   in Loop: Header=BB189_4 Depth=1
	s_wait_alu 0xfffe
	s_or_b32 exec_lo, exec_lo, s18
	s_and_saveexec_b32 s18, s8
	s_cbranch_execnz .LBB189_134
.LBB189_29:                             ;   in Loop: Header=BB189_4 Depth=1
	s_wait_alu 0xfffe
	s_or_b32 exec_lo, exec_lo, s18
	s_and_saveexec_b32 s18, s9
	s_cbranch_execz .LBB189_31
.LBB189_30:                             ;   in Loop: Header=BB189_4 Depth=1
	scratch_load_b32 v8, off, off           ; 4-byte Folded Reload
	v_add_nc_u32_e32 v4, 0x420, v208
	ds_load_b128 v[4:7], v4
	s_wait_loadcnt 0x0
	v_add_nc_u32_e32 v8, 48, v8
	s_wait_dscnt 0x0
	ds_store_b128 v8, v[4:7]
.LBB189_31:                             ;   in Loop: Header=BB189_4 Depth=1
	s_wait_alu 0xfffe
	s_or_b32 exec_lo, exec_lo, s18
	s_wait_loadcnt_dscnt 0x0
	s_barrier_signal -1
	s_barrier_wait -1
	global_inv scope:SCOPE_SE
	ds_load_b128 v[4:7], v250
	ds_load_b128 v[8:11], v186
	ds_load_b128 v[12:15], v186 offset:16
	ds_load_b128 v[16:19], v208
	v_add_nc_u32_e32 v22, 0x420, v208
	s_wait_dscnt 0x2
	v_mul_f64_e32 v[20:21], v[10:11], v[6:7]
	v_mul_f64_e32 v[6:7], v[8:9], v[6:7]
	s_wait_dscnt 0x0
	v_mul_f64_e32 v[26:27], v[14:15], v[18:19]
	v_mul_f64_e32 v[28:29], v[12:13], v[18:19]
	s_delay_alu instid0(VALU_DEP_4) | instskip(NEXT) | instid1(VALU_DEP_4)
	v_fma_f64 v[30:31], v[8:9], v[4:5], -v[20:21]
	v_fma_f64 v[32:33], v[10:11], v[4:5], v[6:7]
	v_add_nc_u32_e32 v4, 0x210, v208
	ds_load_b128 v[4:7], v4
	ds_load_b128 v[8:11], v186 offset:32
	ds_load_b128 v[18:21], v186 offset:48
	v_fma_f64 v[12:13], v[12:13], v[16:17], -v[26:27]
	v_fma_f64 v[14:15], v[14:15], v[16:17], v[28:29]
	ds_load_b128 v[22:25], v22
	s_wait_loadcnt_dscnt 0x0
	s_barrier_signal -1
	s_barrier_wait -1
	global_inv scope:SCOPE_SE
	v_mul_f64_e32 v[34:35], v[10:11], v[6:7]
	v_mul_f64_e32 v[6:7], v[8:9], v[6:7]
	;; [unrolled: 1-line block ×4, first 2 shown]
	v_add_f64_e32 v[16:17], 0, v[30:31]
	v_add_f64_e32 v[26:27], 0, v[32:33]
	v_fma_f64 v[8:9], v[8:9], v[4:5], -v[34:35]
	v_fma_f64 v[4:5], v[10:11], v[4:5], v[6:7]
	s_delay_alu instid0(VALU_DEP_4) | instskip(NEXT) | instid1(VALU_DEP_4)
	v_add_f64_e32 v[6:7], v[16:17], v[12:13]
	v_add_f64_e32 v[10:11], v[26:27], v[14:15]
	v_fma_f64 v[12:13], v[18:19], v[22:23], -v[28:29]
	v_fma_f64 v[14:15], v[20:21], v[22:23], v[24:25]
	s_delay_alu instid0(VALU_DEP_4) | instskip(NEXT) | instid1(VALU_DEP_4)
	v_add_f64_e32 v[6:7], v[6:7], v[8:9]
	v_add_f64_e32 v[4:5], v[10:11], v[4:5]
	s_delay_alu instid0(VALU_DEP_2) | instskip(NEXT) | instid1(VALU_DEP_2)
	v_add_f64_e32 v[9:10], v[6:7], v[12:13]
	v_add_f64_e32 v[11:12], v[4:5], v[14:15]
	v_mov_b32_e32 v5, 0
	v_dual_mov_b32 v7, 0 :: v_dual_mov_b32 v6, 0
	v_mov_b32_e32 v8, 0
	ds_store_b128 v252, v[9:12]
	s_wait_loadcnt_dscnt 0x0
	s_barrier_signal -1
	s_barrier_wait -1
	global_inv scope:SCOPE_SE
	s_and_saveexec_b32 s18, s10
	s_cbranch_execz .LBB189_33
; %bb.32:                               ;   in Loop: Header=BB189_4 Depth=1
	ds_load_b128 v[4:7], v196
	ds_load_b128 v[8:11], v196 offset:16
	s_wait_dscnt 0x0
	v_add_f64_e32 v[12:13], v[8:9], v[4:5]
	v_add_f64_e32 v[14:15], v[10:11], v[6:7]
	ds_load_b128 v[4:7], v196 offset:32
	ds_load_b128 v[8:11], v196 offset:48
	s_wait_dscnt 0x1
	v_add_f64_e32 v[4:5], v[12:13], v[4:5]
	v_add_f64_e32 v[6:7], v[14:15], v[6:7]
	s_wait_dscnt 0x0
	s_delay_alu instid0(VALU_DEP_2) | instskip(NEXT) | instid1(VALU_DEP_2)
	v_add_f64_e32 v[12:13], v[4:5], v[8:9]
	v_add_f64_e32 v[14:15], v[6:7], v[10:11]
	ds_load_b128 v[4:7], v196 offset:64
	ds_load_b128 v[8:11], v196 offset:80
	s_wait_dscnt 0x1
	v_add_f64_e32 v[4:5], v[12:13], v[4:5]
	v_add_f64_e32 v[6:7], v[14:15], v[6:7]
	s_wait_dscnt 0x0
	s_delay_alu instid0(VALU_DEP_2) | instskip(NEXT) | instid1(VALU_DEP_2)
	;; [unrolled: 9-line block ×3, first 2 shown]
	v_add_f64_e32 v[5:6], v[4:5], v[8:9]
	v_add_f64_e32 v[7:8], v[12:13], v[10:11]
.LBB189_33:                             ;   in Loop: Header=BB189_4 Depth=1
	s_wait_alu 0xfffe
	s_or_b32 exec_lo, exec_lo, s18
	v_add_co_u32 v13, vcc_lo, v2, s56
	s_wait_alu 0xfffd
	v_add_co_ci_u32_e64 v14, null, s57, v3, vcc_lo
	s_mov_b32 s18, -1
	v_add_co_u32 v11, vcc_lo, 0x200, v13
	s_wait_alu 0xfffd
	v_add_co_ci_u32_e64 v12, null, 0, v14, vcc_lo
	s_and_b32 vcc_lo, exec_lo, s73
	s_wait_loadcnt 0x0
	s_barrier_signal -1
	s_barrier_wait -1
	global_inv scope:SCOPE_SE
                                        ; implicit-def: $vgpr9_vgpr10
	s_wait_alu 0xfffe
	s_cbranch_vccz .LBB189_45
; %bb.34:                               ;   in Loop: Header=BB189_4 Depth=1
	s_and_saveexec_b32 s18, s12
	s_wait_alu 0xfffe
	s_xor_b32 s18, exec_lo, s18
; %bb.35:                               ;   in Loop: Header=BB189_4 Depth=1
	v_dual_mov_b32 v2, v1 :: v_dual_mov_b32 v3, v1
	v_mov_b32_e32 v4, v1
	ds_store_b128 v188, v[1:4]
; %bb.36:                               ;   in Loop: Header=BB189_4 Depth=1
	s_wait_alu 0xfffe
	s_or_saveexec_b32 s18, s18
	v_add_co_u32 v2, vcc_lo, v13, v174
	s_wait_alu 0xfffd
	v_add_co_ci_u32_e64 v3, null, v14, v175, vcc_lo
	s_lshl_b64 s[68:69], s[42:43], 4
	s_wait_alu 0xfffe
	v_add_co_u32 v2, vcc_lo, v2, s68
	s_wait_alu 0xfffd
	v_add_co_ci_u32_e64 v3, null, s69, v3, vcc_lo
	s_delay_alu instid0(VALU_DEP_2) | instskip(SKIP_1) | instid1(VALU_DEP_2)
	v_add_co_u32 v2, vcc_lo, v2, -16
	s_wait_alu 0xfffd
	v_add_co_ci_u32_e64 v3, null, -1, v3, vcc_lo
	s_delay_alu instid0(VALU_DEP_2) | instskip(NEXT) | instid1(VALU_DEP_2)
	v_cndmask_b32_e64 v9, v2, v11, s11
	v_cndmask_b32_e64 v10, v3, v12, s11
	s_xor_b32 exec_lo, exec_lo, s18
	s_cbranch_execnz .LBB189_144
; %bb.37:                               ;   in Loop: Header=BB189_4 Depth=1
	s_or_b32 exec_lo, exec_lo, s18
	s_and_saveexec_b32 s18, s13
	s_wait_alu 0xfffe
	s_xor_b32 s18, exec_lo, s18
	s_cbranch_execnz .LBB189_145
.LBB189_38:                             ;   in Loop: Header=BB189_4 Depth=1
	s_wait_alu 0xfffe
	s_and_not1_saveexec_b32 s18, s18
	s_cbranch_execnz .LBB189_146
.LBB189_39:                             ;   in Loop: Header=BB189_4 Depth=1
	s_wait_alu 0xfffe
	s_or_b32 exec_lo, exec_lo, s18
	s_and_saveexec_b32 s18, s14
	s_wait_alu 0xfffe
	s_xor_b32 s18, exec_lo, s18
	s_cbranch_execnz .LBB189_147
.LBB189_40:                             ;   in Loop: Header=BB189_4 Depth=1
	s_wait_alu 0xfffe
	s_and_not1_saveexec_b32 s18, s18
	s_cbranch_execnz .LBB189_148
.LBB189_41:                             ;   in Loop: Header=BB189_4 Depth=1
	s_wait_alu 0xfffe
	s_or_b32 exec_lo, exec_lo, s18
	s_and_saveexec_b32 s18, s15
	s_wait_alu 0xfffe
	s_xor_b32 s18, exec_lo, s18
	s_cbranch_execnz .LBB189_149
.LBB189_42:                             ;   in Loop: Header=BB189_4 Depth=1
	s_wait_alu 0xfffe
	s_and_not1_saveexec_b32 s18, s18
	s_cbranch_execz .LBB189_44
.LBB189_43:                             ;   in Loop: Header=BB189_4 Depth=1
	s_lshl_b64 s[68:69], s[50:51], 4
	s_wait_alu 0xfffe
	v_add_co_u32 v2, vcc_lo, v9, s68
	s_wait_alu 0xfffd
	v_add_co_ci_u32_e64 v3, null, s69, v10, vcc_lo
	flat_load_b128 v[15:18], v[2:3]
	v_add_nc_u32_e32 v2, 0x3180, v188
	s_wait_loadcnt_dscnt 0x0
	ds_store_2addr_b64 v2, v[15:16], v[17:18] offset1:1
.LBB189_44:                             ;   in Loop: Header=BB189_4 Depth=1
	s_wait_alu 0xfffe
	s_or_b32 exec_lo, exec_lo, s18
	scratch_load_b32 v2, off, off offset:4  ; 4-byte Folded Reload
	s_lshl_b64 s[18:19], s[52:53], 4
	s_wait_loadcnt 0x0
	v_add_co_u32 v2, vcc_lo, v9, v2
	s_wait_alu 0xfffd
	v_add_co_ci_u32_e64 v3, null, 0, v10, vcc_lo
	s_wait_alu 0xfffe
	s_delay_alu instid0(VALU_DEP_2) | instskip(SKIP_1) | instid1(VALU_DEP_2)
	v_add_co_u32 v2, vcc_lo, v2, s18
	s_wait_alu 0xfffd
	v_add_co_ci_u32_e64 v3, null, s19, v3, vcc_lo
	s_mov_b32 s18, 0
	v_add_co_u32 v2, vcc_lo, 0x210, v2
	s_wait_alu 0xfffd
	v_add_co_ci_u32_e64 v3, null, 0, v3, vcc_lo
	s_delay_alu instid0(VALU_DEP_2) | instskip(NEXT) | instid1(VALU_DEP_2)
	v_cndmask_b32_e64 v9, v2, v11, s11
	v_cndmask_b32_e64 v10, v3, v12, s11
.LBB189_45:                             ;   in Loop: Header=BB189_4 Depth=1
	s_wait_alu 0xfffe
	s_and_b32 vcc_lo, exec_lo, s18
	s_wait_alu 0xfffe
	s_cbranch_vccz .LBB189_47
; %bb.46:                               ;   in Loop: Header=BB189_4 Depth=1
	flat_load_b128 v[15:18], v[11:12]
	s_lshl_b64 s[18:19], s[48:49], 4
	v_dual_mov_b32 v9, v11 :: v_dual_add_nc_u32 v4, 0x1080, v188
	s_wait_alu 0xfffe
	v_add_co_u32 v2, vcc_lo, v13, s18
	s_wait_alu 0xfffd
	v_add_co_ci_u32_e64 v3, null, s19, v14, vcc_lo
	v_mov_b32_e32 v10, v12
	s_wait_loadcnt_dscnt 0x0
	ds_store_2addr_b64 v188, v[15:16], v[17:18] offset1:1
	flat_load_b128 v[13:16], v[2:3] offset:512
	v_add_co_u32 v2, vcc_lo, v2, s54
	s_wait_alu 0xfffd
	v_add_co_ci_u32_e64 v3, null, s55, v3, vcc_lo
	s_wait_loadcnt_dscnt 0x0
	ds_store_2addr_b64 v4, v[13:14], v[15:16] offset1:1
	flat_load_b128 v[13:16], v[2:3] offset:512
	v_add_co_u32 v2, vcc_lo, v2, s54
	v_add_nc_u32_e32 v4, 0x2100, v188
	s_wait_alu 0xfffd
	v_add_co_ci_u32_e64 v3, null, s55, v3, vcc_lo
	s_wait_loadcnt_dscnt 0x0
	ds_store_2addr_b64 v4, v[13:14], v[15:16] offset1:1
	flat_load_b128 v[13:16], v[2:3] offset:512
	v_add_nc_u32_e32 v2, 0x3180, v188
	s_wait_loadcnt_dscnt 0x0
	ds_store_2addr_b64 v2, v[13:14], v[15:16] offset1:1
.LBB189_47:                             ;   in Loop: Header=BB189_4 Depth=1
	s_wait_loadcnt_dscnt 0x0
	s_barrier_signal -1
	s_barrier_wait -1
	global_inv scope:SCOPE_SE
	s_and_saveexec_b32 s18, s6
	s_cbranch_execnz .LBB189_135
; %bb.48:                               ;   in Loop: Header=BB189_4 Depth=1
	s_wait_alu 0xfffe
	s_or_b32 exec_lo, exec_lo, s18
	s_and_saveexec_b32 s18, s7
	s_cbranch_execnz .LBB189_136
.LBB189_49:                             ;   in Loop: Header=BB189_4 Depth=1
	s_wait_alu 0xfffe
	s_or_b32 exec_lo, exec_lo, s18
	s_and_saveexec_b32 s18, s8
	s_cbranch_execnz .LBB189_137
.LBB189_50:                             ;   in Loop: Header=BB189_4 Depth=1
	s_wait_alu 0xfffe
	s_or_b32 exec_lo, exec_lo, s18
	s_and_saveexec_b32 s18, s9
	s_cbranch_execz .LBB189_52
.LBB189_51:                             ;   in Loop: Header=BB189_4 Depth=1
	v_add_nc_u32_e32 v2, 0x420, v208
	ds_load_b128 v[11:14], v2
	v_add_nc_u32_e32 v2, 48, v195
	s_wait_dscnt 0x0
	ds_store_b128 v2, v[11:14]
.LBB189_52:                             ;   in Loop: Header=BB189_4 Depth=1
	s_wait_alu 0xfffe
	s_or_b32 exec_lo, exec_lo, s18
	s_wait_loadcnt_dscnt 0x0
	s_barrier_signal -1
	s_barrier_wait -1
	global_inv scope:SCOPE_SE
	ds_load_b128 v[11:14], v250
	ds_load_b128 v[15:18], v186 offset:512
	ds_load_b128 v[19:22], v186 offset:528
	ds_load_b128 v[23:26], v208
	v_add_nc_u32_e32 v4, 0x210, v208
	s_wait_dscnt 0x2
	v_mul_f64_e32 v[2:3], v[17:18], v[13:14]
	v_mul_f64_e32 v[13:14], v[15:16], v[13:14]
	s_wait_dscnt 0x0
	v_mul_f64_e32 v[33:34], v[21:22], v[25:26]
	v_mul_f64_e32 v[35:36], v[19:20], v[25:26]
	s_delay_alu instid0(VALU_DEP_4) | instskip(NEXT) | instid1(VALU_DEP_4)
	v_fma_f64 v[2:3], v[15:16], v[11:12], -v[2:3]
	v_fma_f64 v[37:38], v[17:18], v[11:12], v[13:14]
	ds_load_b128 v[11:14], v4
	ds_load_b128 v[15:18], v186 offset:544
	ds_load_b128 v[25:28], v186 offset:560
	v_fma_f64 v[19:20], v[19:20], v[23:24], -v[33:34]
	v_fma_f64 v[21:22], v[21:22], v[23:24], v[35:36]
	v_add_nc_u32_e32 v4, 0x420, v208
	ds_load_b128 v[29:32], v4
	s_wait_loadcnt_dscnt 0x0
	s_barrier_signal -1
	s_barrier_wait -1
	global_inv scope:SCOPE_SE
	v_mul_f64_e32 v[39:40], v[17:18], v[13:14]
	v_mul_f64_e32 v[13:14], v[15:16], v[13:14]
	;; [unrolled: 1-line block ×4, first 2 shown]
	v_add_f64_e32 v[2:3], 0, v[2:3]
	v_add_f64_e32 v[23:24], 0, v[37:38]
	v_fma_f64 v[15:16], v[15:16], v[11:12], -v[39:40]
	v_fma_f64 v[11:12], v[17:18], v[11:12], v[13:14]
	v_fma_f64 v[17:18], v[25:26], v[29:30], -v[33:34]
	v_add_f64_e32 v[2:3], v[2:3], v[19:20]
	v_add_f64_e32 v[13:14], v[23:24], v[21:22]
	v_fma_f64 v[19:20], v[27:28], v[29:30], v[31:32]
	s_delay_alu instid0(VALU_DEP_3) | instskip(NEXT) | instid1(VALU_DEP_3)
	v_add_f64_e32 v[2:3], v[2:3], v[15:16]
	v_add_f64_e32 v[13:14], v[13:14], v[11:12]
	s_delay_alu instid0(VALU_DEP_2) | instskip(NEXT) | instid1(VALU_DEP_2)
	v_add_f64_e32 v[11:12], v[2:3], v[17:18]
	v_add_f64_e32 v[13:14], v[13:14], v[19:20]
	ds_store_b128 v252, v[11:14]
	s_wait_loadcnt_dscnt 0x0
	s_barrier_signal -1
	s_barrier_wait -1
	global_inv scope:SCOPE_SE
	s_and_saveexec_b32 s18, s16
	s_cbranch_execz .LBB189_54
; %bb.53:                               ;   in Loop: Header=BB189_4 Depth=1
	ds_load_b128 v[2:5], v196
	ds_load_b128 v[11:14], v196 offset:16
	s_wait_dscnt 0x0
	v_add_f64_e32 v[6:7], v[11:12], v[2:3]
	v_add_f64_e32 v[15:16], v[13:14], v[4:5]
	ds_load_b128 v[2:5], v196 offset:32
	ds_load_b128 v[11:14], v196 offset:48
	s_wait_dscnt 0x1
	v_add_f64_e32 v[2:3], v[6:7], v[2:3]
	v_add_f64_e32 v[4:5], v[15:16], v[4:5]
	s_wait_dscnt 0x0
	s_delay_alu instid0(VALU_DEP_2) | instskip(NEXT) | instid1(VALU_DEP_2)
	v_add_f64_e32 v[6:7], v[2:3], v[11:12]
	v_add_f64_e32 v[15:16], v[4:5], v[13:14]
	ds_load_b128 v[2:5], v196 offset:64
	ds_load_b128 v[11:14], v196 offset:80
	s_wait_dscnt 0x1
	v_add_f64_e32 v[2:3], v[6:7], v[2:3]
	v_add_f64_e32 v[4:5], v[15:16], v[4:5]
	s_wait_dscnt 0x0
	s_delay_alu instid0(VALU_DEP_2) | instskip(NEXT) | instid1(VALU_DEP_2)
	;; [unrolled: 9-line block ×3, first 2 shown]
	v_add_f64_e32 v[5:6], v[2:3], v[11:12]
	v_add_f64_e32 v[7:8], v[7:8], v[13:14]
.LBB189_54:                             ;   in Loop: Header=BB189_4 Depth=1
	s_wait_alu 0xfffe
	s_or_b32 exec_lo, exec_lo, s18
	v_add_co_u32 v11, vcc_lo, 0xfffffe00, v9
	s_wait_alu 0xfffd
	v_add_co_ci_u32_e64 v12, null, -1, v10, vcc_lo
	s_and_b32 vcc_lo, exec_lo, s73
	s_mov_b32 s18, -1
	s_wait_loadcnt 0x0
	s_barrier_signal -1
	s_barrier_wait -1
	global_inv scope:SCOPE_SE
                                        ; implicit-def: $vgpr2_vgpr3
	s_wait_alu 0xfffe
	s_cbranch_vccz .LBB189_66
; %bb.55:                               ;   in Loop: Header=BB189_4 Depth=1
	s_and_saveexec_b32 s18, s12
	s_wait_alu 0xfffe
	s_xor_b32 s18, exec_lo, s18
; %bb.56:                               ;   in Loop: Header=BB189_4 Depth=1
	v_dual_mov_b32 v2, v1 :: v_dual_mov_b32 v3, v1
	v_mov_b32_e32 v4, v1
	ds_store_b128 v188, v[1:4]
; %bb.57:                               ;   in Loop: Header=BB189_4 Depth=1
	s_wait_alu 0xfffe
	s_or_saveexec_b32 s18, s18
	v_add_co_u32 v2, vcc_lo, v9, v174
	s_wait_alu 0xfffd
	v_add_co_ci_u32_e64 v3, null, v10, v175, vcc_lo
	s_lshl_b64 s[68:69], s[42:43], 4
	s_wait_alu 0xfffe
	v_add_co_u32 v2, vcc_lo, v2, s68
	s_wait_alu 0xfffd
	v_add_co_ci_u32_e64 v3, null, s69, v3, vcc_lo
	s_delay_alu instid0(VALU_DEP_2) | instskip(SKIP_1) | instid1(VALU_DEP_2)
	v_add_co_u32 v2, vcc_lo, 0xfffffdf0, v2
	s_wait_alu 0xfffd
	v_add_co_ci_u32_e64 v3, null, -1, v3, vcc_lo
	s_delay_alu instid0(VALU_DEP_2) | instskip(NEXT) | instid1(VALU_DEP_2)
	v_cndmask_b32_e64 v13, v2, v11, s1
	v_cndmask_b32_e64 v14, v3, v12, s1
	s_xor_b32 exec_lo, exec_lo, s18
	s_cbranch_execnz .LBB189_150
; %bb.58:                               ;   in Loop: Header=BB189_4 Depth=1
	s_or_b32 exec_lo, exec_lo, s18
	s_and_saveexec_b32 s18, s13
	s_wait_alu 0xfffe
	s_xor_b32 s18, exec_lo, s18
	s_cbranch_execnz .LBB189_151
.LBB189_59:                             ;   in Loop: Header=BB189_4 Depth=1
	s_wait_alu 0xfffe
	s_and_not1_saveexec_b32 s18, s18
	s_cbranch_execnz .LBB189_152
.LBB189_60:                             ;   in Loop: Header=BB189_4 Depth=1
	s_wait_alu 0xfffe
	s_or_b32 exec_lo, exec_lo, s18
	s_and_saveexec_b32 s18, s14
	s_wait_alu 0xfffe
	s_xor_b32 s18, exec_lo, s18
	s_cbranch_execnz .LBB189_153
.LBB189_61:                             ;   in Loop: Header=BB189_4 Depth=1
	s_wait_alu 0xfffe
	s_and_not1_saveexec_b32 s18, s18
	s_cbranch_execnz .LBB189_154
.LBB189_62:                             ;   in Loop: Header=BB189_4 Depth=1
	s_wait_alu 0xfffe
	s_or_b32 exec_lo, exec_lo, s18
	s_and_saveexec_b32 s18, s15
	s_wait_alu 0xfffe
	s_xor_b32 s18, exec_lo, s18
	s_cbranch_execnz .LBB189_155
.LBB189_63:                             ;   in Loop: Header=BB189_4 Depth=1
	s_wait_alu 0xfffe
	s_and_not1_saveexec_b32 s18, s18
	s_cbranch_execz .LBB189_65
.LBB189_64:                             ;   in Loop: Header=BB189_4 Depth=1
	s_lshl_b64 s[68:69], s[50:51], 4
	s_wait_alu 0xfffe
	v_add_co_u32 v2, vcc_lo, v13, s68
	s_wait_alu 0xfffd
	v_add_co_ci_u32_e64 v3, null, s69, v14, vcc_lo
	flat_load_b128 v[15:18], v[2:3]
	v_add_nc_u32_e32 v2, 0x3180, v188
	s_wait_loadcnt_dscnt 0x0
	ds_store_2addr_b64 v2, v[15:16], v[17:18] offset1:1
.LBB189_65:                             ;   in Loop: Header=BB189_4 Depth=1
	s_wait_alu 0xfffe
	s_or_b32 exec_lo, exec_lo, s18
	scratch_load_b32 v2, off, off offset:4  ; 4-byte Folded Reload
	s_lshl_b64 s[18:19], s[52:53], 4
	s_wait_loadcnt 0x0
	v_add_co_u32 v2, vcc_lo, v13, v2
	s_wait_alu 0xfffd
	v_add_co_ci_u32_e64 v3, null, 0, v14, vcc_lo
	s_wait_alu 0xfffe
	s_delay_alu instid0(VALU_DEP_2) | instskip(SKIP_1) | instid1(VALU_DEP_2)
	v_add_co_u32 v2, vcc_lo, v2, s18
	s_wait_alu 0xfffd
	v_add_co_ci_u32_e64 v3, null, s19, v3, vcc_lo
	s_mov_b32 s18, 0
	v_add_co_u32 v2, vcc_lo, v2, 16
	s_wait_alu 0xfffd
	v_add_co_ci_u32_e64 v3, null, 0, v3, vcc_lo
	s_delay_alu instid0(VALU_DEP_2) | instskip(NEXT) | instid1(VALU_DEP_2)
	v_cndmask_b32_e64 v2, v2, v11, s1
	v_cndmask_b32_e64 v3, v3, v12, s1
.LBB189_66:                             ;   in Loop: Header=BB189_4 Depth=1
	s_wait_alu 0xfffe
	s_and_b32 vcc_lo, exec_lo, s18
	s_wait_alu 0xfffe
	s_cbranch_vccz .LBB189_68
; %bb.67:                               ;   in Loop: Header=BB189_4 Depth=1
	flat_load_b128 v[13:16], v[11:12]
	s_lshl_b64 s[18:19], s[48:49], 4
	v_add_nc_u32_e32 v4, 0x1080, v188
	s_wait_alu 0xfffe
	v_add_co_u32 v2, vcc_lo, v9, s18
	s_wait_alu 0xfffd
	v_add_co_ci_u32_e64 v3, null, s19, v10, vcc_lo
	s_wait_loadcnt_dscnt 0x0
	ds_store_2addr_b64 v188, v[13:14], v[15:16] offset1:1
	flat_load_b128 v[13:16], v[2:3] offset:-512
	v_add_co_u32 v2, vcc_lo, v2, s54
	s_wait_alu 0xfffd
	v_add_co_ci_u32_e64 v3, null, s55, v3, vcc_lo
	s_wait_loadcnt_dscnt 0x0
	ds_store_2addr_b64 v4, v[13:14], v[15:16] offset1:1
	flat_load_b128 v[13:16], v[2:3] offset:-512
	v_add_co_u32 v2, vcc_lo, v2, s54
	v_add_nc_u32_e32 v4, 0x2100, v188
	s_wait_alu 0xfffd
	v_add_co_ci_u32_e64 v3, null, s55, v3, vcc_lo
	s_wait_loadcnt_dscnt 0x0
	ds_store_2addr_b64 v4, v[13:14], v[15:16] offset1:1
	flat_load_b128 v[13:16], v[2:3] offset:-512
	v_dual_mov_b32 v2, v11 :: v_dual_mov_b32 v3, v12
	v_add_nc_u32_e32 v4, 0x3180, v188
	s_wait_loadcnt_dscnt 0x0
	ds_store_2addr_b64 v4, v[13:14], v[15:16] offset1:1
.LBB189_68:                             ;   in Loop: Header=BB189_4 Depth=1
	s_wait_loadcnt_dscnt 0x0
	s_barrier_signal -1
	s_barrier_wait -1
	global_inv scope:SCOPE_SE
	scratch_load_b32 v4, off, off offset:28 ; 4-byte Folded Reload
	s_wait_loadcnt 0x0
	ds_load_b128 v[9:12], v4
	ds_load_b128 v[13:16], v202
	ds_load_b128 v[17:20], v252 offset:384
	ds_load_b128 v[21:24], v202 offset:384
	;; [unrolled: 1-line block ×6, first 2 shown]
	v_add_nc_u32_e32 v4, 0x210, v208
	s_wait_dscnt 0x6
	v_mul_f64_e32 v[43:44], v[11:12], v[15:16]
	v_mul_f64_e32 v[15:16], v[9:10], v[15:16]
	s_wait_dscnt 0x2
	v_mul_f64_e32 v[45:46], v[31:32], v[27:28]
	v_mul_f64_e32 v[27:28], v[29:30], v[27:28]
	s_delay_alu instid0(VALU_DEP_4) | instskip(NEXT) | instid1(VALU_DEP_4)
	v_fma_f64 v[9:10], v[9:10], v[13:14], -v[43:44]
	v_fma_f64 v[11:12], v[11:12], v[13:14], v[15:16]
	s_wait_dscnt 0x0
	v_mul_f64_e32 v[13:14], v[35:36], v[39:40]
	v_mul_f64_e32 v[15:16], v[33:34], v[39:40]
	v_fma_f64 v[29:30], v[29:30], v[25:26], -v[45:46]
	v_fma_f64 v[25:26], v[31:32], v[25:26], v[27:28]
	v_mul_f64_e32 v[27:28], v[19:20], v[23:24]
	v_mul_f64_e32 v[23:24], v[17:18], v[23:24]
	v_add_f64_e32 v[9:10], 0, v[9:10]
	v_add_f64_e32 v[11:12], 0, v[11:12]
	v_fma_f64 v[13:14], v[33:34], v[37:38], -v[13:14]
	v_fma_f64 v[15:16], v[35:36], v[37:38], v[15:16]
	v_fma_f64 v[17:18], v[17:18], v[21:22], -v[27:28]
	v_fma_f64 v[19:20], v[19:20], v[21:22], v[23:24]
	v_add_f64_e32 v[9:10], v[9:10], v[29:30]
	v_add_f64_e32 v[11:12], v[11:12], v[25:26]
	s_delay_alu instid0(VALU_DEP_2) | instskip(NEXT) | instid1(VALU_DEP_2)
	v_add_f64_e32 v[9:10], v[9:10], v[13:14]
	v_add_f64_e32 v[11:12], v[11:12], v[15:16]
	s_delay_alu instid0(VALU_DEP_2) | instskip(NEXT) | instid1(VALU_DEP_2)
	v_add_f64_e32 v[43:44], v[9:10], v[17:18]
	v_add_f64_e32 v[45:46], v[11:12], v[19:20]
	ds_load_b128 v[33:36], v186 offset:512
	ds_load_b128 v[25:28], v186 offset:528
	;; [unrolled: 1-line block ×4, first 2 shown]
	ds_load_b128 v[37:40], v250
	ds_load_b128 v[29:32], v208
	;; [unrolled: 1-line block ×3, first 2 shown]
	v_add_nc_u32_e32 v4, 0x420, v208
	ds_load_b128 v[17:20], v4
	s_wait_dscnt 0x0
	s_barrier_signal -1
	s_barrier_wait -1
	global_inv scope:SCOPE_SE
	ds_store_b128 v252, v[43:46]
	s_wait_loadcnt_dscnt 0x0
	s_barrier_signal -1
	s_barrier_wait -1
	global_inv scope:SCOPE_SE
	s_and_saveexec_b32 s18, s16
	s_cbranch_execz .LBB189_70
; %bb.69:                               ;   in Loop: Header=BB189_4 Depth=1
	ds_load_b128 v[43:46], v196
	ds_load_b128 v[47:50], v196 offset:16
	s_wait_dscnt 0x1
	v_add_f64_e32 v[4:5], v[5:6], v[43:44]
	v_add_f64_e32 v[6:7], v[7:8], v[45:46]
	s_wait_dscnt 0x0
	s_delay_alu instid0(VALU_DEP_2) | instskip(NEXT) | instid1(VALU_DEP_2)
	v_add_f64_e32 v[47:48], v[4:5], v[47:48]
	v_add_f64_e32 v[49:50], v[6:7], v[49:50]
	ds_load_b128 v[4:7], v196 offset:32
	ds_load_b128 v[43:46], v196 offset:48
	s_wait_dscnt 0x1
	v_add_f64_e32 v[4:5], v[47:48], v[4:5]
	v_add_f64_e32 v[6:7], v[49:50], v[6:7]
	s_wait_dscnt 0x0
	s_delay_alu instid0(VALU_DEP_2) | instskip(NEXT) | instid1(VALU_DEP_2)
	v_add_f64_e32 v[47:48], v[4:5], v[43:44]
	v_add_f64_e32 v[49:50], v[6:7], v[45:46]
	ds_load_b128 v[4:7], v196 offset:64
	;; [unrolled: 9-line block ×3, first 2 shown]
	ds_load_b128 v[43:46], v196 offset:112
	s_wait_dscnt 0x1
	v_add_f64_e32 v[4:5], v[47:48], v[4:5]
	v_add_f64_e32 v[7:8], v[49:50], v[6:7]
	s_wait_dscnt 0x0
	s_delay_alu instid0(VALU_DEP_2) | instskip(NEXT) | instid1(VALU_DEP_2)
	v_add_f64_e32 v[5:6], v[4:5], v[43:44]
	v_add_f64_e32 v[7:8], v[7:8], v[45:46]
.LBB189_70:                             ;   in Loop: Header=BB189_4 Depth=1
	s_wait_alu 0xfffe
	s_or_b32 exec_lo, exec_lo, s18
	v_mul_f64_e32 v[43:44], v[35:36], v[39:40]
	v_mul_f64_e32 v[39:40], v[33:34], v[39:40]
	;; [unrolled: 1-line block ×4, first 2 shown]
	s_wait_loadcnt 0x0
	s_barrier_signal -1
	s_barrier_wait -1
	global_inv scope:SCOPE_SE
	v_fma_f64 v[33:34], v[33:34], v[37:38], -v[43:44]
	v_fma_f64 v[35:36], v[35:36], v[37:38], v[39:40]
	v_mul_f64_e32 v[37:38], v[15:16], v[23:24]
	v_mul_f64_e32 v[23:24], v[13:14], v[23:24]
	v_fma_f64 v[25:26], v[25:26], v[29:30], -v[45:46]
	v_fma_f64 v[27:28], v[27:28], v[29:30], v[31:32]
	v_add_f64_e32 v[29:30], 0, v[33:34]
	v_add_f64_e32 v[31:32], 0, v[35:36]
	v_mul_f64_e32 v[33:34], v[11:12], v[19:20]
	v_mul_f64_e32 v[19:20], v[9:10], v[19:20]
	v_fma_f64 v[13:14], v[13:14], v[21:22], -v[37:38]
	v_fma_f64 v[15:16], v[15:16], v[21:22], v[23:24]
	v_add_f64_e32 v[21:22], v[29:30], v[25:26]
	v_add_f64_e32 v[23:24], v[31:32], v[27:28]
	v_fma_f64 v[9:10], v[9:10], v[17:18], -v[33:34]
	v_fma_f64 v[11:12], v[11:12], v[17:18], v[19:20]
	s_delay_alu instid0(VALU_DEP_4) | instskip(NEXT) | instid1(VALU_DEP_4)
	v_add_f64_e32 v[13:14], v[21:22], v[13:14]
	v_add_f64_e32 v[15:16], v[23:24], v[15:16]
	s_delay_alu instid0(VALU_DEP_2) | instskip(NEXT) | instid1(VALU_DEP_2)
	v_add_f64_e32 v[9:10], v[13:14], v[9:10]
	v_add_f64_e32 v[11:12], v[15:16], v[11:12]
	ds_store_b128 v252, v[9:12]
	s_wait_loadcnt_dscnt 0x0
	s_barrier_signal -1
	s_barrier_wait -1
	global_inv scope:SCOPE_SE
	s_and_saveexec_b32 s18, s10
	s_cbranch_execz .LBB189_72
; %bb.71:                               ;   in Loop: Header=BB189_4 Depth=1
	ds_load_b128 v[9:12], v196
	ds_load_b128 v[13:16], v196 offset:16
	s_wait_dscnt 0x1
	v_add_f64_e32 v[4:5], v[5:6], v[9:10]
	v_add_f64_e32 v[6:7], v[7:8], v[11:12]
	s_wait_dscnt 0x0
	s_delay_alu instid0(VALU_DEP_2) | instskip(NEXT) | instid1(VALU_DEP_2)
	v_add_f64_e32 v[12:13], v[4:5], v[13:14]
	v_add_f64_e32 v[14:15], v[6:7], v[15:16]
	ds_load_b128 v[4:7], v196 offset:32
	ds_load_b128 v[8:11], v196 offset:48
	s_wait_dscnt 0x1
	v_add_f64_e32 v[4:5], v[12:13], v[4:5]
	v_add_f64_e32 v[6:7], v[14:15], v[6:7]
	s_wait_dscnt 0x0
	s_delay_alu instid0(VALU_DEP_2) | instskip(NEXT) | instid1(VALU_DEP_2)
	v_add_f64_e32 v[12:13], v[4:5], v[8:9]
	v_add_f64_e32 v[14:15], v[6:7], v[10:11]
	ds_load_b128 v[4:7], v196 offset:64
	;; [unrolled: 9-line block ×3, first 2 shown]
	ds_load_b128 v[8:11], v196 offset:112
	s_wait_dscnt 0x1
	v_add_f64_e32 v[4:5], v[12:13], v[4:5]
	v_add_f64_e32 v[12:13], v[14:15], v[6:7]
	s_wait_dscnt 0x0
	s_delay_alu instid0(VALU_DEP_2) | instskip(NEXT) | instid1(VALU_DEP_2)
	v_add_f64_e32 v[5:6], v[4:5], v[8:9]
	v_add_f64_e32 v[7:8], v[12:13], v[10:11]
.LBB189_72:                             ;   in Loop: Header=BB189_4 Depth=1
	s_wait_alu 0xfffe
	s_or_b32 exec_lo, exec_lo, s18
	s_mul_u64 s[18:19], s[44:45], s[34:35]
	s_and_not1_b32 vcc_lo, exec_lo, s41
	s_wait_alu 0xfffe
	s_lshl_b64 s[18:19], s[18:19], 4
	s_wait_loadcnt 0x0
	s_wait_alu 0xfffe
	s_add_nc_u64 s[68:69], s[46:47], s[18:19]
	s_barrier_signal -1
	s_barrier_wait -1
	global_inv scope:SCOPE_SE
	s_cbranch_vccnz .LBB189_130
; %bb.73:                               ;   in Loop: Header=BB189_4 Depth=1
	scratch_load_b32 v4, off, off offset:48 ; 4-byte Folded Reload
	v_add_co_u32 v253, vcc_lo, v41, s66
	s_wait_alu 0xfffd
	v_add_co_ci_u32_e64 v254, null, s67, v42, vcc_lo
	s_mov_b32 s19, ttmp9
	s_mov_b32 s70, s78
	s_clause 0x1
	scratch_load_b64 v[9:10], off, off offset:36
	scratch_load_b32 v184, off, off offset:32
	s_wait_loadcnt 0x2
	v_add_co_u32 v255, vcc_lo, v2, v4
	scratch_load_b32 v4, off, off offset:44 ; 4-byte Folded Reload
	s_wait_loadcnt 0x0
	s_wait_alu 0xfffd
	v_add_co_ci_u32_e64 v209, null, v3, v4, vcc_lo
	scratch_load_b32 v4, off, off offset:56 ; 4-byte Folded Reload
	s_wait_loadcnt 0x0
	v_add_co_u32 v212, vcc_lo, v2, v4
	scratch_load_b32 v4, off, off offset:52 ; 4-byte Folded Reload
	s_wait_loadcnt 0x0
	s_wait_alu 0xfffd
	v_add_co_ci_u32_e64 v213, null, v3, v4, vcc_lo
	scratch_load_b32 v4, off, off offset:60 ; 4-byte Folded Reload
	;; [unrolled: 7-line block ×5, first 2 shown]
	v_add_co_u32 v220, vcc_lo, v2, v9
	s_wait_alu 0xfffd
	v_add_co_ci_u32_e64 v221, null, v3, v10, vcc_lo
	s_wait_loadcnt 0x0
	v_add_co_u32 v222, vcc_lo, v2, v4
	scratch_load_b32 v4, off, off offset:88 ; 4-byte Folded Reload
	s_wait_loadcnt 0x0
	s_wait_alu 0xfffd
	v_add_co_ci_u32_e64 v223, null, v3, v4, vcc_lo
	scratch_load_b32 v4, off, off offset:92 ; 4-byte Folded Reload
	s_wait_loadcnt 0x0
	v_add_co_u32 v224, vcc_lo, v2, v4
	scratch_load_b32 v4, off, off offset:96 ; 4-byte Folded Reload
	s_wait_loadcnt 0x0
	s_wait_alu 0xfffd
	v_add_co_ci_u32_e64 v225, null, v3, v4, vcc_lo
	scratch_load_b32 v4, off, off offset:100 ; 4-byte Folded Reload
	;; [unrolled: 7-line block ×13, first 2 shown]
	s_wait_loadcnt 0x0
	v_add_co_u32 v248, vcc_lo, v2, v4
	scratch_load_b32 v2, off, off offset:188 ; 4-byte Folded Reload
	s_wait_loadcnt 0x0
	s_wait_alu 0xfffd
	v_add_co_ci_u32_e64 v249, null, v3, v2, vcc_lo
	s_wait_alu 0xfffe
	s_cmp_eq_u32 s75, s19
	s_cselect_b32 s79, s72, 0
	s_and_saveexec_b32 s18, s0
	s_cbranch_execz .LBB189_78
.LBB189_74:                             ;   in Loop: Header=BB189_4 Depth=1
	s_wait_alu 0xfffe
	v_cmp_le_i32_e32 vcc_lo, s79, v173
	s_cmp_lg_u32 s79, 0
	s_cselect_b32 s71, -1, 0
	s_wait_alu 0xfffe
	s_and_b32 s71, s71, vcc_lo
	s_wait_alu 0xfffe
	s_and_saveexec_b32 s80, s71
	s_wait_alu 0xfffe
	s_xor_b32 s71, exec_lo, s80
; %bb.75:                               ;   in Loop: Header=BB189_4 Depth=1
	v_dual_mov_b32 v2, v1 :: v_dual_mov_b32 v3, v1
	v_mov_b32_e32 v4, v1
	ds_store_b128 v203, v[1:4]
; %bb.76:                               ;   in Loop: Header=BB189_4 Depth=1
	s_wait_alu 0xfffe
	s_and_not1_saveexec_b32 s71, s71
	s_cbranch_execz .LBB189_78
; %bb.77:                               ;   in Loop: Header=BB189_4 Depth=1
	s_ashr_i32 s71, s70, 31
	s_wait_alu 0xfffe
	s_lshl_b64 s[80:81], s[70:71], 4
	s_wait_alu 0xfffe
	v_add_co_u32 v2, vcc_lo, v253, s80
	s_wait_alu 0xfffd
	v_add_co_ci_u32_e64 v3, null, s81, v254, vcc_lo
	flat_load_b128 v[9:12], v[2:3]
	s_wait_loadcnt_dscnt 0x0
	ds_store_2addr_b64 v203, v[9:10], v[11:12] offset1:1
.LBB189_78:                             ;   Parent Loop BB189_4 Depth=1
                                        ; =>  This Inner Loop Header: Depth=2
	s_wait_alu 0xfffe
	s_or_b32 exec_lo, exec_lo, s18
	s_cmp_eq_u32 s79, 0
	v_add_co_u32 v2, vcc_lo, v218, v210
	s_cselect_b32 s71, -1, 0
	s_cmp_lg_u32 s79, 0
	s_wait_alu 0xfffd
	v_add_co_ci_u32_e64 v3, null, v219, v211, vcc_lo
	s_cselect_b32 s18, -1, 0
	s_wait_dscnt 0x0
	s_wait_alu 0xfffe
	s_and_b32 vcc_lo, exec_lo, s18
	s_barrier_signal -1
	s_barrier_wait -1
	global_inv scope:SCOPE_SE
	s_wait_alu 0xfffe
	s_cbranch_vccz .LBB189_86
; %bb.79:                               ;   in Loop: Header=BB189_78 Depth=2
	v_mov_b32_e32 v9, 0
	v_dual_mov_b32 v10, 0 :: v_dual_mov_b32 v13, 0
	v_dual_mov_b32 v15, 0 :: v_dual_mov_b32 v14, 0
	v_mov_b32_e32 v16, 0
	s_mov_b32 s80, exec_lo
	v_cmpx_gt_i32_e64 s79, v201
	s_cbranch_execz .LBB189_81
; %bb.80:                               ;   in Loop: Header=BB189_78 Depth=2
	flat_load_b128 v[13:16], v[2:3]
.LBB189_81:                             ;   in Loop: Header=BB189_78 Depth=2
	s_wait_alu 0xfffe
	s_or_b32 exec_lo, exec_lo, s80
	v_mov_b32_e32 v11, 0
	v_or_b32_e32 v4, 1, v201
	v_mov_b32_e32 v12, 0
	s_mov_b32 s80, exec_lo
	s_delay_alu instid0(VALU_DEP_2)
	v_cmpx_gt_i32_e64 s79, v4
	s_cbranch_execz .LBB189_83
; %bb.82:                               ;   in Loop: Header=BB189_78 Depth=2
	v_add_co_u32 v9, vcc_lo, v214, v210
	s_wait_alu 0xfffd
	v_add_co_ci_u32_e64 v10, null, v215, v211, vcc_lo
	flat_load_b128 v[9:12], v[9:10]
.LBB189_83:                             ;   in Loop: Header=BB189_78 Depth=2
	s_wait_alu 0xfffe
	s_or_b32 exec_lo, exec_lo, s80
	v_mov_b32_e32 v17, 0
	v_dual_mov_b32 v18, 0 :: v_dual_mov_b32 v19, 0
	v_or_b32_e32 v4, 2, v201
	v_mov_b32_e32 v20, 0
	s_mov_b32 s80, exec_lo
	s_delay_alu instid0(VALU_DEP_2)
	v_cmpx_gt_i32_e64 s79, v4
	s_cbranch_execz .LBB189_85
; %bb.84:                               ;   in Loop: Header=BB189_78 Depth=2
	v_add_co_u32 v17, vcc_lo, v222, v210
	s_wait_alu 0xfffd
	v_add_co_ci_u32_e64 v18, null, v223, v211, vcc_lo
	flat_load_b128 v[17:20], v[17:18]
.LBB189_85:                             ;   in Loop: Header=BB189_78 Depth=2
	s_wait_alu 0xfffe
	s_or_b32 exec_lo, exec_lo, s80
	v_or_b32_e32 v4, 3, v201
	s_delay_alu instid0(VALU_DEP_1)
	v_cmp_gt_i32_e64 s80, s79, v4
	s_branch .LBB189_88
.LBB189_86:                             ;   in Loop: Header=BB189_78 Depth=2
	s_mov_b32 s80, 0
                                        ; implicit-def: $vgpr19_vgpr20
                                        ; implicit-def: $vgpr11_vgpr12
                                        ; implicit-def: $vgpr15_vgpr16
	s_cbranch_execz .LBB189_88
; %bb.87:                               ;   in Loop: Header=BB189_78 Depth=2
	s_wait_loadcnt_dscnt 0x0
	v_add_co_u32 v9, vcc_lo, v214, v210
	s_wait_alu 0xfffd
	v_add_co_ci_u32_e64 v10, null, v215, v211, vcc_lo
	v_add_co_u32 v17, vcc_lo, v255, v210
	s_wait_alu 0xfffd
	v_add_co_ci_u32_e64 v18, null, v209, v211, vcc_lo
	flat_load_b128 v[13:16], v[2:3]
	flat_load_b128 v[9:12], v[9:10]
	flat_load_b128 v[17:20], v[17:18] offset:-8
	s_wait_alu 0xfffe
	s_or_b32 s80, s80, exec_lo
.LBB189_88:                             ;   in Loop: Header=BB189_78 Depth=2
	v_mov_b32_e32 v21, 0
	v_dual_mov_b32 v22, 0 :: v_dual_mov_b32 v23, 0
	v_mov_b32_e32 v24, 0
	s_wait_alu 0xfffe
	s_and_saveexec_b32 s81, s80
	s_cbranch_execz .LBB189_90
; %bb.89:                               ;   in Loop: Header=BB189_78 Depth=2
	v_add_co_u32 v2, vcc_lo, v226, v210
	s_wait_alu 0xfffd
	v_add_co_ci_u32_e64 v3, null, v227, v211, vcc_lo
	flat_load_b128 v[21:24], v[2:3]
.LBB189_90:                             ;   in Loop: Header=BB189_78 Depth=2
	s_wait_alu 0xfffe
	s_or_b32 exec_lo, exec_lo, s81
	ds_load_b128 v[29:32], v187
	ds_load_b128 v[25:28], v0
	v_cndmask_b32_e64 v4, 0, 1, s18
	s_wait_loadcnt_dscnt 0x1
	v_mul_f64_e32 v[2:3], v[15:16], v[31:32]
	v_mul_f64_e32 v[33:34], v[13:14], v[31:32]
	;; [unrolled: 1-line block ×8, first 2 shown]
	v_fma_f64 v[41:42], v[13:14], v[29:30], -v[2:3]
	v_fma_f64 v[43:44], v[15:16], v[29:30], v[33:34]
	v_fma_f64 v[45:46], v[9:10], v[29:30], -v[35:36]
	v_fma_f64 v[47:48], v[11:12], v[29:30], v[37:38]
	v_fma_f64 v[49:50], v[17:18], v[29:30], -v[39:40]
	v_fma_f64 v[51:52], v[19:20], v[29:30], v[51:52]
	v_fma_f64 v[53:54], v[21:22], v[29:30], -v[53:54]
	v_fma_f64 v[55:56], v[23:24], v[29:30], v[31:32]
	ds_load_b128 v[37:40], v0 offset:16
	ds_load_b128 v[33:36], v0 offset:32
	;; [unrolled: 1-line block ×3, first 2 shown]
	v_add_co_u32 v2, vcc_lo, v238, v210
	s_wait_alu 0xfffd
	v_add_co_ci_u32_e64 v3, null, v239, v211, vcc_lo
	s_and_not1_b32 vcc_lo, exec_lo, s18
	ds_store_b128 v204, v[41:44]
	ds_store_b128 v204, v[45:48] offset:1072
	ds_store_b128 v204, v[49:52] offset:2144
	;; [unrolled: 1-line block ×3, first 2 shown]
	s_wait_dscnt 0x0
	s_barrier_signal -1
	s_barrier_wait -1
	global_inv scope:SCOPE_SE
	ds_load_b128 v[97:100], v205
	ds_load_b128 v[93:96], v205 offset:16
	ds_load_b128 v[89:92], v205 offset:32
	;; [unrolled: 1-line block ×3, first 2 shown]
	s_wait_loadcnt_dscnt 0x0
	s_barrier_signal -1
	s_barrier_wait -1
	global_inv scope:SCOPE_SE
	s_wait_alu 0xfffe
	s_cbranch_vccnz .LBB189_98
; %bb.91:                               ;   in Loop: Header=BB189_78 Depth=2
	v_mov_b32_e32 v41, 0
	v_mov_b32_e32 v45, 0
	;; [unrolled: 1-line block ×3, first 2 shown]
	v_dual_mov_b32 v42, 0 :: v_dual_add_nc_u32 v43, 16, v201
	v_mov_b32_e32 v46, 0
	v_mov_b32_e32 v48, 0
	s_mov_b32 s18, exec_lo
	s_delay_alu instid0(VALU_DEP_3)
	v_cmpx_gt_i32_e64 s79, v43
	s_cbranch_execz .LBB189_93
; %bb.92:                               ;   in Loop: Header=BB189_78 Depth=2
	flat_load_b128 v[45:48], v[2:3]
.LBB189_93:                             ;   in Loop: Header=BB189_78 Depth=2
	s_wait_alu 0xfffe
	s_or_b32 exec_lo, exec_lo, s18
	v_mov_b32_e32 v43, 0
	v_dual_mov_b32 v44, 0 :: v_dual_add_nc_u32 v49, 17, v201
	s_mov_b32 s18, exec_lo
	s_delay_alu instid0(VALU_DEP_1)
	v_cmpx_gt_i32_e64 s79, v49
	s_cbranch_execz .LBB189_95
; %bb.94:                               ;   in Loop: Header=BB189_78 Depth=2
	v_add_co_u32 v41, vcc_lo, v234, v210
	s_wait_alu 0xfffd
	v_add_co_ci_u32_e64 v42, null, v235, v211, vcc_lo
	flat_load_b128 v[41:44], v[41:42]
.LBB189_95:                             ;   in Loop: Header=BB189_78 Depth=2
	s_wait_alu 0xfffe
	s_or_b32 exec_lo, exec_lo, s18
	v_mov_b32_e32 v49, 0
	v_mov_b32_e32 v51, 0
	v_dual_mov_b32 v50, 0 :: v_dual_add_nc_u32 v53, 18, v201
	v_mov_b32_e32 v52, 0
	s_mov_b32 s18, exec_lo
	s_delay_alu instid0(VALU_DEP_2)
	v_cmpx_gt_i32_e64 s79, v53
	s_cbranch_execz .LBB189_97
; %bb.96:                               ;   in Loop: Header=BB189_78 Depth=2
	v_add_co_u32 v49, vcc_lo, v242, v210
	s_wait_alu 0xfffd
	v_add_co_ci_u32_e64 v50, null, v243, v211, vcc_lo
	flat_load_b128 v[49:52], v[49:50]
.LBB189_97:                             ;   in Loop: Header=BB189_78 Depth=2
	s_wait_alu 0xfffe
	s_or_b32 exec_lo, exec_lo, s18
	v_add_nc_u32_e32 v53, 19, v201
	s_delay_alu instid0(VALU_DEP_1)
	v_cmp_gt_i32_e64 s18, s79, v53
	s_branch .LBB189_100
.LBB189_98:                             ;   in Loop: Header=BB189_78 Depth=2
	s_mov_b32 s18, 0
                                        ; implicit-def: $vgpr51_vgpr52
                                        ; implicit-def: $vgpr43_vgpr44
                                        ; implicit-def: $vgpr47_vgpr48
	s_cbranch_execz .LBB189_100
; %bb.99:                               ;   in Loop: Header=BB189_78 Depth=2
	s_wait_loadcnt_dscnt 0x0
	v_add_co_u32 v41, vcc_lo, v234, v210
	s_wait_alu 0xfffd
	v_add_co_ci_u32_e64 v42, null, v235, v211, vcc_lo
	v_add_co_u32 v49, vcc_lo, v230, v210
	s_wait_alu 0xfffd
	v_add_co_ci_u32_e64 v50, null, v231, v211, vcc_lo
	flat_load_b128 v[45:48], v[2:3]
	flat_load_b128 v[41:44], v[41:42]
	flat_load_b128 v[49:52], v[49:50] offset:-8
	s_wait_alu 0xfffe
	s_or_b32 s18, s18, exec_lo
.LBB189_100:                            ;   in Loop: Header=BB189_78 Depth=2
	v_mov_b32_e32 v53, 0
	v_dual_mov_b32 v54, 0 :: v_dual_mov_b32 v55, 0
	v_mov_b32_e32 v56, 0
	s_wait_alu 0xfffe
	s_and_saveexec_b32 s80, s18
	s_cbranch_execz .LBB189_102
; %bb.101:                              ;   in Loop: Header=BB189_78 Depth=2
	v_add_co_u32 v2, vcc_lo, v246, v210
	s_wait_alu 0xfffd
	v_add_co_ci_u32_e64 v3, null, v247, v211, vcc_lo
	flat_load_b128 v[53:56], v[2:3]
.LBB189_102:                            ;   in Loop: Header=BB189_78 Depth=2
	s_wait_alu 0xfffe
	s_or_b32 exec_lo, exec_lo, s80
	ds_load_b128 v[61:64], v187
	ds_load_b128 v[57:60], v0 offset:256
	v_cmp_ne_u32_e32 vcc_lo, 1, v4
	s_and_b32 vcc_lo, exec_lo, vcc_lo
	s_wait_loadcnt_dscnt 0x1
	v_mul_f64_e32 v[2:3], v[47:48], v[63:64]
	v_mul_f64_e32 v[65:66], v[45:46], v[63:64]
	;; [unrolled: 1-line block ×8, first 2 shown]
	v_fma_f64 v[73:74], v[45:46], v[61:62], -v[2:3]
	v_fma_f64 v[75:76], v[47:48], v[61:62], v[65:66]
	v_fma_f64 v[77:78], v[41:42], v[61:62], -v[67:68]
	v_fma_f64 v[79:80], v[43:44], v[61:62], v[69:70]
	v_fma_f64 v[81:82], v[49:50], v[61:62], -v[71:72]
	v_fma_f64 v[83:84], v[51:52], v[61:62], v[83:84]
	v_fma_f64 v[101:102], v[53:54], v[61:62], -v[101:102]
	v_fma_f64 v[103:104], v[55:56], v[61:62], v[63:64]
	ds_load_b128 v[69:72], v0 offset:272
	ds_load_b128 v[65:68], v0 offset:288
	;; [unrolled: 1-line block ×3, first 2 shown]
	v_add_co_u32 v2, s18, v240, v210
	s_wait_alu 0xf1ff
	v_add_co_ci_u32_e64 v3, null, v241, v211, s18
	ds_store_b128 v204, v[73:76]
	ds_store_b128 v204, v[77:80] offset:1072
	ds_store_b128 v204, v[81:84] offset:2144
	;; [unrolled: 1-line block ×3, first 2 shown]
	s_wait_dscnt 0x0
	s_barrier_signal -1
	s_barrier_wait -1
	global_inv scope:SCOPE_SE
	ds_load_b128 v[145:148], v205
	ds_load_b128 v[141:144], v205 offset:16
	ds_load_b128 v[137:140], v205 offset:32
	;; [unrolled: 1-line block ×3, first 2 shown]
	s_wait_loadcnt_dscnt 0x0
	s_barrier_signal -1
	s_barrier_wait -1
	global_inv scope:SCOPE_SE
	s_wait_alu 0xfffe
	s_cbranch_vccnz .LBB189_110
; %bb.103:                              ;   in Loop: Header=BB189_78 Depth=2
	v_mov_b32_e32 v73, 0
	v_mov_b32_e32 v77, 0
	;; [unrolled: 1-line block ×3, first 2 shown]
	v_dual_mov_b32 v74, 0 :: v_dual_add_nc_u32 v75, 32, v201
	v_mov_b32_e32 v78, 0
	v_mov_b32_e32 v80, 0
	s_mov_b32 s18, exec_lo
	s_delay_alu instid0(VALU_DEP_3)
	v_cmpx_gt_i32_e64 s79, v75
	s_cbranch_execz .LBB189_105
; %bb.104:                              ;   in Loop: Header=BB189_78 Depth=2
	flat_load_b128 v[77:80], v[2:3] offset:-8
.LBB189_105:                            ;   in Loop: Header=BB189_78 Depth=2
	s_wait_alu 0xfffe
	s_or_b32 exec_lo, exec_lo, s18
	v_mov_b32_e32 v75, 0
	v_dual_mov_b32 v76, 0 :: v_dual_add_nc_u32 v81, 33, v201
	s_mov_b32 s18, exec_lo
	s_delay_alu instid0(VALU_DEP_1)
	v_cmpx_gt_i32_e64 s79, v81
	s_cbranch_execz .LBB189_107
; %bb.106:                              ;   in Loop: Header=BB189_78 Depth=2
	v_add_co_u32 v73, vcc_lo, v244, v210
	s_wait_alu 0xfffd
	v_add_co_ci_u32_e64 v74, null, v245, v211, vcc_lo
	flat_load_b128 v[73:76], v[73:74] offset:-8
.LBB189_107:                            ;   in Loop: Header=BB189_78 Depth=2
	s_wait_alu 0xfffe
	s_or_b32 exec_lo, exec_lo, s18
	v_mov_b32_e32 v81, 0
	v_mov_b32_e32 v83, 0
	v_dual_mov_b32 v82, 0 :: v_dual_add_nc_u32 v101, 34, v201
	v_mov_b32_e32 v84, 0
	s_mov_b32 s18, exec_lo
	s_delay_alu instid0(VALU_DEP_2)
	v_cmpx_gt_i32_e64 s79, v101
	s_cbranch_execz .LBB189_109
; %bb.108:                              ;   in Loop: Header=BB189_78 Depth=2
	v_add_co_u32 v81, vcc_lo, v236, v210
	s_wait_alu 0xfffd
	v_add_co_ci_u32_e64 v82, null, v237, v211, vcc_lo
	flat_load_b128 v[81:84], v[81:82] offset:-8
.LBB189_109:                            ;   in Loop: Header=BB189_78 Depth=2
	s_wait_alu 0xfffe
	s_or_b32 exec_lo, exec_lo, s18
	v_add_nc_u32_e32 v101, 35, v201
	s_delay_alu instid0(VALU_DEP_1)
	v_cmp_gt_i32_e64 s18, s79, v101
	s_branch .LBB189_112
.LBB189_110:                            ;   in Loop: Header=BB189_78 Depth=2
	s_mov_b32 s18, 0
                                        ; implicit-def: $vgpr83_vgpr84
                                        ; implicit-def: $vgpr75_vgpr76
                                        ; implicit-def: $vgpr79_vgpr80
	s_cbranch_execz .LBB189_112
; %bb.111:                              ;   in Loop: Header=BB189_78 Depth=2
	s_wait_loadcnt_dscnt 0x0
	v_add_co_u32 v73, vcc_lo, v244, v210
	s_wait_alu 0xfffd
	v_add_co_ci_u32_e64 v74, null, v245, v211, vcc_lo
	v_add_co_u32 v81, vcc_lo, v248, v210
	s_wait_alu 0xfffd
	v_add_co_ci_u32_e64 v82, null, v249, v211, vcc_lo
	flat_load_b128 v[77:80], v[2:3] offset:-8
	flat_load_b128 v[73:76], v[73:74] offset:-8
	;; [unrolled: 1-line block ×3, first 2 shown]
	s_wait_alu 0xfffe
	s_or_b32 s18, s18, exec_lo
.LBB189_112:                            ;   in Loop: Header=BB189_78 Depth=2
	v_mov_b32_e32 v101, 0
	v_dual_mov_b32 v102, 0 :: v_dual_mov_b32 v103, 0
	v_mov_b32_e32 v104, 0
	s_wait_alu 0xfffe
	s_and_saveexec_b32 s80, s18
	s_cbranch_execz .LBB189_114
; %bb.113:                              ;   in Loop: Header=BB189_78 Depth=2
	v_add_co_u32 v2, vcc_lo, v232, v210
	s_wait_alu 0xfffd
	v_add_co_ci_u32_e64 v3, null, v233, v211, vcc_lo
	flat_load_b128 v[101:104], v[2:3] offset:-8
.LBB189_114:                            ;   in Loop: Header=BB189_78 Depth=2
	s_wait_alu 0xfffe
	s_or_b32 exec_lo, exec_lo, s80
	ds_load_b128 v[109:112], v187
	ds_load_b128 v[105:108], v0 offset:512
	v_cmp_ne_u32_e32 vcc_lo, 1, v4
	s_and_b32 vcc_lo, exec_lo, vcc_lo
	s_wait_loadcnt_dscnt 0x1
	v_mul_f64_e32 v[2:3], v[79:80], v[111:112]
	v_mul_f64_e32 v[115:116], v[77:78], v[111:112]
	;; [unrolled: 1-line block ×5, first 2 shown]
	v_fma_f64 v[113:114], v[77:78], v[109:110], -v[2:3]
	v_mul_f64_e32 v[2:3], v[83:84], v[111:112]
	v_fma_f64 v[115:116], v[79:80], v[109:110], v[115:116]
	v_fma_f64 v[117:118], v[73:74], v[109:110], -v[117:118]
	v_fma_f64 v[119:120], v[75:76], v[109:110], v[119:120]
	v_fma_f64 v[127:128], v[83:84], v[109:110], v[121:122]
	ds_store_b128 v204, v[113:116]
	ds_store_b128 v204, v[117:120] offset:1072
	v_fma_f64 v[125:126], v[81:82], v[109:110], -v[2:3]
	v_mul_f64_e32 v[2:3], v[103:104], v[111:112]
	v_mul_f64_e32 v[111:112], v[101:102], v[111:112]
	ds_load_b128 v[121:124], v0 offset:528
	ds_load_b128 v[113:116], v0 offset:544
	v_fma_f64 v[129:130], v[101:102], v[109:110], -v[2:3]
	v_fma_f64 v[131:132], v[103:104], v[109:110], v[111:112]
	ds_store_b128 v204, v[125:128] offset:2144
	ds_load_b128 v[109:112], v0 offset:560
	v_add_co_u32 v2, s18, v220, v210
	s_wait_alu 0xf1ff
	v_add_co_ci_u32_e64 v3, null, v221, v211, s18
	ds_store_b128 v204, v[129:132] offset:3216
	s_wait_dscnt 0x0
	s_barrier_signal -1
	s_barrier_wait -1
	global_inv scope:SCOPE_SE
	ds_load_b128 v[169:172], v205
	ds_load_b128 v[165:168], v205 offset:16
	ds_load_b128 v[161:164], v205 offset:32
	;; [unrolled: 1-line block ×3, first 2 shown]
	s_wait_loadcnt_dscnt 0x0
	s_barrier_signal -1
	s_barrier_wait -1
	global_inv scope:SCOPE_SE
	s_wait_alu 0xfffe
	s_cbranch_vccnz .LBB189_122
; %bb.115:                              ;   in Loop: Header=BB189_78 Depth=2
	v_dual_mov_b32 v117, 0 :: v_dual_add_nc_u32 v4, 48, v201
	v_dual_mov_b32 v118, 0 :: v_dual_mov_b32 v125, 0
	v_dual_mov_b32 v126, 0 :: v_dual_mov_b32 v127, 0
	v_mov_b32_e32 v128, 0
	s_mov_b32 s18, exec_lo
	v_cmpx_gt_i32_e64 s79, v4
	s_cbranch_execz .LBB189_117
; %bb.116:                              ;   in Loop: Header=BB189_78 Depth=2
	flat_load_b128 v[125:128], v[2:3] offset:-8
.LBB189_117:                            ;   in Loop: Header=BB189_78 Depth=2
	s_wait_alu 0xfffe
	s_or_b32 exec_lo, exec_lo, s18
	v_dual_mov_b32 v119, 0 :: v_dual_add_nc_u32 v4, 49, v201
	v_mov_b32_e32 v120, 0
	s_mov_b32 s18, exec_lo
	s_delay_alu instid0(VALU_DEP_2)
	v_cmpx_gt_i32_e64 s79, v4
	s_cbranch_execz .LBB189_119
; %bb.118:                              ;   in Loop: Header=BB189_78 Depth=2
	v_add_co_u32 v117, vcc_lo, v224, v210
	s_wait_alu 0xfffd
	v_add_co_ci_u32_e64 v118, null, v225, v211, vcc_lo
	flat_load_b128 v[117:120], v[117:118] offset:-8
.LBB189_119:                            ;   in Loop: Header=BB189_78 Depth=2
	s_wait_alu 0xfffe
	s_or_b32 exec_lo, exec_lo, s18
	v_dual_mov_b32 v129, 0 :: v_dual_add_nc_u32 v4, 50, v201
	v_dual_mov_b32 v130, 0 :: v_dual_mov_b32 v131, 0
	v_mov_b32_e32 v132, 0
	s_mov_b32 s18, exec_lo
	s_delay_alu instid0(VALU_DEP_3)
	v_cmpx_gt_i32_e64 s79, v4
	s_cbranch_execz .LBB189_121
; %bb.120:                              ;   in Loop: Header=BB189_78 Depth=2
	v_add_co_u32 v129, vcc_lo, v216, v210
	s_wait_alu 0xfffd
	v_add_co_ci_u32_e64 v130, null, v217, v211, vcc_lo
	flat_load_b128 v[129:132], v[129:130] offset:-8
.LBB189_121:                            ;   in Loop: Header=BB189_78 Depth=2
	s_wait_alu 0xfffe
	s_or_b32 exec_lo, exec_lo, s18
	v_add_nc_u32_e32 v4, 51, v201
	s_delay_alu instid0(VALU_DEP_1)
	v_cmp_gt_i32_e64 s18, s79, v4
	s_branch .LBB189_124
.LBB189_122:                            ;   in Loop: Header=BB189_78 Depth=2
	s_mov_b32 s18, 0
                                        ; implicit-def: $vgpr131_vgpr132
                                        ; implicit-def: $vgpr119_vgpr120
                                        ; implicit-def: $vgpr127_vgpr128
	s_cbranch_execz .LBB189_124
; %bb.123:                              ;   in Loop: Header=BB189_78 Depth=2
	s_wait_loadcnt_dscnt 0x0
	v_add_co_u32 v117, vcc_lo, v224, v210
	s_wait_alu 0xfffd
	v_add_co_ci_u32_e64 v118, null, v225, v211, vcc_lo
	v_add_co_u32 v129, vcc_lo, v228, v210
	s_wait_alu 0xfffd
	v_add_co_ci_u32_e64 v130, null, v229, v211, vcc_lo
	flat_load_b128 v[125:128], v[2:3] offset:-8
	flat_load_b128 v[117:120], v[117:118] offset:-8
	flat_load_b128 v[129:132], v[129:130]
	s_wait_alu 0xfffe
	s_or_b32 s18, s18, exec_lo
.LBB189_124:                            ;   in Loop: Header=BB189_78 Depth=2
	v_mov_b32_e32 v149, 0
	v_dual_mov_b32 v150, 0 :: v_dual_mov_b32 v151, 0
	v_mov_b32_e32 v152, 0
	s_wait_alu 0xfffe
	s_and_saveexec_b32 s80, s18
	s_cbranch_execz .LBB189_126
; %bb.125:                              ;   in Loop: Header=BB189_78 Depth=2
	v_add_co_u32 v2, vcc_lo, v212, v210
	s_wait_alu 0xfffd
	v_add_co_ci_u32_e64 v3, null, v213, v211, vcc_lo
	flat_load_b128 v[149:152], v[2:3] offset:-8
.LBB189_126:                            ;   in Loop: Header=BB189_78 Depth=2
	s_wait_alu 0xfffe
	s_or_b32 exec_lo, exec_lo, s80
	ds_load_b128 v[189:192], v187
	ds_load_b128 v[153:156], v0 offset:768
	v_cmp_gt_i32_e32 vcc_lo, s79, v173
	s_or_b32 s18, s71, vcc_lo
	s_wait_alu 0xfffe
	s_and_b32 s71, s17, s18
	s_wait_loadcnt_dscnt 0x1
	v_mul_f64_e32 v[2:3], v[127:128], v[191:192]
	v_mul_f64_e32 v[193:194], v[129:130], v[191:192]
	;; [unrolled: 1-line block ×4, first 2 shown]
	s_delay_alu instid0(VALU_DEP_4)
	v_fma_f64 v[176:177], v[125:126], v[189:190], -v[2:3]
	v_mul_f64_e32 v[2:3], v[119:120], v[191:192]
	v_fma_f64 v[199:200], v[131:132], v[189:190], v[193:194]
	v_mul_f64_e32 v[193:194], v[149:150], v[191:192]
	v_fma_f64 v[178:179], v[127:128], v[189:190], v[178:179]
	v_fma_f64 v[182:183], v[119:120], v[189:190], v[182:183]
	v_fma_f64 v[180:181], v[117:118], v[189:190], -v[2:3]
	v_mul_f64_e32 v[2:3], v[131:132], v[191:192]
	v_fma_f64 v[193:194], v[151:152], v[189:190], v[193:194]
	s_delay_alu instid0(VALU_DEP_2) | instskip(SKIP_1) | instid1(VALU_DEP_1)
	v_fma_f64 v[197:198], v[129:130], v[189:190], -v[2:3]
	v_mul_f64_e32 v[2:3], v[151:152], v[191:192]
	v_fma_f64 v[191:192], v[149:150], v[189:190], -v[2:3]
	v_add_f64_e32 v[2:3], 0, v[169:170]
	v_add_f64_e32 v[169:170], 0, v[171:172]
	ds_store_b128 v204, v[176:179]
	ds_store_b128 v204, v[180:183] offset:1072
	ds_store_b128 v204, v[197:200] offset:2144
	;; [unrolled: 1-line block ×3, first 2 shown]
	v_add_f64_e32 v[2:3], v[2:3], v[165:166]
	v_add_f64_e32 v[165:166], v[169:170], v[167:168]
	s_delay_alu instid0(VALU_DEP_2) | instskip(NEXT) | instid1(VALU_DEP_2)
	v_add_f64_e32 v[2:3], v[2:3], v[161:162]
	v_add_f64_e32 v[161:162], v[165:166], v[163:164]
	s_delay_alu instid0(VALU_DEP_2) | instskip(SKIP_2) | instid1(VALU_DEP_4)
	v_add_f64_e32 v[157:158], v[2:3], v[157:158]
	v_add_f64_e32 v[2:3], 0, v[97:98]
	;; [unrolled: 1-line block ×4, first 2 shown]
	s_delay_alu instid0(VALU_DEP_3) | instskip(NEXT) | instid1(VALU_DEP_3)
	v_add_f64_e32 v[2:3], v[2:3], v[93:94]
	v_add_f64_e32 v[93:94], v[97:98], v[95:96]
	s_delay_alu instid0(VALU_DEP_2) | instskip(NEXT) | instid1(VALU_DEP_2)
	v_add_f64_e32 v[2:3], v[2:3], v[89:90]
	v_add_f64_e32 v[89:90], v[93:94], v[91:92]
	s_delay_alu instid0(VALU_DEP_2) | instskip(SKIP_2) | instid1(VALU_DEP_4)
	v_add_f64_e32 v[97:98], v[2:3], v[85:86]
	v_add_f64_e32 v[85:86], 0, v[147:148]
	;; [unrolled: 1-line block ×4, first 2 shown]
	s_delay_alu instid0(VALU_DEP_3) | instskip(NEXT) | instid1(VALU_DEP_3)
	v_add_f64_e32 v[85:86], v[85:86], v[143:144]
	v_add_f64_e32 v[2:3], v[2:3], v[141:142]
	s_delay_alu instid0(VALU_DEP_2) | instskip(NEXT) | instid1(VALU_DEP_2)
	v_add_f64_e32 v[85:86], v[85:86], v[139:140]
	v_add_f64_e32 v[2:3], v[2:3], v[137:138]
	s_delay_alu instid0(VALU_DEP_2)
	v_add_f64_e32 v[135:136], v[85:86], v[135:136]
	ds_load_b128 v[93:96], v0 offset:784
	ds_load_b128 v[89:92], v0 offset:800
	;; [unrolled: 1-line block ×3, first 2 shown]
	s_wait_dscnt 0x0
	s_barrier_signal -1
	s_barrier_wait -1
	global_inv scope:SCOPE_SE
	ds_load_b128 v[137:140], v205
	ds_load_b128 v[141:144], v205 offset:16
	v_add_f64_e32 v[133:134], v[2:3], v[133:134]
	s_wait_dscnt 0x1
	v_add_f64_e32 v[2:3], 0, v[137:138]
	v_add_f64_e32 v[137:138], 0, v[139:140]
	s_wait_dscnt 0x0
	s_delay_alu instid0(VALU_DEP_2) | instskip(NEXT) | instid1(VALU_DEP_2)
	v_add_f64_e32 v[2:3], v[2:3], v[141:142]
	v_add_f64_e32 v[145:146], v[137:138], v[143:144]
	ds_load_b128 v[137:140], v205 offset:32
	ds_load_b128 v[141:144], v205 offset:48
	s_wait_loadcnt_dscnt 0x0
	s_barrier_signal -1
	s_barrier_wait -1
	global_inv scope:SCOPE_SE
	ds_store_b128 v251, v[97:100]
	ds_store_b128 v251, v[133:136] offset:256
	ds_store_b128 v251, v[157:160] offset:512
	v_add_f64_e32 v[2:3], v[2:3], v[137:138]
	v_add_f64_e32 v[139:140], v[145:146], v[139:140]
	s_delay_alu instid0(VALU_DEP_2) | instskip(NEXT) | instid1(VALU_DEP_2)
	v_add_f64_e32 v[137:138], v[2:3], v[141:142]
	v_add_f64_e32 v[139:140], v[139:140], v[143:144]
	ds_store_b128 v251, v[137:140] offset:768
	s_wait_loadcnt_dscnt 0x0
	s_barrier_signal -1
	s_barrier_wait -1
	global_inv scope:SCOPE_SE
	s_wait_alu 0xfffe
	s_and_saveexec_b32 s18, s71
	s_cbranch_execz .LBB189_128
; %bb.127:                              ;   in Loop: Header=BB189_78 Depth=2
	ds_load_b128 v[97:100], v206
	ds_load_b128 v[133:136], v206 offset:16
	v_ashrrev_i32_e32 v185, 31, v184
	s_wait_dscnt 0x0
	v_add_f64_e32 v[2:3], v[133:134], v[97:98]
	v_add_f64_e32 v[137:138], v[135:136], v[99:100]
	ds_load_b128 v[97:100], v206 offset:32
	ds_load_b128 v[133:136], v206 offset:48
	s_wait_dscnt 0x1
	v_add_f64_e32 v[2:3], v[2:3], v[97:98]
	v_add_f64_e32 v[97:98], v[137:138], v[99:100]
	s_wait_dscnt 0x0
	s_delay_alu instid0(VALU_DEP_2) | instskip(NEXT) | instid1(VALU_DEP_2)
	v_add_f64_e32 v[2:3], v[2:3], v[133:134]
	v_add_f64_e32 v[137:138], v[97:98], v[135:136]
	ds_load_b128 v[97:100], v206 offset:64
	ds_load_b128 v[133:136], v206 offset:80
	s_wait_dscnt 0x1
	v_add_f64_e32 v[2:3], v[2:3], v[97:98]
	v_add_f64_e32 v[97:98], v[137:138], v[99:100]
	s_wait_dscnt 0x0
	s_delay_alu instid0(VALU_DEP_2) | instskip(NEXT) | instid1(VALU_DEP_2)
	;; [unrolled: 9-line block ×6, first 2 shown]
	v_add_f64_e32 v[2:3], v[2:3], v[133:134]
	v_add_f64_e32 v[137:138], v[97:98], v[135:136]
	ds_load_b128 v[97:100], v206 offset:224
	ds_load_b128 v[133:136], v207
	s_wait_dscnt 0x1
	v_add_f64_e32 v[2:3], v[2:3], v[97:98]
	v_add_f64_e32 v[99:100], v[137:138], v[99:100]
	s_wait_dscnt 0x0
	s_delay_alu instid0(VALU_DEP_2) | instskip(NEXT) | instid1(VALU_DEP_2)
	v_add_f64_e32 v[97:98], v[2:3], v[133:134]
	v_add_f64_e32 v[99:100], v[99:100], v[135:136]
	v_lshlrev_b64_e32 v[2:3], 4, v[184:185]
	s_delay_alu instid0(VALU_DEP_1) | instskip(SKIP_1) | instid1(VALU_DEP_2)
	v_add_co_u32 v2, vcc_lo, s68, v2
	s_wait_alu 0xfffd
	v_add_co_ci_u32_e64 v3, null, s69, v3, vcc_lo
	global_store_b128 v[2:3], v[97:100], off
.LBB189_128:                            ;   in Loop: Header=BB189_78 Depth=2
	s_wait_alu 0xfffe
	s_or_b32 exec_lo, exec_lo, s18
	v_mul_f64_e32 v[2:3], v[15:16], v[27:28]
	v_add_co_u32 v255, vcc_lo, v255, s58
	s_wait_alu 0xfffd
	v_add_co_ci_u32_e64 v209, null, s59, v209, vcc_lo
	v_add_co_u32 v212, vcc_lo, v212, s58
	s_wait_alu 0xfffd
	v_add_co_ci_u32_e64 v213, null, s59, v213, vcc_lo
	;; [unrolled: 3-line block ×9, first 2 shown]
	v_add_co_u32 v228, vcc_lo, v228, s58
	v_fma_f64 v[2:3], v[13:14], v[25:26], -v[2:3]
	v_mul_f64_e32 v[13:14], v[13:14], v[27:28]
	v_mul_f64_e32 v[27:28], v[43:44], v[71:72]
	s_wait_alu 0xfffd
	v_add_co_ci_u32_e64 v229, null, s59, v229, vcc_lo
	v_add_co_u32 v230, vcc_lo, v230, s58
	s_wait_alu 0xfffd
	v_add_co_ci_u32_e64 v231, null, s59, v231, vcc_lo
	v_add_co_u32 v232, vcc_lo, v232, s58
	;; [unrolled: 3-line block ×9, first 2 shown]
	v_fma_f64 v[13:14], v[15:16], v[25:26], v[13:14]
	v_mul_f64_e32 v[15:16], v[11:12], v[39:40]
	v_add_f64_e32 v[2:3], v[5:6], v[2:3]
	v_mul_f64_e32 v[25:26], v[45:46], v[59:60]
	v_fma_f64 v[27:28], v[41:42], v[69:70], -v[27:28]
	s_wait_alu 0xfffd
	v_add_co_ci_u32_e64 v247, null, s59, v247, vcc_lo
	v_add_co_u32 v248, vcc_lo, v248, s58
	v_add_nc_u32_e32 v184, 64, v184
	s_wait_alu 0xfffd
	v_add_co_ci_u32_e64 v249, null, s59, v249, vcc_lo
	s_add_co_i32 s18, s19, 1
	s_add_co_i32 s19, s19, 2
	;; [unrolled: 1-line block ×3, first 2 shown]
	s_wait_alu 0xfffe
	s_cmp_ge_u32 s19, s40
	s_wait_loadcnt 0x0
	s_wait_storecnt 0x0
	s_barrier_signal -1
	s_barrier_wait -1
	global_inv scope:SCOPE_SE
	v_add_f64_e32 v[4:5], v[7:8], v[13:14]
	v_fma_f64 v[15:16], v[9:10], v[37:38], -v[15:16]
	v_mul_f64_e32 v[9:10], v[9:10], v[39:40]
	v_fma_f64 v[25:26], v[47:48], v[57:58], v[25:26]
	v_mul_f64_e32 v[39:40], v[79:80], v[107:108]
	s_delay_alu instid0(VALU_DEP_4) | instskip(NEXT) | instid1(VALU_DEP_4)
	v_add_f64_e32 v[2:3], v[2:3], v[15:16]
	v_fma_f64 v[9:10], v[11:12], v[37:38], v[9:10]
	v_mul_f64_e32 v[11:12], v[19:20], v[35:36]
	v_mul_f64_e32 v[37:38], v[53:54], v[63:64]
	v_fma_f64 v[39:40], v[77:78], v[105:106], -v[39:40]
	s_delay_alu instid0(VALU_DEP_4) | instskip(NEXT) | instid1(VALU_DEP_4)
	v_add_f64_e32 v[4:5], v[4:5], v[9:10]
	v_fma_f64 v[11:12], v[17:18], v[33:34], -v[11:12]
	v_mul_f64_e32 v[17:18], v[17:18], v[35:36]
	v_mul_f64_e32 v[35:36], v[55:56], v[63:64]
	v_fma_f64 v[37:38], v[55:56], v[61:62], v[37:38]
	v_mul_f64_e32 v[55:56], v[127:128], v[155:156]
	v_mul_f64_e32 v[63:64], v[131:132], v[91:92]
	v_add_f64_e32 v[2:3], v[2:3], v[11:12]
	v_fma_f64 v[17:18], v[19:20], v[33:34], v[17:18]
	v_mul_f64_e32 v[19:20], v[23:24], v[31:32]
	v_mul_f64_e32 v[33:34], v[49:50], v[67:68]
	v_fma_f64 v[35:36], v[53:54], v[61:62], -v[35:36]
	v_mul_f64_e32 v[53:54], v[101:102], v[111:112]
	v_fma_f64 v[55:56], v[125:126], v[153:154], -v[55:56]
	v_mul_f64_e32 v[61:62], v[117:118], v[95:96]
	v_fma_f64 v[63:64], v[129:130], v[89:90], -v[63:64]
	v_add_f64_e32 v[4:5], v[4:5], v[17:18]
	v_fma_f64 v[19:20], v[21:22], v[29:30], -v[19:20]
	v_mul_f64_e32 v[21:22], v[21:22], v[31:32]
	v_mul_f64_e32 v[31:32], v[51:52], v[67:68]
	v_fma_f64 v[33:34], v[51:52], v[65:66], v[33:34]
	v_mul_f64_e32 v[51:52], v[103:104], v[111:112]
	v_fma_f64 v[53:54], v[103:104], v[109:110], v[53:54]
	v_fma_f64 v[61:62], v[119:120], v[93:94], v[61:62]
	v_mul_f64_e32 v[67:68], v[151:152], v[87:88]
	v_add_f64_e32 v[2:3], v[2:3], v[19:20]
	v_fma_f64 v[21:22], v[23:24], v[29:30], v[21:22]
	v_mul_f64_e32 v[23:24], v[47:48], v[59:60]
	v_mul_f64_e32 v[29:30], v[41:42], v[71:72]
	v_fma_f64 v[31:32], v[49:50], v[65:66], -v[31:32]
	v_mul_f64_e32 v[41:42], v[77:78], v[107:108]
	v_mul_f64_e32 v[47:48], v[83:84], v[115:116]
	;; [unrolled: 1-line block ×3, first 2 shown]
	v_fma_f64 v[51:52], v[101:102], v[109:110], -v[51:52]
	v_mul_f64_e32 v[59:60], v[119:120], v[95:96]
	v_mul_f64_e32 v[65:66], v[129:130], v[91:92]
	v_fma_f64 v[67:68], v[149:150], v[85:86], -v[67:68]
	v_add_f64_e32 v[4:5], v[4:5], v[21:22]
	v_fma_f64 v[23:24], v[45:46], v[57:58], -v[23:24]
	v_fma_f64 v[29:30], v[43:44], v[69:70], v[29:30]
	v_mul_f64_e32 v[43:44], v[75:76], v[123:124]
	v_fma_f64 v[41:42], v[79:80], v[105:106], v[41:42]
	v_mul_f64_e32 v[45:46], v[73:74], v[123:124]
	v_fma_f64 v[47:48], v[81:82], v[113:114], -v[47:48]
	v_fma_f64 v[49:50], v[83:84], v[113:114], v[49:50]
	v_mul_f64_e32 v[57:58], v[125:126], v[155:156]
	v_fma_f64 v[59:60], v[117:118], v[93:94], -v[59:60]
	v_fma_f64 v[65:66], v[131:132], v[89:90], v[65:66]
	v_mul_f64_e32 v[69:70], v[149:150], v[87:88]
	v_add_f64_e32 v[4:5], v[4:5], v[25:26]
	v_add_f64_e32 v[2:3], v[2:3], v[23:24]
	v_fma_f64 v[43:44], v[73:74], v[121:122], -v[43:44]
	v_fma_f64 v[45:46], v[75:76], v[121:122], v[45:46]
	v_fma_f64 v[57:58], v[127:128], v[153:154], v[57:58]
	;; [unrolled: 1-line block ×3, first 2 shown]
	v_add_f64_e32 v[4:5], v[4:5], v[29:30]
	v_add_f64_e32 v[2:3], v[2:3], v[27:28]
	s_delay_alu instid0(VALU_DEP_2) | instskip(NEXT) | instid1(VALU_DEP_2)
	v_add_f64_e32 v[4:5], v[4:5], v[33:34]
	v_add_f64_e32 v[2:3], v[2:3], v[31:32]
	s_delay_alu instid0(VALU_DEP_2) | instskip(NEXT) | instid1(VALU_DEP_2)
	;; [unrolled: 3-line block ×10, first 2 shown]
	v_add_f64_e32 v[7:8], v[7:8], v[69:70]
	v_add_f64_e32 v[5:6], v[2:3], v[67:68]
	s_cbranch_scc1 .LBB189_130
; %bb.129:                              ;   in Loop: Header=BB189_78 Depth=2
	s_mov_b32 s19, s18
	s_wait_alu 0xfffe
	s_cmp_eq_u32 s75, s19
	s_cselect_b32 s79, s72, 0
	s_and_saveexec_b32 s18, s0
	s_cbranch_execnz .LBB189_74
	s_branch .LBB189_78
.LBB189_130:                            ;   in Loop: Header=BB189_4 Depth=1
	scratch_load_b32 v2, off, off offset:8  ; 4-byte Folded Reload
	s_wait_loadcnt 0x0
	ds_store_b128 v2, v[5:8]
	s_wait_dscnt 0x0
	s_barrier_signal -1
	s_barrier_wait -1
	global_inv scope:SCOPE_SE
	s_and_saveexec_b32 s18, s77
	s_cbranch_execz .LBB189_2
; %bb.131:                              ;   in Loop: Header=BB189_4 Depth=1
	v_lshlrev_b32_e32 v14, 4, v173
	ds_load_b128 v[2:5], v14 offset:1072
	ds_load_b128 v[6:9], v14
	s_wait_dscnt 0x0
	v_add_f64_e32 v[10:11], v[2:3], v[6:7]
	v_add_f64_e32 v[12:13], v[4:5], v[8:9]
	ds_load_b128 v[2:5], v14 offset:2144
	ds_load_b128 v[6:9], v14 offset:3216
	s_wait_dscnt 0x1
	v_add_f64_e32 v[2:3], v[10:11], v[2:3]
	v_add_f64_e32 v[4:5], v[12:13], v[4:5]
	s_wait_dscnt 0x0
	s_delay_alu instid0(VALU_DEP_2)
	v_add_f64_e32 v[2:3], v[2:3], v[6:7]
	scratch_load_b64 v[6:7], off, off offset:196 ; 8-byte Folded Reload
	v_add_f64_e32 v[4:5], v[4:5], v[8:9]
	s_wait_loadcnt 0x0
	s_wait_alu 0xfffe
	v_add_co_u32 v6, vcc_lo, s68, v6
	s_wait_alu 0xfffd
	v_add_co_ci_u32_e64 v7, null, s69, v7, vcc_lo
	global_store_b128 v[6:7], v[2:5], off
	s_branch .LBB189_2
.LBB189_132:                            ;   in Loop: Header=BB189_4 Depth=1
	scratch_load_b32 v8, off, off           ; 4-byte Folded Reload
	ds_load_b128 v[4:7], v250
	s_wait_loadcnt_dscnt 0x0
	ds_store_b128 v8, v[4:7]
	s_wait_alu 0xfffe
	s_or_b32 exec_lo, exec_lo, s18
	s_and_saveexec_b32 s18, s7
	s_cbranch_execz .LBB189_28
.LBB189_133:                            ;   in Loop: Header=BB189_4 Depth=1
	scratch_load_b32 v8, off, off           ; 4-byte Folded Reload
	ds_load_b128 v[4:7], v208
	s_wait_loadcnt 0x0
	v_add_nc_u32_e32 v8, 16, v8
	s_wait_dscnt 0x0
	ds_store_b128 v8, v[4:7]
	s_wait_alu 0xfffe
	s_or_b32 exec_lo, exec_lo, s18
	s_and_saveexec_b32 s18, s8
	s_cbranch_execz .LBB189_29
.LBB189_134:                            ;   in Loop: Header=BB189_4 Depth=1
	scratch_load_b32 v8, off, off           ; 4-byte Folded Reload
	v_add_nc_u32_e32 v4, 0x210, v208
	ds_load_b128 v[4:7], v4
	s_wait_loadcnt 0x0
	v_add_nc_u32_e32 v8, 32, v8
	s_wait_dscnt 0x0
	ds_store_b128 v8, v[4:7]
	s_wait_alu 0xfffe
	s_or_b32 exec_lo, exec_lo, s18
	s_and_saveexec_b32 s18, s9
	s_cbranch_execnz .LBB189_30
	s_branch .LBB189_31
.LBB189_135:                            ;   in Loop: Header=BB189_4 Depth=1
	ds_load_b128 v[11:14], v250
	s_wait_dscnt 0x0
	ds_store_b128 v195, v[11:14]
	s_wait_alu 0xfffe
	s_or_b32 exec_lo, exec_lo, s18
	s_and_saveexec_b32 s18, s7
	s_cbranch_execz .LBB189_49
.LBB189_136:                            ;   in Loop: Header=BB189_4 Depth=1
	ds_load_b128 v[11:14], v208
	v_add_nc_u32_e32 v2, 16, v195
	s_wait_dscnt 0x0
	ds_store_b128 v2, v[11:14]
	s_wait_alu 0xfffe
	s_or_b32 exec_lo, exec_lo, s18
	s_and_saveexec_b32 s18, s8
	s_cbranch_execz .LBB189_50
.LBB189_137:                            ;   in Loop: Header=BB189_4 Depth=1
	v_add_nc_u32_e32 v2, 0x210, v208
	ds_load_b128 v[11:14], v2
	v_add_nc_u32_e32 v2, 32, v195
	s_wait_dscnt 0x0
	ds_store_b128 v2, v[11:14]
	s_wait_alu 0xfffe
	s_or_b32 exec_lo, exec_lo, s18
	s_and_saveexec_b32 s18, s9
	s_cbranch_execnz .LBB189_51
	s_branch .LBB189_52
.LBB189_138:                            ;   in Loop: Header=BB189_4 Depth=1
	flat_load_b128 v[9:12], v[7:8]
	s_wait_loadcnt_dscnt 0x0
	ds_store_2addr_b64 v188, v[9:10], v[11:12] offset1:1
	s_or_b32 exec_lo, exec_lo, s18
	s_and_saveexec_b32 s18, s3
	s_wait_alu 0xfffe
	s_xor_b32 s18, exec_lo, s18
	s_cbranch_execz .LBB189_17
.LBB189_139:                            ;   in Loop: Header=BB189_4 Depth=1
	v_dual_mov_b32 v2, v1 :: v_dual_mov_b32 v3, v1
	v_dual_mov_b32 v4, v1 :: v_dual_add_nc_u32 v9, 0x1080, v188
	ds_store_b128 v9, v[1:4]
	s_wait_alu 0xfffe
	s_and_not1_saveexec_b32 s18, s18
	s_cbranch_execz .LBB189_18
.LBB189_140:                            ;   in Loop: Header=BB189_4 Depth=1
	s_lshl_b64 s[68:69], s[48:49], 4
	s_wait_alu 0xfffe
	v_add_co_u32 v2, vcc_lo, v7, s68
	s_wait_alu 0xfffd
	v_add_co_ci_u32_e64 v3, null, s69, v8, vcc_lo
	flat_load_b128 v[9:12], v[2:3]
	v_add_nc_u32_e32 v2, 0x1080, v188
	s_wait_loadcnt_dscnt 0x0
	ds_store_2addr_b64 v2, v[9:10], v[11:12] offset1:1
	s_or_b32 exec_lo, exec_lo, s18
	s_and_saveexec_b32 s18, s4
	s_wait_alu 0xfffe
	s_xor_b32 s18, exec_lo, s18
	s_cbranch_execz .LBB189_19
.LBB189_141:                            ;   in Loop: Header=BB189_4 Depth=1
	v_dual_mov_b32 v2, v1 :: v_dual_mov_b32 v3, v1
	v_dual_mov_b32 v4, v1 :: v_dual_add_nc_u32 v9, 0x2100, v188
	ds_store_b128 v9, v[1:4]
	s_wait_alu 0xfffe
	s_and_not1_saveexec_b32 s18, s18
	s_cbranch_execz .LBB189_20
.LBB189_142:                            ;   in Loop: Header=BB189_4 Depth=1
	v_add_co_u32 v2, vcc_lo, v7, s60
	s_wait_alu 0xfffd
	v_add_co_ci_u32_e64 v3, null, s61, v8, vcc_lo
	flat_load_b128 v[9:12], v[2:3]
	v_add_nc_u32_e32 v2, 0x2100, v188
	s_wait_loadcnt_dscnt 0x0
	ds_store_2addr_b64 v2, v[9:10], v[11:12] offset1:1
	s_wait_alu 0xfffe
	s_or_b32 exec_lo, exec_lo, s18
	s_and_saveexec_b32 s18, s5
	s_wait_alu 0xfffe
	s_xor_b32 s18, exec_lo, s18
	s_cbranch_execz .LBB189_21
.LBB189_143:                            ;   in Loop: Header=BB189_4 Depth=1
	v_dual_mov_b32 v2, v1 :: v_dual_mov_b32 v3, v1
	v_dual_mov_b32 v4, v1 :: v_dual_add_nc_u32 v9, 0x3180, v188
	ds_store_b128 v9, v[1:4]
	s_wait_alu 0xfffe
	s_and_not1_saveexec_b32 s18, s18
	s_cbranch_execnz .LBB189_22
	s_branch .LBB189_23
.LBB189_144:                            ;   in Loop: Header=BB189_4 Depth=1
	flat_load_b128 v[15:18], v[9:10]
	s_wait_loadcnt_dscnt 0x0
	ds_store_2addr_b64 v188, v[15:16], v[17:18] offset1:1
	s_or_b32 exec_lo, exec_lo, s18
	s_and_saveexec_b32 s18, s13
	s_wait_alu 0xfffe
	s_xor_b32 s18, exec_lo, s18
	s_cbranch_execz .LBB189_38
.LBB189_145:                            ;   in Loop: Header=BB189_4 Depth=1
	v_dual_mov_b32 v2, v1 :: v_dual_mov_b32 v3, v1
	v_dual_mov_b32 v4, v1 :: v_dual_add_nc_u32 v15, 0x1080, v188
	ds_store_b128 v15, v[1:4]
	s_wait_alu 0xfffe
	s_and_not1_saveexec_b32 s18, s18
	s_cbranch_execz .LBB189_39
.LBB189_146:                            ;   in Loop: Header=BB189_4 Depth=1
	s_lshl_b64 s[68:69], s[48:49], 4
	s_wait_alu 0xfffe
	v_add_co_u32 v2, vcc_lo, v9, s68
	s_wait_alu 0xfffd
	v_add_co_ci_u32_e64 v3, null, s69, v10, vcc_lo
	flat_load_b128 v[15:18], v[2:3]
	v_add_nc_u32_e32 v2, 0x1080, v188
	s_wait_loadcnt_dscnt 0x0
	ds_store_2addr_b64 v2, v[15:16], v[17:18] offset1:1
	s_or_b32 exec_lo, exec_lo, s18
	s_and_saveexec_b32 s18, s14
	s_wait_alu 0xfffe
	s_xor_b32 s18, exec_lo, s18
	s_cbranch_execz .LBB189_40
.LBB189_147:                            ;   in Loop: Header=BB189_4 Depth=1
	v_dual_mov_b32 v2, v1 :: v_dual_mov_b32 v3, v1
	v_dual_mov_b32 v4, v1 :: v_dual_add_nc_u32 v15, 0x2100, v188
	ds_store_b128 v15, v[1:4]
	s_wait_alu 0xfffe
	s_and_not1_saveexec_b32 s18, s18
	s_cbranch_execz .LBB189_41
.LBB189_148:                            ;   in Loop: Header=BB189_4 Depth=1
	v_add_co_u32 v2, vcc_lo, v9, s60
	s_wait_alu 0xfffd
	v_add_co_ci_u32_e64 v3, null, s61, v10, vcc_lo
	flat_load_b128 v[15:18], v[2:3]
	v_add_nc_u32_e32 v2, 0x2100, v188
	s_wait_loadcnt_dscnt 0x0
	ds_store_2addr_b64 v2, v[15:16], v[17:18] offset1:1
	s_wait_alu 0xfffe
	s_or_b32 exec_lo, exec_lo, s18
	s_and_saveexec_b32 s18, s15
	s_wait_alu 0xfffe
	s_xor_b32 s18, exec_lo, s18
	s_cbranch_execz .LBB189_42
.LBB189_149:                            ;   in Loop: Header=BB189_4 Depth=1
	v_dual_mov_b32 v2, v1 :: v_dual_mov_b32 v3, v1
	v_dual_mov_b32 v4, v1 :: v_dual_add_nc_u32 v15, 0x3180, v188
	ds_store_b128 v15, v[1:4]
	s_wait_alu 0xfffe
	s_and_not1_saveexec_b32 s18, s18
	s_cbranch_execnz .LBB189_43
	s_branch .LBB189_44
.LBB189_150:                            ;   in Loop: Header=BB189_4 Depth=1
	flat_load_b128 v[15:18], v[13:14]
	s_wait_loadcnt_dscnt 0x0
	ds_store_2addr_b64 v188, v[15:16], v[17:18] offset1:1
	s_or_b32 exec_lo, exec_lo, s18
	s_and_saveexec_b32 s18, s13
	s_wait_alu 0xfffe
	s_xor_b32 s18, exec_lo, s18
	s_cbranch_execz .LBB189_59
.LBB189_151:                            ;   in Loop: Header=BB189_4 Depth=1
	v_dual_mov_b32 v2, v1 :: v_dual_mov_b32 v3, v1
	v_dual_mov_b32 v4, v1 :: v_dual_add_nc_u32 v15, 0x1080, v188
	ds_store_b128 v15, v[1:4]
	s_wait_alu 0xfffe
	s_and_not1_saveexec_b32 s18, s18
	s_cbranch_execz .LBB189_60
.LBB189_152:                            ;   in Loop: Header=BB189_4 Depth=1
	s_lshl_b64 s[68:69], s[48:49], 4
	s_wait_alu 0xfffe
	v_add_co_u32 v2, vcc_lo, v13, s68
	s_wait_alu 0xfffd
	v_add_co_ci_u32_e64 v3, null, s69, v14, vcc_lo
	flat_load_b128 v[15:18], v[2:3]
	v_add_nc_u32_e32 v2, 0x1080, v188
	s_wait_loadcnt_dscnt 0x0
	ds_store_2addr_b64 v2, v[15:16], v[17:18] offset1:1
	s_or_b32 exec_lo, exec_lo, s18
	s_and_saveexec_b32 s18, s14
	s_wait_alu 0xfffe
	s_xor_b32 s18, exec_lo, s18
	s_cbranch_execz .LBB189_61
.LBB189_153:                            ;   in Loop: Header=BB189_4 Depth=1
	v_dual_mov_b32 v2, v1 :: v_dual_mov_b32 v3, v1
	v_dual_mov_b32 v4, v1 :: v_dual_add_nc_u32 v15, 0x2100, v188
	ds_store_b128 v15, v[1:4]
	s_wait_alu 0xfffe
	s_and_not1_saveexec_b32 s18, s18
	s_cbranch_execz .LBB189_62
.LBB189_154:                            ;   in Loop: Header=BB189_4 Depth=1
	v_add_co_u32 v2, vcc_lo, v13, s60
	s_wait_alu 0xfffd
	v_add_co_ci_u32_e64 v3, null, s61, v14, vcc_lo
	flat_load_b128 v[15:18], v[2:3]
	v_add_nc_u32_e32 v2, 0x2100, v188
	s_wait_loadcnt_dscnt 0x0
	ds_store_2addr_b64 v2, v[15:16], v[17:18] offset1:1
	s_wait_alu 0xfffe
	s_or_b32 exec_lo, exec_lo, s18
	s_and_saveexec_b32 s18, s15
	s_wait_alu 0xfffe
	s_xor_b32 s18, exec_lo, s18
	s_cbranch_execz .LBB189_63
.LBB189_155:                            ;   in Loop: Header=BB189_4 Depth=1
	v_dual_mov_b32 v2, v1 :: v_dual_mov_b32 v3, v1
	v_dual_mov_b32 v4, v1 :: v_dual_add_nc_u32 v15, 0x3180, v188
	ds_store_b128 v15, v[1:4]
	s_wait_alu 0xfffe
	s_and_not1_saveexec_b32 s18, s18
	s_cbranch_execnz .LBB189_64
	s_branch .LBB189_65
.LBB189_156:
	s_nop 0
	s_sendmsg sendmsg(MSG_DEALLOC_VGPRS)
	s_endpgm
	.section	.rodata,"a",@progbits
	.p2align	6, 0x0
	.amdhsa_kernel _ZL26rocblas_hemvn_kernel_upperILb0ELi64ELi4ELi33ELi32ELi16EiPK19rocblas_complex_numIdEPKS3_PS1_EviT6_lT7_lT5_lS8_lS9_lS7_lT8_i
		.amdhsa_group_segment_fixed_size 19200
		.amdhsa_private_segment_fixed_size 208
		.amdhsa_kernarg_size 376
		.amdhsa_user_sgpr_count 2
		.amdhsa_user_sgpr_dispatch_ptr 0
		.amdhsa_user_sgpr_queue_ptr 0
		.amdhsa_user_sgpr_kernarg_segment_ptr 1
		.amdhsa_user_sgpr_dispatch_id 0
		.amdhsa_user_sgpr_private_segment_size 0
		.amdhsa_wavefront_size32 1
		.amdhsa_uses_dynamic_stack 0
		.amdhsa_enable_private_segment 1
		.amdhsa_system_sgpr_workgroup_id_x 1
		.amdhsa_system_sgpr_workgroup_id_y 0
		.amdhsa_system_sgpr_workgroup_id_z 1
		.amdhsa_system_sgpr_workgroup_info 0
		.amdhsa_system_vgpr_workitem_id 1
		.amdhsa_next_free_vgpr 256
		.amdhsa_next_free_sgpr 92
		.amdhsa_reserve_vcc 1
		.amdhsa_float_round_mode_32 0
		.amdhsa_float_round_mode_16_64 0
		.amdhsa_float_denorm_mode_32 3
		.amdhsa_float_denorm_mode_16_64 3
		.amdhsa_fp16_overflow 0
		.amdhsa_workgroup_processor_mode 1
		.amdhsa_memory_ordered 1
		.amdhsa_forward_progress 1
		.amdhsa_inst_pref_size 111
		.amdhsa_round_robin_scheduling 0
		.amdhsa_exception_fp_ieee_invalid_op 0
		.amdhsa_exception_fp_denorm_src 0
		.amdhsa_exception_fp_ieee_div_zero 0
		.amdhsa_exception_fp_ieee_overflow 0
		.amdhsa_exception_fp_ieee_underflow 0
		.amdhsa_exception_fp_ieee_inexact 0
		.amdhsa_exception_int_div_zero 0
	.end_amdhsa_kernel
	.section	.text._ZL26rocblas_hemvn_kernel_upperILb0ELi64ELi4ELi33ELi32ELi16EiPK19rocblas_complex_numIdEPKS3_PS1_EviT6_lT7_lT5_lS8_lS9_lS7_lT8_i,"axG",@progbits,_ZL26rocblas_hemvn_kernel_upperILb0ELi64ELi4ELi33ELi32ELi16EiPK19rocblas_complex_numIdEPKS3_PS1_EviT6_lT7_lT5_lS8_lS9_lS7_lT8_i,comdat
.Lfunc_end189:
	.size	_ZL26rocblas_hemvn_kernel_upperILb0ELi64ELi4ELi33ELi32ELi16EiPK19rocblas_complex_numIdEPKS3_PS1_EviT6_lT7_lT5_lS8_lS9_lS7_lT8_i, .Lfunc_end189-_ZL26rocblas_hemvn_kernel_upperILb0ELi64ELi4ELi33ELi32ELi16EiPK19rocblas_complex_numIdEPKS3_PS1_EviT6_lT7_lT5_lS8_lS9_lS7_lT8_i
                                        ; -- End function
	.set _ZL26rocblas_hemvn_kernel_upperILb0ELi64ELi4ELi33ELi32ELi16EiPK19rocblas_complex_numIdEPKS3_PS1_EviT6_lT7_lT5_lS8_lS9_lS7_lT8_i.num_vgpr, 256
	.set _ZL26rocblas_hemvn_kernel_upperILb0ELi64ELi4ELi33ELi32ELi16EiPK19rocblas_complex_numIdEPKS3_PS1_EviT6_lT7_lT5_lS8_lS9_lS7_lT8_i.num_agpr, 0
	.set _ZL26rocblas_hemvn_kernel_upperILb0ELi64ELi4ELi33ELi32ELi16EiPK19rocblas_complex_numIdEPKS3_PS1_EviT6_lT7_lT5_lS8_lS9_lS7_lT8_i.numbered_sgpr, 92
	.set _ZL26rocblas_hemvn_kernel_upperILb0ELi64ELi4ELi33ELi32ELi16EiPK19rocblas_complex_numIdEPKS3_PS1_EviT6_lT7_lT5_lS8_lS9_lS7_lT8_i.num_named_barrier, 0
	.set _ZL26rocblas_hemvn_kernel_upperILb0ELi64ELi4ELi33ELi32ELi16EiPK19rocblas_complex_numIdEPKS3_PS1_EviT6_lT7_lT5_lS8_lS9_lS7_lT8_i.private_seg_size, 208
	.set _ZL26rocblas_hemvn_kernel_upperILb0ELi64ELi4ELi33ELi32ELi16EiPK19rocblas_complex_numIdEPKS3_PS1_EviT6_lT7_lT5_lS8_lS9_lS7_lT8_i.uses_vcc, 1
	.set _ZL26rocblas_hemvn_kernel_upperILb0ELi64ELi4ELi33ELi32ELi16EiPK19rocblas_complex_numIdEPKS3_PS1_EviT6_lT7_lT5_lS8_lS9_lS7_lT8_i.uses_flat_scratch, 1
	.set _ZL26rocblas_hemvn_kernel_upperILb0ELi64ELi4ELi33ELi32ELi16EiPK19rocblas_complex_numIdEPKS3_PS1_EviT6_lT7_lT5_lS8_lS9_lS7_lT8_i.has_dyn_sized_stack, 0
	.set _ZL26rocblas_hemvn_kernel_upperILb0ELi64ELi4ELi33ELi32ELi16EiPK19rocblas_complex_numIdEPKS3_PS1_EviT6_lT7_lT5_lS8_lS9_lS7_lT8_i.has_recursion, 0
	.set _ZL26rocblas_hemvn_kernel_upperILb0ELi64ELi4ELi33ELi32ELi16EiPK19rocblas_complex_numIdEPKS3_PS1_EviT6_lT7_lT5_lS8_lS9_lS7_lT8_i.has_indirect_call, 0
	.section	.AMDGPU.csdata,"",@progbits
; Kernel info:
; codeLenInByte = 14192
; TotalNumSgprs: 94
; NumVgprs: 256
; ScratchSize: 208
; MemoryBound: 1
; FloatMode: 240
; IeeeMode: 1
; LDSByteSize: 19200 bytes/workgroup (compile time only)
; SGPRBlocks: 0
; VGPRBlocks: 31
; NumSGPRsForWavesPerEU: 94
; NumVGPRsForWavesPerEU: 256
; Occupancy: 5
; WaveLimiterHint : 0
; COMPUTE_PGM_RSRC2:SCRATCH_EN: 1
; COMPUTE_PGM_RSRC2:USER_SGPR: 2
; COMPUTE_PGM_RSRC2:TRAP_HANDLER: 0
; COMPUTE_PGM_RSRC2:TGID_X_EN: 1
; COMPUTE_PGM_RSRC2:TGID_Y_EN: 0
; COMPUTE_PGM_RSRC2:TGID_Z_EN: 1
; COMPUTE_PGM_RSRC2:TIDIG_COMP_CNT: 1
	.section	.text._ZL26rocblas_hemvn_kernel_upperILb0ELi64ELi4ELi33ELi32ELi16El19rocblas_complex_numIdEPKPKS1_PS1_EviT6_lT7_lT5_lS8_lS9_lS7_lT8_i,"axG",@progbits,_ZL26rocblas_hemvn_kernel_upperILb0ELi64ELi4ELi33ELi32ELi16El19rocblas_complex_numIdEPKPKS1_PS1_EviT6_lT7_lT5_lS8_lS9_lS7_lT8_i,comdat
	.globl	_ZL26rocblas_hemvn_kernel_upperILb0ELi64ELi4ELi33ELi32ELi16El19rocblas_complex_numIdEPKPKS1_PS1_EviT6_lT7_lT5_lS8_lS9_lS7_lT8_i ; -- Begin function _ZL26rocblas_hemvn_kernel_upperILb0ELi64ELi4ELi33ELi32ELi16El19rocblas_complex_numIdEPKPKS1_PS1_EviT6_lT7_lT5_lS8_lS9_lS7_lT8_i
	.p2align	8
	.type	_ZL26rocblas_hemvn_kernel_upperILb0ELi64ELi4ELi33ELi32ELi16El19rocblas_complex_numIdEPKPKS1_PS1_EviT6_lT7_lT5_lS8_lS9_lS7_lT8_i,@function
_ZL26rocblas_hemvn_kernel_upperILb0ELi64ELi4ELi33ELi32ELi16El19rocblas_complex_numIdEPKPKS1_PS1_EviT6_lT7_lT5_lS8_lS9_lS7_lT8_i: ; @_ZL26rocblas_hemvn_kernel_upperILb0ELi64ELi4ELi33ELi32ELi16El19rocblas_complex_numIdEPKPKS1_PS1_EviT6_lT7_lT5_lS8_lS9_lS7_lT8_i
; %bb.0:
	s_clause 0x1
	s_load_b64 s[2:3], s[0:1], 0x94
	s_load_b32 s19, s[0:1], 0x80
	s_lshr_b32 s28, ttmp7, 16
	s_wait_kmcnt 0x0
	s_lshr_b32 s4, s2, 16
	s_and_b32 s2, s2, 0xffff
	s_and_b32 s3, s3, 0xffff
	s_mul_i32 s2, s4, s2
	s_delay_alu instid0(SALU_CYCLE_1) | instskip(NEXT) | instid1(SALU_CYCLE_1)
	s_mul_i32 s2, s2, s3
	s_cmp_lg_u32 s2, 0x100
	s_cselect_b32 s2, -1, 0
	s_cmp_ge_u32 s28, s19
	s_cselect_b32 s3, -1, 0
	s_delay_alu instid0(SALU_CYCLE_1) | instskip(NEXT) | instid1(SALU_CYCLE_1)
	s_or_b32 s2, s2, s3
	s_and_b32 vcc_lo, exec_lo, s2
	s_cbranch_vccnz .LBB190_156
; %bb.1:
	s_clause 0x3
	s_load_b128 s[4:7], s[0:1], 0x8
	s_load_b128 s[36:39], s[0:1], 0x60
	s_load_b32 s12, s[0:1], 0x0
	s_load_b64 s[10:11], s[0:1], 0x78
	v_bfe_u32 v14, v0, 10, 10
	s_clause 0x3
	s_load_b128 s[20:23], s[0:1], 0x20
	s_load_b64 s[52:53], s[0:1], 0x30
	s_load_b64 s[30:31], s[0:1], 0x50
	s_load_b128 s[24:27], s[0:1], 0x40
	v_and_b32_e32 v181, 0x3ff, v0
	v_dual_mov_b32 v1, 0 :: v_dual_and_b32 v2, 31, v0
	v_lshlrev_b32_e32 v19, 6, v14
	s_add_nc_u64 s[2:3], s[0:1], 0x88
	s_lshl_b32 s54, ttmp9, 6
	s_load_b32 s34, s[2:3], 0x0
	v_dual_mov_b32 v3, v1 :: v_dual_add_nc_u32 v4, s54, v181
	v_add_nc_u32_e32 v15, v19, v181
	v_sub_co_u32 v6, s2, 0, v2
	s_delay_alu instid0(VALU_DEP_3)
	v_ashrrev_i32_e32 v5, 31, v4
	v_sub_co_ci_u32_e64 v7, null, 0, 0, s2
	s_wait_kmcnt 0x0
	v_cmp_eq_f64_e64 s1, s[4:5], 0
	v_cmp_eq_f64_e64 s4, s[6:7], 0
	v_cmp_neq_f64_e64 s5, s[36:37], 1.0
	v_cmp_neq_f64_e64 s6, s[38:39], 0
	v_lshrrev_b32_e32 v17, 5, v15
	v_mul_lo_u32 v18, s30, v5
	v_mul_lo_u32 v20, s31, v4
	v_mad_co_u64_u32 v[10:11], null, s30, v4, 0
	s_delay_alu instid0(VALU_DEP_4) | instskip(SKIP_4) | instid1(VALU_DEP_3)
	v_mad_co_u64_u32 v[8:9], null, s52, v17, v[2:3]
	v_lshlrev_b32_e32 v182, 4, v181
	s_ashr_i32 s13, s12, 31
	s_mov_b32 s29, 0
	s_lshr_b32 s2, s13, 26
	v_add3_u32 v11, v11, v18, v20
	s_wait_alu 0xfffe
	s_add_co_i32 s2, s12, s2
	v_mov_b32_e32 v3, v9
	s_mov_b32 s35, s29
	s_wait_alu 0xfffe
	s_and_not1_b32 s2, s2, 63
	s_add_co_i32 s3, s34, -1
	s_mul_u64 s[36:37], s[34:35], s[12:13]
	v_mad_co_u64_u32 v[12:13], null, s53, v17, v[3:4]
	v_lshlrev_b32_e32 v16, 4, v2
	s_wait_alu 0xfffe
	s_sub_co_i32 s33, s12, s2
	v_lshlrev_b32_e32 v18, 6, v17
	s_mov_b32 s8, ttmp9
	v_add_nc_u32_e32 v21, 8, v17
	v_add_nc_u32_e32 v3, 24, v17
	v_dual_mov_b32 v9, v12 :: v_dual_lshlrev_b32 v12, 2, v17
	v_mad_u32_u24 v184, 0x210, v17, v16
	v_lshl_or_b32 v13, v2, 9, v16
	v_mad_u32_u24 v189, 0x840, v17, v16
	v_add_nc_u32_e32 v194, 0x4700, v18
	v_or_b32_e32 v20, 1, v12
	v_cmp_ge_u32_e64 s7, v12, v2
	v_add_nc_u32_e32 v237, v13, v18
	s_and_b32 s35, s1, s4
	v_or_b32_e32 v13, 2, v12
	s_or_b32 s64, s5, s6
	s_cmp_eq_u32 ttmp9, s3
	v_mad_u32_u24 v190, 0x210, v20, v16
	v_mul_u32_u24_e32 v16, 33, v2
	s_cselect_b32 s38, s33, 0
	v_cmp_gt_u32_e64 s6, v12, v2
	s_wait_alu 0xfffe
	s_cmp_lg_u32 s38, 0
	v_or_b32_e32 v12, 3, v12
	v_lshlrev_b32_e32 v192, 4, v16
	s_cselect_b32 s65, -1, 0
	s_cmp_eq_u32 s38, 0
	v_cmp_gt_i32_e32 vcc_lo, s38, v181
	s_cselect_b32 s3, -1, 0
	s_ashr_i32 s9, ttmp9, 31
	v_add_nc_u32_e32 v196, v192, v18
	s_mul_u64 s[4:5], s[12:13], s[8:9]
	v_cmp_gt_u32_e64 s8, v13, v2
	v_lshlrev_b32_e32 v13, 4, v17
	v_cmp_gt_u32_e64 s9, v12, v2
	v_or_b32_e32 v12, 32, v2
	v_add_nc_u32_e32 v18, 0x220, v19
	s_wait_alu 0xfffe
	s_lshl_b64 s[4:5], s[4:5], 4
	v_add_nc_u32_e32 v195, v192, v13
	s_wait_alu 0xfffe
	s_add_nc_u64 s[40:41], s[10:11], s[4:5]
	v_cmp_gt_i32_e64 s11, s38, v12
	v_add_nc_u32_e32 v197, 0x4700, v13
	v_mad_co_u64_u32 v[12:13], null, s52, v18, 0
	v_add_nc_u32_e32 v22, 16, v17
	s_sub_co_i32 s15, s38, 32
	v_cmp_le_i32_e64 s5, s38, v3
	v_cmp_le_i32_e64 s12, s15, v17
	;; [unrolled: 1-line block ×5, first 2 shown]
	v_lshrrev_b32_e32 v3, 4, v15
	s_or_b32 s18, s3, vcc_lo
	v_cmp_le_i32_e64 s3, s38, v21
	v_and_b32_e32 v16, 15, v0
	s_add_co_i32 s17, ttmp9, 1
	v_lshlrev_b32_e32 v21, 6, v3
	s_ashr_i32 s55, s54, 31
	s_ashr_i32 s39, s38, 31
	s_xor_b32 s66, s18, -1
	s_lshl_b64 s[42:43], s[52:53], 7
	s_lshl_b64 s[44:45], s[52:53], 8
	;; [unrolled: 1-line block ×3, first 2 shown]
	v_cmp_gt_u32_e64 s10, 32, v15
	s_cmp_lt_u32 s17, s34
	v_mad_u32_u24 v201, 0x430, v16, v21
	v_mul_i32_i24_e32 v21, 0xffffffd0, v3
	v_cmp_gt_u32_e64 s17, 64, v15
	v_mov_b32_e32 v3, v13
	v_mad_u32_u24 v13, 0x430, v14, v182
	v_add_nc_u32_e32 v15, 0x530, v19
	v_cmp_eq_u32_e64 s0, 0, v14
	v_lshlrev_b32_e32 v198, 2, v14
	v_mad_u32_u24 v200, 0x10c0, v14, v182
	scratch_store_b32 off, v13, off         ; 4-byte Folded Spill
	v_mad_co_u64_u32 v[13:14], null, s53, v18, v[3:4]
	v_lshlrev_b64_e32 v[173:174], 4, v[8:9]
	v_mad_co_u64_u32 v[8:9], null, s52, v15, 0
	v_cmp_le_i32_e64 s2, s38, v17
	v_cmp_le_i32_e64 s4, s38, v22
	v_cmp_eq_u32_e64 s16, 1, v17
	v_sub_co_u32 v12, vcc_lo, v12, v173
	s_delay_alu instid0(VALU_DEP_1) | instskip(SKIP_4) | instid1(VALU_DEP_4)
	v_sub_co_ci_u32_e64 v3, null, v13, v174, vcc_lo
	v_sub_co_u32 v8, vcc_lo, v8, v173
	v_mul_i32_i24_e32 v20, 0xffffffd0, v17
	v_and_b32_e32 v17, 48, v0
	v_or_b32_e32 v22, 0xf0, v182
	v_or_b32_e32 v8, 8, v8
	scratch_store_b32 off, v3, off offset:8 ; 4-byte Folded Spill
	v_mov_b32_e32 v3, v9
	v_or_b32_e32 v9, 8, v12
	v_lshlrev_b32_e32 v17, 4, v17
	v_mad_u32_u24 v203, 0x430, v16, v22
	v_add_nc_u32_e32 v22, 0x500, v19
	v_mad_co_u64_u32 v[12:13], null, s53, v15, v[3:4]
	s_delay_alu instid0(VALU_DEP_4)
	v_mad_u32_u24 v202, 0x430, v16, v17
	scratch_store_b32 off, v8, off offset:20 ; 4-byte Folded Spill
	v_mad_co_u64_u32 v[15:16], null, s52, v22, 0
	s_cselect_b32 s67, -1, 0
	s_and_b32 s69, s0, s18
	s_wait_alu 0xfffd
	v_sub_co_ci_u32_e64 v3, null, v12, v174, vcc_lo
	scratch_store_b32 off, v9, off offset:12 ; 4-byte Folded Spill
	v_dual_mov_b32 v8, v16 :: v_dual_add_nc_u32 v9, 0x210, v19
	scratch_store_b32 off, v3, off offset:16 ; 4-byte Folded Spill
	s_wait_alu 0xfffe
	s_mul_u64 s[48:49], s[30:31], s[54:55]
	v_lshlrev_b64_e32 v[235:236], 4, v[10:11]
	v_mad_co_u64_u32 v[13:14], null, s52, v9, 0
	v_lshlrev_b64_e32 v[179:180], 4, v[6:7]
	v_cmp_gt_i32_e64 s1, s38, v2
	v_add_nc_u32_e32 v191, 0x210, v190
	v_add_nc_u32_e32 v193, 0x420, v190
	;; [unrolled: 1-line block ×3, first 2 shown]
	v_lshlrev_b32_e32 v239, 4, v2
	v_dual_mov_b32 v3, v14 :: v_dual_add_nc_u32 v14, 0x200, v19
	s_mul_u64 s[56:57], s[52:53], s[54:55]
	s_sub_nc_u64 s[60:61], 0, s[48:49]
	s_mul_u64 s[46:47], s[52:53], 0x180
	s_delay_alu instid0(VALU_DEP_1)
	v_mad_co_u64_u32 v[16:17], null, s53, v9, v[3:4]
	v_sub_co_u32 v3, vcc_lo, v13, v173
	v_mad_co_u64_u32 v[17:18], null, s52, v14, 0
	v_mad_co_u64_u32 v[8:9], null, s53, v22, v[8:9]
	scratch_store_b32 off, v3, off offset:24 ; 4-byte Folded Spill
	s_wait_alu 0xfffd
	v_sub_co_ci_u32_e64 v3, null, v16, v174, vcc_lo
	v_sub_co_u32 v15, vcc_lo, v15, v173
	v_add_nc_u32_e32 v204, 0x3180, v184
	v_add_nc_u32_e32 v22, 0x510, v19
	s_wait_alu 0xfffd
	v_sub_co_ci_u32_e64 v8, null, v8, v174, vcc_lo
	scratch_store_b32 off, v3, off offset:28 ; 4-byte Folded Spill
	v_mov_b32_e32 v3, v18
	v_mad_co_u64_u32 v[12:13], null, s52, v22, 0
	scratch_store_b32 off, v8, off offset:32 ; 4-byte Folded Spill
	v_add_nc_u32_e32 v16, 0x230, v19
	v_mad_co_u64_u32 v[8:9], null, s53, v14, v[3:4]
	v_or_b32_e32 v3, 8, v15
	v_sub_co_u32 v9, vcc_lo, v17, v173
	s_add_co_i32 s68, s34, -2
	s_sub_nc_u64 s[48:49], 0, s[38:39]
	scratch_store_b32 off, v3, off offset:36 ; 4-byte Folded Spill
	v_mov_b32_e32 v3, v13
	v_mad_co_u64_u32 v[13:14], null, s52, v16, 0
	s_wait_alu 0xfffd
	v_sub_co_ci_u32_e64 v8, null, v8, v174, vcc_lo
	scratch_store_b32 off, v9, off offset:40 ; 4-byte Folded Spill
	v_sub_co_u32 v12, vcc_lo, v12, v173
	scratch_store_b32 off, v8, off offset:44 ; 4-byte Folded Spill
	v_mad_co_u64_u32 v[8:9], null, s53, v22, v[3:4]
	v_mov_b32_e32 v3, v14
	v_add_nc_u32_e32 v9, 0x520, v19
	v_add_nc_u32_e32 v22, 0x320, v19
	s_add_co_i32 s70, s54, 64
	s_lshl_b64 s[50:51], s[52:53], 10
	v_mad_co_u64_u32 v[16:17], null, s53, v16, v[3:4]
	s_wait_alu 0xfffd
	v_sub_co_ci_u32_e64 v3, null, v8, v174, vcc_lo
	v_mad_co_u64_u32 v[14:15], null, s52, v9, 0
	v_sub_co_u32 v8, vcc_lo, v13, v173
	scratch_store_b32 off, v3, off offset:48 ; 4-byte Folded Spill
	v_or_b32_e32 v3, 8, v12
	v_mad_co_u64_u32 v[17:18], null, s52, v22, 0
	scratch_store_b32 off, v8, off offset:56 ; 4-byte Folded Spill
	s_wait_alu 0xfffd
	v_sub_co_ci_u32_e64 v8, null, v16, v174, vcc_lo
	scratch_store_b32 off, v3, off offset:52 ; 4-byte Folded Spill
	v_mov_b32_e32 v3, v15
	s_lshl_b64 s[26:27], s[26:27], 4
	s_lshl_b64 s[22:23], s[22:23], 4
	s_delay_alu instid0(VALU_DEP_1)
	v_mad_co_u64_u32 v[12:13], null, s53, v9, v[3:4]
	v_sub_co_u32 v3, vcc_lo, v14, v173
	scratch_store_b32 off, v8, off offset:60 ; 4-byte Folded Spill
	v_mov_b32_e32 v8, v18
	v_add_nc_u32_e32 v18, 0x430, v19
	scratch_store_b32 off, v3, off offset:64 ; 4-byte Folded Spill
	s_wait_alu 0xfffd
	v_sub_co_ci_u32_e64 v3, null, v12, v174, vcc_lo
	v_mad_co_u64_u32 v[8:9], null, s53, v22, v[8:9]
	v_mad_co_u64_u32 v[15:16], null, s52, v18, 0
	v_sub_co_u32 v17, vcc_lo, v17, v173
	scratch_store_b32 off, v3, off offset:68 ; 4-byte Folded Spill
	v_add_nc_u32_e32 v22, 0x310, v19
	s_wait_alu 0xfffd
	v_sub_co_ci_u32_e64 v3, null, v8, v174, vcc_lo
	v_sub_co_u32 v15, vcc_lo, v15, v173
	s_delay_alu instid0(VALU_DEP_3) | instskip(SKIP_3) | instid1(VALU_DEP_2)
	v_mad_co_u64_u32 v[8:9], null, s52, v22, 0
	scratch_store_b32 off, v3, off offset:72 ; 4-byte Folded Spill
	v_dual_mov_b32 v3, v16 :: v_dual_add_nc_u32 v16, 0x400, v19
	v_add_nc_u32_e32 v199, 0x4300, v19
	v_mad_co_u64_u32 v[12:13], null, s53, v18, v[3:4]
	v_or_b32_e32 v3, 8, v17
	s_delay_alu instid0(VALU_DEP_4)
	v_mad_co_u64_u32 v[13:14], null, s52, v16, 0
	v_add_nc_u32_e32 v18, 0x300, v19
	scratch_store_b32 off, v3, off offset:76 ; 4-byte Folded Spill
	v_mov_b32_e32 v3, v9
	s_wait_alu 0xfffd
	v_sub_co_ci_u32_e64 v9, null, v12, v174, vcc_lo
	scratch_store_b32 off, v9, off offset:80 ; 4-byte Folded Spill
	v_or_b32_e32 v9, 8, v15
	scratch_store_b32 off, v9, off offset:84 ; 4-byte Folded Spill
	v_mov_b32_e32 v9, v14
	v_mad_co_u64_u32 v[14:15], null, s53, v22, v[3:4]
	v_sub_co_u32 v3, s18, v8, v173
	s_delay_alu instid0(VALU_DEP_3) | instskip(SKIP_3) | instid1(VALU_DEP_3)
	v_mad_co_u64_u32 v[15:16], null, s53, v16, v[9:10]
	v_add_nc_u32_e32 v9, 0x410, v19
	v_mad_co_u64_u32 v[16:17], null, s52, v18, 0
	v_sub_co_u32 v22, vcc_lo, v13, v173
	v_mad_co_u64_u32 v[12:13], null, s52, v9, 0
	s_wait_alu 0xfffd
	v_sub_co_ci_u32_e64 v8, null, v15, v174, vcc_lo
	scratch_store_b32 off, v3, off offset:88 ; 4-byte Folded Spill
	v_sub_co_ci_u32_e64 v3, null, v14, v174, s18
	v_add_nc_u32_e32 v0, 0x4300, v182
	scratch_store_b32 off, v8, off offset:96 ; 4-byte Folded Spill
	v_or_b32_e32 v8, 8, v22
	scratch_store_b32 off, v3, off offset:92 ; 4-byte Folded Spill
	v_dual_mov_b32 v3, v17 :: v_dual_add_nc_u32 v22, 0x330, v19
	v_add_nc_u32_e32 v19, 0x420, v19
	scratch_store_b32 off, v8, off offset:100 ; 4-byte Folded Spill
	v_mov_b32_e32 v8, v13
	v_mad_co_u64_u32 v[13:14], null, s53, v18, v[3:4]
	v_sub_co_u32 v3, vcc_lo, v16, v173
	v_mad_co_u64_u32 v[14:15], null, s52, v22, 0
	s_delay_alu instid0(VALU_DEP_4)
	v_mad_co_u64_u32 v[8:9], null, s53, v9, v[8:9]
	scratch_store_b32 off, v3, off offset:104 ; 4-byte Folded Spill
	s_wait_alu 0xfffd
	v_sub_co_ci_u32_e64 v3, null, v13, v174, vcc_lo
	v_sub_co_u32 v9, vcc_lo, v12, v173
	v_mad_co_u64_u32 v[17:18], null, s52, v19, 0
	s_wait_alu 0xfffd
	v_sub_co_ci_u32_e64 v8, null, v8, v174, vcc_lo
	s_delay_alu instid0(VALU_DEP_3) | instskip(SKIP_3) | instid1(VALU_DEP_2)
	v_or_b32_e32 v9, 8, v9
	scratch_store_b32 off, v3, off offset:108 ; 4-byte Folded Spill
	v_mov_b32_e32 v3, v15
	v_add_nc_u32_e32 v183, 0x4700, v182
	v_mad_co_u64_u32 v[12:13], null, s53, v22, v[3:4]
	v_sub_co_u32 v3, vcc_lo, v17, v173
	s_delay_alu instid0(VALU_DEP_1)
	v_or_b32_e32 v3, 8, v3
	s_clause 0x1
	scratch_store_b32 off, v9, off offset:116
	scratch_store_b32 off, v3, off offset:132
	v_add_nc_u32_e32 v3, v196, v20
	scratch_store_b32 off, v8, off offset:112 ; 4-byte Folded Spill
	v_mov_b32_e32 v8, v18
	scratch_store_b32 off, v3, off offset:4 ; 4-byte Folded Spill
	v_lshlrev_b64_e32 v[3:4], 4, v[4:5]
	v_mad_co_u64_u32 v[8:9], null, s53, v19, v[8:9]
	v_sub_co_u32 v9, s18, v14, v173
	s_lshl_b64 s[52:53], s[54:55], 4
	s_lshl_b64 s[54:55], s[56:57], 4
	;; [unrolled: 1-line block ×4, first 2 shown]
	s_wait_alu 0xfffd
	v_sub_co_ci_u32_e64 v8, null, v8, v174, vcc_lo
	scratch_store_b32 off, v9, off offset:120 ; 4-byte Folded Spill
	v_sub_co_ci_u32_e64 v9, null, v12, v174, s18
	s_clause 0x2
	scratch_store_b32 off, v8, off offset:128
	scratch_store_b64 off, v[3:4], off offset:136
	scratch_store_b32 off, v9, off offset:124
	s_branch .LBB190_4
.LBB190_2:                              ;   in Loop: Header=BB190_4 Depth=1
	s_wait_alu 0xfffe
	s_or_b32 exec_lo, exec_lo, s18
.LBB190_3:                              ;   in Loop: Header=BB190_4 Depth=1
	s_add_co_i32 s28, s28, 0x10000
	s_delay_alu instid0(SALU_CYCLE_1)
	s_cmp_lt_u32 s28, s19
	s_cbranch_scc0 .LBB190_156
.LBB190_4:                              ; =>This Loop Header: Depth=1
                                        ;     Child Loop BB190_78 Depth 2
	s_and_not1_b32 vcc_lo, exec_lo, s35
	s_mov_b32 s18, -1
	s_wait_alu 0xfffe
	s_cbranch_vccz .LBB190_6
; %bb.5:                                ;   in Loop: Header=BB190_4 Depth=1
	s_and_not1_b32 vcc_lo, exec_lo, s18
	s_wait_alu 0xfffe
	s_cbranch_vccnz .LBB190_3
	s_branch .LBB190_7
.LBB190_6:                              ;   in Loop: Header=BB190_4 Depth=1
	s_and_b32 vcc_lo, exec_lo, s64
	s_cbranch_execnz .LBB190_3
.LBB190_7:                              ;   in Loop: Header=BB190_4 Depth=1
	s_lshl_b64 s[60:61], s[28:29], 3
	s_wait_alu 0xfffe
	s_add_nc_u64 s[62:63], s[24:25], s[60:61]
	s_add_nc_u64 s[60:61], s[20:21], s[60:61]
	s_clause 0x1
	global_load_b64 v[2:3], v1, s[62:63]
	global_load_b64 v[5:6], v1, s[60:61]
	s_wait_loadcnt 0x1
	v_add_co_u32 v2, vcc_lo, v2, s26
	s_wait_alu 0xfffd
	v_add_co_ci_u32_e64 v3, null, s27, v3, vcc_lo
	s_delay_alu instid0(VALU_DEP_2) | instskip(SKIP_1) | instid1(VALU_DEP_2)
	v_add_co_u32 v41, vcc_lo, v2, v235
	s_wait_alu 0xfffd
	v_add_co_ci_u32_e64 v42, null, v3, v236, vcc_lo
	s_and_saveexec_b32 s18, s0
	s_cbranch_execz .LBB190_12
; %bb.8:                                ;   in Loop: Header=BB190_4 Depth=1
	s_and_saveexec_b32 s60, s66
	s_wait_alu 0xfffe
	s_xor_b32 s60, exec_lo, s60
; %bb.9:                                ;   in Loop: Header=BB190_4 Depth=1
	v_dual_mov_b32 v2, v1 :: v_dual_mov_b32 v3, v1
	v_mov_b32_e32 v4, v1
	ds_store_b128 v183, v[1:4]
; %bb.10:                               ;   in Loop: Header=BB190_4 Depth=1
	s_wait_alu 0xfffe
	s_and_not1_saveexec_b32 s60, s60
	s_cbranch_execz .LBB190_12
; %bb.11:                               ;   in Loop: Header=BB190_4 Depth=1
	flat_load_b128 v[7:10], v[41:42]
	s_wait_loadcnt_dscnt 0x0
	ds_store_2addr_b64 v183, v[7:8], v[9:10] offset1:1
.LBB190_12:                             ;   in Loop: Header=BB190_4 Depth=1
	s_wait_alu 0xfffe
	s_or_b32 exec_lo, exec_lo, s18
	s_wait_loadcnt 0x0
	v_add_co_u32 v2, vcc_lo, v5, s22
	s_wait_alu 0xfffd
	v_add_co_ci_u32_e64 v3, null, s23, v6, vcc_lo
	s_mov_b32 s18, -1
	v_add_co_u32 v2, vcc_lo, v2, s52
	s_wait_alu 0xfffd
	v_add_co_ci_u32_e64 v3, null, s53, v3, vcc_lo
	s_delay_alu instid0(VALU_DEP_2) | instskip(SKIP_1) | instid1(VALU_DEP_2)
	v_add_co_u32 v2, vcc_lo, v2, v173
	s_wait_alu 0xfffd
	v_add_co_ci_u32_e64 v3, null, v3, v174, vcc_lo
	s_delay_alu instid0(VALU_DEP_2) | instskip(SKIP_1) | instid1(VALU_DEP_2)
	v_add_co_u32 v5, vcc_lo, v2, s54
	s_wait_alu 0xfffd
	v_add_co_ci_u32_e64 v6, null, s55, v3, vcc_lo
	s_and_b32 vcc_lo, exec_lo, s65
                                        ; implicit-def: $vgpr2_vgpr3
	s_wait_alu 0xfffe
	s_cbranch_vccz .LBB190_24
; %bb.13:                               ;   in Loop: Header=BB190_4 Depth=1
	s_and_saveexec_b32 s18, s2
	s_wait_alu 0xfffe
	s_xor_b32 s18, exec_lo, s18
; %bb.14:                               ;   in Loop: Header=BB190_4 Depth=1
	v_dual_mov_b32 v2, v1 :: v_dual_mov_b32 v3, v1
	v_mov_b32_e32 v4, v1
	ds_store_b128 v184, v[1:4]
; %bb.15:                               ;   in Loop: Header=BB190_4 Depth=1
	s_wait_alu 0xfffe
	s_or_saveexec_b32 s18, s18
	v_add_co_u32 v2, vcc_lo, v5, v179
	s_wait_alu 0xfffd
	v_add_co_ci_u32_e64 v3, null, v6, v180, vcc_lo
	s_lshl_b64 s[60:61], s[38:39], 4
	s_wait_alu 0xfffe
	v_add_co_u32 v2, vcc_lo, v2, s60
	s_wait_alu 0xfffd
	v_add_co_ci_u32_e64 v3, null, s61, v3, vcc_lo
	s_delay_alu instid0(VALU_DEP_2) | instskip(SKIP_1) | instid1(VALU_DEP_2)
	v_add_co_u32 v2, vcc_lo, v2, -16
	s_wait_alu 0xfffd
	v_add_co_ci_u32_e64 v3, null, -1, v3, vcc_lo
	s_delay_alu instid0(VALU_DEP_2) | instskip(NEXT) | instid1(VALU_DEP_2)
	v_cndmask_b32_e64 v7, v2, v5, s1
	v_cndmask_b32_e64 v8, v3, v6, s1
	s_xor_b32 exec_lo, exec_lo, s18
	s_cbranch_execnz .LBB190_138
; %bb.16:                               ;   in Loop: Header=BB190_4 Depth=1
	s_or_b32 exec_lo, exec_lo, s18
	s_and_saveexec_b32 s18, s3
	s_wait_alu 0xfffe
	s_xor_b32 s18, exec_lo, s18
	s_cbranch_execnz .LBB190_139
.LBB190_17:                             ;   in Loop: Header=BB190_4 Depth=1
	s_wait_alu 0xfffe
	s_and_not1_saveexec_b32 s18, s18
	s_cbranch_execnz .LBB190_140
.LBB190_18:                             ;   in Loop: Header=BB190_4 Depth=1
	s_wait_alu 0xfffe
	s_or_b32 exec_lo, exec_lo, s18
	s_and_saveexec_b32 s18, s4
	s_wait_alu 0xfffe
	s_xor_b32 s18, exec_lo, s18
	s_cbranch_execnz .LBB190_141
.LBB190_19:                             ;   in Loop: Header=BB190_4 Depth=1
	s_wait_alu 0xfffe
	s_and_not1_saveexec_b32 s18, s18
	s_cbranch_execnz .LBB190_142
.LBB190_20:                             ;   in Loop: Header=BB190_4 Depth=1
	s_wait_alu 0xfffe
	s_or_b32 exec_lo, exec_lo, s18
	s_and_saveexec_b32 s18, s5
	s_wait_alu 0xfffe
	s_xor_b32 s18, exec_lo, s18
	s_cbranch_execnz .LBB190_143
.LBB190_21:                             ;   in Loop: Header=BB190_4 Depth=1
	s_wait_alu 0xfffe
	s_and_not1_saveexec_b32 s18, s18
	s_cbranch_execz .LBB190_23
.LBB190_22:                             ;   in Loop: Header=BB190_4 Depth=1
	v_add_co_u32 v2, vcc_lo, v7, s46
	s_wait_alu 0xfffd
	v_add_co_ci_u32_e64 v3, null, s47, v8, vcc_lo
	flat_load_b128 v[9:12], v[2:3]
	s_wait_loadcnt_dscnt 0x0
	ds_store_2addr_b64 v204, v[9:10], v[11:12] offset1:1
.LBB190_23:                             ;   in Loop: Header=BB190_4 Depth=1
	s_wait_alu 0xfffe
	s_or_b32 exec_lo, exec_lo, s18
	v_add_co_u32 v2, vcc_lo, v7, v239
	s_wait_alu 0xfffd
	v_add_co_ci_u32_e64 v3, null, 0, v8, vcc_lo
	s_lshl_b64 s[60:61], s[48:49], 4
	s_mov_b32 s18, 0
	s_wait_alu 0xfffe
	v_add_co_u32 v2, vcc_lo, v2, s60
	s_wait_alu 0xfffd
	v_add_co_ci_u32_e64 v3, null, s61, v3, vcc_lo
	s_delay_alu instid0(VALU_DEP_2) | instskip(SKIP_1) | instid1(VALU_DEP_2)
	v_add_co_u32 v2, vcc_lo, v2, 16
	s_wait_alu 0xfffd
	v_add_co_ci_u32_e64 v3, null, 0, v3, vcc_lo
	s_delay_alu instid0(VALU_DEP_2) | instskip(NEXT) | instid1(VALU_DEP_2)
	v_cndmask_b32_e64 v2, v2, v5, s1
	v_cndmask_b32_e64 v3, v3, v6, s1
.LBB190_24:                             ;   in Loop: Header=BB190_4 Depth=1
	s_and_b32 vcc_lo, exec_lo, s18
	s_wait_alu 0xfffe
	s_cbranch_vccz .LBB190_26
; %bb.25:                               ;   in Loop: Header=BB190_4 Depth=1
	flat_load_b128 v[7:10], v[5:6]
	v_add_co_u32 v2, vcc_lo, v5, s42
	s_wait_alu 0xfffd
	v_add_co_ci_u32_e64 v3, null, s43, v6, vcc_lo
	v_add_nc_u32_e32 v4, 0x1080, v184
	s_wait_loadcnt_dscnt 0x0
	ds_store_2addr_b64 v184, v[7:8], v[9:10] offset1:1
	flat_load_b128 v[7:10], v[2:3]
	v_add_co_u32 v2, vcc_lo, v2, s42
	s_wait_alu 0xfffd
	v_add_co_ci_u32_e64 v3, null, s43, v3, vcc_lo
	s_wait_loadcnt_dscnt 0x0
	ds_store_2addr_b64 v4, v[7:8], v[9:10] offset1:1
	flat_load_b128 v[7:10], v[2:3]
	v_add_co_u32 v2, vcc_lo, v2, s42
	v_add_nc_u32_e32 v4, 0x2100, v184
	s_wait_alu 0xfffd
	v_add_co_ci_u32_e64 v3, null, s43, v3, vcc_lo
	s_wait_loadcnt_dscnt 0x0
	ds_store_2addr_b64 v4, v[7:8], v[9:10] offset1:1
	flat_load_b128 v[7:10], v[2:3]
	v_dual_mov_b32 v2, v5 :: v_dual_mov_b32 v3, v6
	s_wait_loadcnt_dscnt 0x0
	ds_store_2addr_b64 v204, v[7:8], v[9:10] offset1:1
.LBB190_26:                             ;   in Loop: Header=BB190_4 Depth=1
	s_wait_storecnt_dscnt 0x0
	s_barrier_signal -1
	s_barrier_wait -1
	global_inv scope:SCOPE_SE
	s_and_saveexec_b32 s18, s6
	s_cbranch_execnz .LBB190_132
; %bb.27:                               ;   in Loop: Header=BB190_4 Depth=1
	s_wait_alu 0xfffe
	s_or_b32 exec_lo, exec_lo, s18
	s_and_saveexec_b32 s18, s7
	s_cbranch_execnz .LBB190_133
.LBB190_28:                             ;   in Loop: Header=BB190_4 Depth=1
	s_wait_alu 0xfffe
	s_or_b32 exec_lo, exec_lo, s18
	s_and_saveexec_b32 s18, s8
	s_cbranch_execnz .LBB190_134
.LBB190_29:                             ;   in Loop: Header=BB190_4 Depth=1
	s_wait_alu 0xfffe
	s_or_b32 exec_lo, exec_lo, s18
	s_and_saveexec_b32 s18, s9
	s_cbranch_execz .LBB190_31
.LBB190_30:                             ;   in Loop: Header=BB190_4 Depth=1
	ds_load_b128 v[4:7], v193
	v_add_nc_u32_e32 v8, 48, v237
	s_wait_dscnt 0x0
	ds_store_b128 v8, v[4:7]
.LBB190_31:                             ;   in Loop: Header=BB190_4 Depth=1
	s_wait_alu 0xfffe
	s_or_b32 exec_lo, exec_lo, s18
	s_wait_loadcnt_dscnt 0x0
	s_barrier_signal -1
	s_barrier_wait -1
	global_inv scope:SCOPE_SE
	ds_load_b128 v[4:7], v189
	ds_load_b128 v[8:11], v194
	ds_load_b128 v[12:15], v194 offset:16
	ds_load_b128 v[16:19], v190
	s_wait_dscnt 0x2
	v_mul_f64_e32 v[20:21], v[10:11], v[6:7]
	v_mul_f64_e32 v[6:7], v[8:9], v[6:7]
	s_wait_dscnt 0x0
	v_mul_f64_e32 v[26:27], v[14:15], v[18:19]
	v_mul_f64_e32 v[28:29], v[12:13], v[18:19]
	s_delay_alu instid0(VALU_DEP_4) | instskip(NEXT) | instid1(VALU_DEP_4)
	v_fma_f64 v[30:31], v[8:9], v[4:5], -v[20:21]
	v_fma_f64 v[32:33], v[10:11], v[4:5], v[6:7]
	ds_load_b128 v[4:7], v191
	ds_load_b128 v[8:11], v194 offset:32
	ds_load_b128 v[18:21], v194 offset:48
	ds_load_b128 v[22:25], v193
	v_fma_f64 v[12:13], v[12:13], v[16:17], -v[26:27]
	v_fma_f64 v[14:15], v[14:15], v[16:17], v[28:29]
	s_wait_loadcnt_dscnt 0x0
	s_barrier_signal -1
	s_barrier_wait -1
	global_inv scope:SCOPE_SE
	v_mul_f64_e32 v[34:35], v[10:11], v[6:7]
	v_mul_f64_e32 v[6:7], v[8:9], v[6:7]
	;; [unrolled: 1-line block ×4, first 2 shown]
	v_add_f64_e32 v[16:17], 0, v[30:31]
	v_add_f64_e32 v[26:27], 0, v[32:33]
	v_fma_f64 v[8:9], v[8:9], v[4:5], -v[34:35]
	v_fma_f64 v[4:5], v[10:11], v[4:5], v[6:7]
	s_delay_alu instid0(VALU_DEP_4) | instskip(NEXT) | instid1(VALU_DEP_4)
	v_add_f64_e32 v[6:7], v[16:17], v[12:13]
	v_add_f64_e32 v[10:11], v[26:27], v[14:15]
	v_fma_f64 v[12:13], v[18:19], v[22:23], -v[28:29]
	v_fma_f64 v[14:15], v[20:21], v[22:23], v[24:25]
	s_delay_alu instid0(VALU_DEP_4) | instskip(NEXT) | instid1(VALU_DEP_4)
	v_add_f64_e32 v[6:7], v[6:7], v[8:9]
	v_add_f64_e32 v[4:5], v[10:11], v[4:5]
	s_delay_alu instid0(VALU_DEP_2) | instskip(NEXT) | instid1(VALU_DEP_2)
	v_add_f64_e32 v[9:10], v[6:7], v[12:13]
	v_add_f64_e32 v[11:12], v[4:5], v[14:15]
	v_mov_b32_e32 v5, 0
	v_dual_mov_b32 v6, 0 :: v_dual_mov_b32 v7, 0
	v_mov_b32_e32 v8, 0
	ds_store_b128 v195, v[9:12]
	s_wait_loadcnt_dscnt 0x0
	s_barrier_signal -1
	s_barrier_wait -1
	global_inv scope:SCOPE_SE
	s_and_saveexec_b32 s18, s10
	s_cbranch_execz .LBB190_33
; %bb.32:                               ;   in Loop: Header=BB190_4 Depth=1
	ds_load_b128 v[4:7], v192
	ds_load_b128 v[8:11], v192 offset:16
	s_wait_dscnt 0x0
	v_add_f64_e32 v[12:13], v[8:9], v[4:5]
	v_add_f64_e32 v[14:15], v[10:11], v[6:7]
	ds_load_b128 v[4:7], v192 offset:32
	ds_load_b128 v[8:11], v192 offset:48
	s_wait_dscnt 0x1
	v_add_f64_e32 v[4:5], v[12:13], v[4:5]
	v_add_f64_e32 v[6:7], v[14:15], v[6:7]
	s_wait_dscnt 0x0
	s_delay_alu instid0(VALU_DEP_2) | instskip(NEXT) | instid1(VALU_DEP_2)
	v_add_f64_e32 v[12:13], v[4:5], v[8:9]
	v_add_f64_e32 v[14:15], v[6:7], v[10:11]
	ds_load_b128 v[4:7], v192 offset:64
	ds_load_b128 v[8:11], v192 offset:80
	s_wait_dscnt 0x1
	v_add_f64_e32 v[4:5], v[12:13], v[4:5]
	v_add_f64_e32 v[6:7], v[14:15], v[6:7]
	s_wait_dscnt 0x0
	s_delay_alu instid0(VALU_DEP_2) | instskip(NEXT) | instid1(VALU_DEP_2)
	;; [unrolled: 9-line block ×3, first 2 shown]
	v_add_f64_e32 v[5:6], v[4:5], v[8:9]
	v_add_f64_e32 v[7:8], v[12:13], v[10:11]
.LBB190_33:                             ;   in Loop: Header=BB190_4 Depth=1
	s_wait_alu 0xfffe
	s_or_b32 exec_lo, exec_lo, s18
	v_add_co_u32 v13, vcc_lo, v2, s56
	s_wait_alu 0xfffd
	v_add_co_ci_u32_e64 v14, null, s57, v3, vcc_lo
	s_mov_b32 s18, -1
	v_add_co_u32 v11, vcc_lo, 0x200, v13
	s_wait_alu 0xfffd
	v_add_co_ci_u32_e64 v12, null, 0, v14, vcc_lo
	s_and_b32 vcc_lo, exec_lo, s65
	s_wait_loadcnt 0x0
	s_barrier_signal -1
	s_barrier_wait -1
	global_inv scope:SCOPE_SE
                                        ; implicit-def: $vgpr9_vgpr10
	s_wait_alu 0xfffe
	s_cbranch_vccz .LBB190_45
; %bb.34:                               ;   in Loop: Header=BB190_4 Depth=1
	s_and_saveexec_b32 s18, s12
	s_wait_alu 0xfffe
	s_xor_b32 s18, exec_lo, s18
; %bb.35:                               ;   in Loop: Header=BB190_4 Depth=1
	v_dual_mov_b32 v2, v1 :: v_dual_mov_b32 v3, v1
	v_mov_b32_e32 v4, v1
	ds_store_b128 v184, v[1:4]
; %bb.36:                               ;   in Loop: Header=BB190_4 Depth=1
	s_wait_alu 0xfffe
	s_or_saveexec_b32 s18, s18
	v_add_co_u32 v2, vcc_lo, v13, v179
	s_wait_alu 0xfffd
	v_add_co_ci_u32_e64 v3, null, v14, v180, vcc_lo
	s_lshl_b64 s[60:61], s[38:39], 4
	s_wait_alu 0xfffe
	v_add_co_u32 v2, vcc_lo, v2, s60
	s_wait_alu 0xfffd
	v_add_co_ci_u32_e64 v3, null, s61, v3, vcc_lo
	s_delay_alu instid0(VALU_DEP_2) | instskip(SKIP_1) | instid1(VALU_DEP_2)
	v_add_co_u32 v2, vcc_lo, v2, -16
	s_wait_alu 0xfffd
	v_add_co_ci_u32_e64 v3, null, -1, v3, vcc_lo
	s_delay_alu instid0(VALU_DEP_2) | instskip(NEXT) | instid1(VALU_DEP_2)
	v_cndmask_b32_e64 v9, v2, v11, s11
	v_cndmask_b32_e64 v10, v3, v12, s11
	s_xor_b32 exec_lo, exec_lo, s18
	s_cbranch_execnz .LBB190_144
; %bb.37:                               ;   in Loop: Header=BB190_4 Depth=1
	s_or_b32 exec_lo, exec_lo, s18
	s_and_saveexec_b32 s18, s13
	s_wait_alu 0xfffe
	s_xor_b32 s18, exec_lo, s18
	s_cbranch_execnz .LBB190_145
.LBB190_38:                             ;   in Loop: Header=BB190_4 Depth=1
	s_wait_alu 0xfffe
	s_and_not1_saveexec_b32 s18, s18
	s_cbranch_execnz .LBB190_146
.LBB190_39:                             ;   in Loop: Header=BB190_4 Depth=1
	s_wait_alu 0xfffe
	s_or_b32 exec_lo, exec_lo, s18
	s_and_saveexec_b32 s18, s14
	s_wait_alu 0xfffe
	s_xor_b32 s18, exec_lo, s18
	s_cbranch_execnz .LBB190_147
.LBB190_40:                             ;   in Loop: Header=BB190_4 Depth=1
	s_wait_alu 0xfffe
	s_and_not1_saveexec_b32 s18, s18
	s_cbranch_execnz .LBB190_148
.LBB190_41:                             ;   in Loop: Header=BB190_4 Depth=1
	s_wait_alu 0xfffe
	s_or_b32 exec_lo, exec_lo, s18
	s_and_saveexec_b32 s18, s15
	s_wait_alu 0xfffe
	s_xor_b32 s18, exec_lo, s18
	s_cbranch_execnz .LBB190_149
.LBB190_42:                             ;   in Loop: Header=BB190_4 Depth=1
	s_wait_alu 0xfffe
	s_and_not1_saveexec_b32 s18, s18
	s_cbranch_execz .LBB190_44
.LBB190_43:                             ;   in Loop: Header=BB190_4 Depth=1
	v_add_co_u32 v2, vcc_lo, v9, s46
	s_wait_alu 0xfffd
	v_add_co_ci_u32_e64 v3, null, s47, v10, vcc_lo
	flat_load_b128 v[15:18], v[2:3]
	s_wait_loadcnt_dscnt 0x0
	ds_store_2addr_b64 v204, v[15:16], v[17:18] offset1:1
.LBB190_44:                             ;   in Loop: Header=BB190_4 Depth=1
	s_wait_alu 0xfffe
	s_or_b32 exec_lo, exec_lo, s18
	v_add_co_u32 v2, vcc_lo, v9, v239
	s_wait_alu 0xfffd
	v_add_co_ci_u32_e64 v3, null, 0, v10, vcc_lo
	s_lshl_b64 s[60:61], s[48:49], 4
	s_mov_b32 s18, 0
	s_wait_alu 0xfffe
	v_add_co_u32 v2, vcc_lo, v2, s60
	s_wait_alu 0xfffd
	v_add_co_ci_u32_e64 v3, null, s61, v3, vcc_lo
	s_delay_alu instid0(VALU_DEP_2) | instskip(SKIP_1) | instid1(VALU_DEP_2)
	v_add_co_u32 v2, vcc_lo, 0x210, v2
	s_wait_alu 0xfffd
	v_add_co_ci_u32_e64 v3, null, 0, v3, vcc_lo
	s_delay_alu instid0(VALU_DEP_2) | instskip(NEXT) | instid1(VALU_DEP_2)
	v_cndmask_b32_e64 v9, v2, v11, s11
	v_cndmask_b32_e64 v10, v3, v12, s11
.LBB190_45:                             ;   in Loop: Header=BB190_4 Depth=1
	s_and_b32 vcc_lo, exec_lo, s18
	s_wait_alu 0xfffe
	s_cbranch_vccz .LBB190_47
; %bb.46:                               ;   in Loop: Header=BB190_4 Depth=1
	flat_load_b128 v[15:18], v[11:12]
	v_add_co_u32 v2, vcc_lo, v13, s42
	s_wait_alu 0xfffd
	v_add_co_ci_u32_e64 v3, null, s43, v14, vcc_lo
	v_dual_mov_b32 v9, v11 :: v_dual_add_nc_u32 v4, 0x1080, v184
	v_mov_b32_e32 v10, v12
	s_wait_loadcnt_dscnt 0x0
	ds_store_2addr_b64 v184, v[15:16], v[17:18] offset1:1
	flat_load_b128 v[13:16], v[2:3] offset:512
	v_add_co_u32 v2, vcc_lo, v2, s42
	s_wait_alu 0xfffd
	v_add_co_ci_u32_e64 v3, null, s43, v3, vcc_lo
	s_wait_loadcnt_dscnt 0x0
	ds_store_2addr_b64 v4, v[13:14], v[15:16] offset1:1
	flat_load_b128 v[13:16], v[2:3] offset:512
	v_add_co_u32 v2, vcc_lo, v2, s42
	v_add_nc_u32_e32 v4, 0x2100, v184
	s_wait_alu 0xfffd
	v_add_co_ci_u32_e64 v3, null, s43, v3, vcc_lo
	s_wait_loadcnt_dscnt 0x0
	ds_store_2addr_b64 v4, v[13:14], v[15:16] offset1:1
	flat_load_b128 v[13:16], v[2:3] offset:512
	s_wait_loadcnt_dscnt 0x0
	ds_store_2addr_b64 v204, v[13:14], v[15:16] offset1:1
.LBB190_47:                             ;   in Loop: Header=BB190_4 Depth=1
	s_wait_loadcnt_dscnt 0x0
	s_barrier_signal -1
	s_barrier_wait -1
	global_inv scope:SCOPE_SE
	s_and_saveexec_b32 s18, s6
	s_cbranch_execnz .LBB190_135
; %bb.48:                               ;   in Loop: Header=BB190_4 Depth=1
	s_wait_alu 0xfffe
	s_or_b32 exec_lo, exec_lo, s18
	s_and_saveexec_b32 s18, s7
	s_cbranch_execnz .LBB190_136
.LBB190_49:                             ;   in Loop: Header=BB190_4 Depth=1
	s_wait_alu 0xfffe
	s_or_b32 exec_lo, exec_lo, s18
	s_and_saveexec_b32 s18, s8
	s_cbranch_execnz .LBB190_137
.LBB190_50:                             ;   in Loop: Header=BB190_4 Depth=1
	s_wait_alu 0xfffe
	s_or_b32 exec_lo, exec_lo, s18
	s_and_saveexec_b32 s18, s9
	s_cbranch_execz .LBB190_52
.LBB190_51:                             ;   in Loop: Header=BB190_4 Depth=1
	ds_load_b128 v[11:14], v193
	v_add_nc_u32_e32 v2, 48, v196
	s_wait_dscnt 0x0
	ds_store_b128 v2, v[11:14]
.LBB190_52:                             ;   in Loop: Header=BB190_4 Depth=1
	s_wait_alu 0xfffe
	s_or_b32 exec_lo, exec_lo, s18
	s_wait_loadcnt_dscnt 0x0
	s_barrier_signal -1
	s_barrier_wait -1
	global_inv scope:SCOPE_SE
	ds_load_b128 v[11:14], v189
	ds_load_b128 v[15:18], v194 offset:512
	ds_load_b128 v[19:22], v194 offset:528
	ds_load_b128 v[23:26], v190
	s_wait_dscnt 0x2
	v_mul_f64_e32 v[2:3], v[17:18], v[13:14]
	v_mul_f64_e32 v[13:14], v[15:16], v[13:14]
	s_wait_dscnt 0x0
	v_mul_f64_e32 v[33:34], v[21:22], v[25:26]
	v_mul_f64_e32 v[35:36], v[19:20], v[25:26]
	s_delay_alu instid0(VALU_DEP_4) | instskip(NEXT) | instid1(VALU_DEP_4)
	v_fma_f64 v[2:3], v[15:16], v[11:12], -v[2:3]
	v_fma_f64 v[37:38], v[17:18], v[11:12], v[13:14]
	ds_load_b128 v[11:14], v191
	ds_load_b128 v[15:18], v194 offset:544
	ds_load_b128 v[25:28], v194 offset:560
	ds_load_b128 v[29:32], v193
	v_fma_f64 v[19:20], v[19:20], v[23:24], -v[33:34]
	v_fma_f64 v[21:22], v[21:22], v[23:24], v[35:36]
	s_wait_loadcnt_dscnt 0x0
	s_barrier_signal -1
	s_barrier_wait -1
	global_inv scope:SCOPE_SE
	v_mul_f64_e32 v[39:40], v[17:18], v[13:14]
	v_mul_f64_e32 v[13:14], v[15:16], v[13:14]
	;; [unrolled: 1-line block ×4, first 2 shown]
	v_add_f64_e32 v[2:3], 0, v[2:3]
	v_add_f64_e32 v[23:24], 0, v[37:38]
	v_fma_f64 v[15:16], v[15:16], v[11:12], -v[39:40]
	v_fma_f64 v[11:12], v[17:18], v[11:12], v[13:14]
	v_fma_f64 v[17:18], v[25:26], v[29:30], -v[33:34]
	v_add_f64_e32 v[2:3], v[2:3], v[19:20]
	v_add_f64_e32 v[13:14], v[23:24], v[21:22]
	v_fma_f64 v[19:20], v[27:28], v[29:30], v[31:32]
	s_delay_alu instid0(VALU_DEP_3) | instskip(NEXT) | instid1(VALU_DEP_3)
	v_add_f64_e32 v[2:3], v[2:3], v[15:16]
	v_add_f64_e32 v[13:14], v[13:14], v[11:12]
	s_delay_alu instid0(VALU_DEP_2) | instskip(NEXT) | instid1(VALU_DEP_2)
	v_add_f64_e32 v[11:12], v[2:3], v[17:18]
	v_add_f64_e32 v[13:14], v[13:14], v[19:20]
	ds_store_b128 v195, v[11:14]
	s_wait_loadcnt_dscnt 0x0
	s_barrier_signal -1
	s_barrier_wait -1
	global_inv scope:SCOPE_SE
	s_and_saveexec_b32 s18, s16
	s_cbranch_execz .LBB190_54
; %bb.53:                               ;   in Loop: Header=BB190_4 Depth=1
	ds_load_b128 v[2:5], v192
	ds_load_b128 v[11:14], v192 offset:16
	s_wait_dscnt 0x0
	v_add_f64_e32 v[6:7], v[11:12], v[2:3]
	v_add_f64_e32 v[15:16], v[13:14], v[4:5]
	ds_load_b128 v[2:5], v192 offset:32
	ds_load_b128 v[11:14], v192 offset:48
	s_wait_dscnt 0x1
	v_add_f64_e32 v[2:3], v[6:7], v[2:3]
	v_add_f64_e32 v[4:5], v[15:16], v[4:5]
	s_wait_dscnt 0x0
	s_delay_alu instid0(VALU_DEP_2) | instskip(NEXT) | instid1(VALU_DEP_2)
	v_add_f64_e32 v[6:7], v[2:3], v[11:12]
	v_add_f64_e32 v[15:16], v[4:5], v[13:14]
	ds_load_b128 v[2:5], v192 offset:64
	ds_load_b128 v[11:14], v192 offset:80
	s_wait_dscnt 0x1
	v_add_f64_e32 v[2:3], v[6:7], v[2:3]
	v_add_f64_e32 v[4:5], v[15:16], v[4:5]
	s_wait_dscnt 0x0
	s_delay_alu instid0(VALU_DEP_2) | instskip(NEXT) | instid1(VALU_DEP_2)
	;; [unrolled: 9-line block ×3, first 2 shown]
	v_add_f64_e32 v[5:6], v[2:3], v[11:12]
	v_add_f64_e32 v[7:8], v[7:8], v[13:14]
.LBB190_54:                             ;   in Loop: Header=BB190_4 Depth=1
	s_wait_alu 0xfffe
	s_or_b32 exec_lo, exec_lo, s18
	v_add_co_u32 v11, vcc_lo, 0xfffffe00, v9
	s_wait_alu 0xfffd
	v_add_co_ci_u32_e64 v12, null, -1, v10, vcc_lo
	s_and_b32 vcc_lo, exec_lo, s65
	s_mov_b32 s18, -1
	s_wait_loadcnt 0x0
	s_barrier_signal -1
	s_barrier_wait -1
	global_inv scope:SCOPE_SE
                                        ; implicit-def: $vgpr2_vgpr3
	s_wait_alu 0xfffe
	s_cbranch_vccz .LBB190_66
; %bb.55:                               ;   in Loop: Header=BB190_4 Depth=1
	s_and_saveexec_b32 s18, s12
	s_wait_alu 0xfffe
	s_xor_b32 s18, exec_lo, s18
; %bb.56:                               ;   in Loop: Header=BB190_4 Depth=1
	v_dual_mov_b32 v2, v1 :: v_dual_mov_b32 v3, v1
	v_mov_b32_e32 v4, v1
	ds_store_b128 v184, v[1:4]
; %bb.57:                               ;   in Loop: Header=BB190_4 Depth=1
	s_wait_alu 0xfffe
	s_or_saveexec_b32 s18, s18
	v_add_co_u32 v2, vcc_lo, v9, v179
	s_wait_alu 0xfffd
	v_add_co_ci_u32_e64 v3, null, v10, v180, vcc_lo
	s_lshl_b64 s[60:61], s[38:39], 4
	s_wait_alu 0xfffe
	v_add_co_u32 v2, vcc_lo, v2, s60
	s_wait_alu 0xfffd
	v_add_co_ci_u32_e64 v3, null, s61, v3, vcc_lo
	s_delay_alu instid0(VALU_DEP_2) | instskip(SKIP_1) | instid1(VALU_DEP_2)
	v_add_co_u32 v2, vcc_lo, 0xfffffdf0, v2
	s_wait_alu 0xfffd
	v_add_co_ci_u32_e64 v3, null, -1, v3, vcc_lo
	s_delay_alu instid0(VALU_DEP_2) | instskip(NEXT) | instid1(VALU_DEP_2)
	v_cndmask_b32_e64 v13, v2, v11, s1
	v_cndmask_b32_e64 v14, v3, v12, s1
	s_xor_b32 exec_lo, exec_lo, s18
	s_cbranch_execnz .LBB190_150
; %bb.58:                               ;   in Loop: Header=BB190_4 Depth=1
	s_or_b32 exec_lo, exec_lo, s18
	s_and_saveexec_b32 s18, s13
	s_wait_alu 0xfffe
	s_xor_b32 s18, exec_lo, s18
	s_cbranch_execnz .LBB190_151
.LBB190_59:                             ;   in Loop: Header=BB190_4 Depth=1
	s_wait_alu 0xfffe
	s_and_not1_saveexec_b32 s18, s18
	s_cbranch_execnz .LBB190_152
.LBB190_60:                             ;   in Loop: Header=BB190_4 Depth=1
	s_wait_alu 0xfffe
	s_or_b32 exec_lo, exec_lo, s18
	s_and_saveexec_b32 s18, s14
	s_wait_alu 0xfffe
	s_xor_b32 s18, exec_lo, s18
	s_cbranch_execnz .LBB190_153
.LBB190_61:                             ;   in Loop: Header=BB190_4 Depth=1
	s_wait_alu 0xfffe
	s_and_not1_saveexec_b32 s18, s18
	s_cbranch_execnz .LBB190_154
.LBB190_62:                             ;   in Loop: Header=BB190_4 Depth=1
	s_wait_alu 0xfffe
	s_or_b32 exec_lo, exec_lo, s18
	s_and_saveexec_b32 s18, s15
	s_wait_alu 0xfffe
	s_xor_b32 s18, exec_lo, s18
	s_cbranch_execnz .LBB190_155
.LBB190_63:                             ;   in Loop: Header=BB190_4 Depth=1
	s_wait_alu 0xfffe
	s_and_not1_saveexec_b32 s18, s18
	s_cbranch_execz .LBB190_65
.LBB190_64:                             ;   in Loop: Header=BB190_4 Depth=1
	v_add_co_u32 v2, vcc_lo, v13, s46
	s_wait_alu 0xfffd
	v_add_co_ci_u32_e64 v3, null, s47, v14, vcc_lo
	flat_load_b128 v[15:18], v[2:3]
	s_wait_loadcnt_dscnt 0x0
	ds_store_2addr_b64 v204, v[15:16], v[17:18] offset1:1
.LBB190_65:                             ;   in Loop: Header=BB190_4 Depth=1
	s_wait_alu 0xfffe
	s_or_b32 exec_lo, exec_lo, s18
	v_add_co_u32 v2, vcc_lo, v13, v239
	s_wait_alu 0xfffd
	v_add_co_ci_u32_e64 v3, null, 0, v14, vcc_lo
	s_lshl_b64 s[60:61], s[48:49], 4
	s_mov_b32 s18, 0
	s_wait_alu 0xfffe
	v_add_co_u32 v2, vcc_lo, v2, s60
	s_wait_alu 0xfffd
	v_add_co_ci_u32_e64 v3, null, s61, v3, vcc_lo
	s_delay_alu instid0(VALU_DEP_2) | instskip(SKIP_1) | instid1(VALU_DEP_2)
	v_add_co_u32 v2, vcc_lo, v2, 16
	s_wait_alu 0xfffd
	v_add_co_ci_u32_e64 v3, null, 0, v3, vcc_lo
	s_delay_alu instid0(VALU_DEP_2) | instskip(NEXT) | instid1(VALU_DEP_2)
	v_cndmask_b32_e64 v2, v2, v11, s1
	v_cndmask_b32_e64 v3, v3, v12, s1
.LBB190_66:                             ;   in Loop: Header=BB190_4 Depth=1
	s_and_b32 vcc_lo, exec_lo, s18
	s_wait_alu 0xfffe
	s_cbranch_vccz .LBB190_68
; %bb.67:                               ;   in Loop: Header=BB190_4 Depth=1
	flat_load_b128 v[13:16], v[11:12]
	v_add_co_u32 v2, vcc_lo, v9, s42
	s_wait_alu 0xfffd
	v_add_co_ci_u32_e64 v3, null, s43, v10, vcc_lo
	v_add_nc_u32_e32 v4, 0x1080, v184
	s_wait_loadcnt_dscnt 0x0
	ds_store_2addr_b64 v184, v[13:14], v[15:16] offset1:1
	flat_load_b128 v[13:16], v[2:3] offset:-512
	v_add_co_u32 v2, vcc_lo, v2, s42
	s_wait_alu 0xfffd
	v_add_co_ci_u32_e64 v3, null, s43, v3, vcc_lo
	s_wait_loadcnt_dscnt 0x0
	ds_store_2addr_b64 v4, v[13:14], v[15:16] offset1:1
	flat_load_b128 v[13:16], v[2:3] offset:-512
	v_add_co_u32 v2, vcc_lo, v2, s42
	v_add_nc_u32_e32 v4, 0x2100, v184
	s_wait_alu 0xfffd
	v_add_co_ci_u32_e64 v3, null, s43, v3, vcc_lo
	s_wait_loadcnt_dscnt 0x0
	ds_store_2addr_b64 v4, v[13:14], v[15:16] offset1:1
	flat_load_b128 v[13:16], v[2:3] offset:-512
	v_dual_mov_b32 v2, v11 :: v_dual_mov_b32 v3, v12
	s_wait_loadcnt_dscnt 0x0
	ds_store_2addr_b64 v204, v[13:14], v[15:16] offset1:1
.LBB190_68:                             ;   in Loop: Header=BB190_4 Depth=1
	s_wait_loadcnt_dscnt 0x0
	s_barrier_signal -1
	s_barrier_wait -1
	global_inv scope:SCOPE_SE
	scratch_load_b32 v4, off, off offset:4  ; 4-byte Folded Reload
	s_wait_loadcnt 0x0
	ds_load_b128 v[9:12], v4
	ds_load_b128 v[13:16], v197
	ds_load_b128 v[17:20], v195 offset:384
	ds_load_b128 v[21:24], v197 offset:384
	;; [unrolled: 1-line block ×6, first 2 shown]
	s_wait_dscnt 0x6
	v_mul_f64_e32 v[43:44], v[11:12], v[15:16]
	v_mul_f64_e32 v[15:16], v[9:10], v[15:16]
	s_wait_dscnt 0x2
	v_mul_f64_e32 v[45:46], v[31:32], v[27:28]
	v_mul_f64_e32 v[27:28], v[29:30], v[27:28]
	s_delay_alu instid0(VALU_DEP_4) | instskip(NEXT) | instid1(VALU_DEP_4)
	v_fma_f64 v[9:10], v[9:10], v[13:14], -v[43:44]
	v_fma_f64 v[11:12], v[11:12], v[13:14], v[15:16]
	s_wait_dscnt 0x0
	v_mul_f64_e32 v[13:14], v[35:36], v[39:40]
	v_mul_f64_e32 v[15:16], v[33:34], v[39:40]
	v_fma_f64 v[29:30], v[29:30], v[25:26], -v[45:46]
	v_fma_f64 v[25:26], v[31:32], v[25:26], v[27:28]
	v_mul_f64_e32 v[27:28], v[19:20], v[23:24]
	v_mul_f64_e32 v[23:24], v[17:18], v[23:24]
	v_add_f64_e32 v[9:10], 0, v[9:10]
	v_add_f64_e32 v[11:12], 0, v[11:12]
	v_fma_f64 v[13:14], v[33:34], v[37:38], -v[13:14]
	v_fma_f64 v[15:16], v[35:36], v[37:38], v[15:16]
	v_fma_f64 v[17:18], v[17:18], v[21:22], -v[27:28]
	v_fma_f64 v[19:20], v[19:20], v[21:22], v[23:24]
	v_add_f64_e32 v[9:10], v[9:10], v[29:30]
	v_add_f64_e32 v[11:12], v[11:12], v[25:26]
	s_delay_alu instid0(VALU_DEP_2) | instskip(NEXT) | instid1(VALU_DEP_2)
	v_add_f64_e32 v[9:10], v[9:10], v[13:14]
	v_add_f64_e32 v[11:12], v[11:12], v[15:16]
	s_delay_alu instid0(VALU_DEP_2) | instskip(NEXT) | instid1(VALU_DEP_2)
	v_add_f64_e32 v[43:44], v[9:10], v[17:18]
	v_add_f64_e32 v[45:46], v[11:12], v[19:20]
	ds_load_b128 v[33:36], v194 offset:512
	ds_load_b128 v[25:28], v194 offset:528
	;; [unrolled: 1-line block ×4, first 2 shown]
	ds_load_b128 v[37:40], v189
	ds_load_b128 v[29:32], v190
	ds_load_b128 v[21:24], v191
	ds_load_b128 v[17:20], v193
	s_wait_dscnt 0x0
	s_barrier_signal -1
	s_barrier_wait -1
	global_inv scope:SCOPE_SE
	ds_store_b128 v195, v[43:46]
	s_wait_loadcnt_dscnt 0x0
	s_barrier_signal -1
	s_barrier_wait -1
	global_inv scope:SCOPE_SE
	s_and_saveexec_b32 s18, s16
	s_cbranch_execz .LBB190_70
; %bb.69:                               ;   in Loop: Header=BB190_4 Depth=1
	ds_load_b128 v[43:46], v192
	ds_load_b128 v[47:50], v192 offset:16
	s_wait_dscnt 0x1
	v_add_f64_e32 v[4:5], v[5:6], v[43:44]
	v_add_f64_e32 v[6:7], v[7:8], v[45:46]
	s_wait_dscnt 0x0
	s_delay_alu instid0(VALU_DEP_2) | instskip(NEXT) | instid1(VALU_DEP_2)
	v_add_f64_e32 v[47:48], v[4:5], v[47:48]
	v_add_f64_e32 v[49:50], v[6:7], v[49:50]
	ds_load_b128 v[4:7], v192 offset:32
	ds_load_b128 v[43:46], v192 offset:48
	s_wait_dscnt 0x1
	v_add_f64_e32 v[4:5], v[47:48], v[4:5]
	v_add_f64_e32 v[6:7], v[49:50], v[6:7]
	s_wait_dscnt 0x0
	s_delay_alu instid0(VALU_DEP_2) | instskip(NEXT) | instid1(VALU_DEP_2)
	v_add_f64_e32 v[47:48], v[4:5], v[43:44]
	v_add_f64_e32 v[49:50], v[6:7], v[45:46]
	ds_load_b128 v[4:7], v192 offset:64
	;; [unrolled: 9-line block ×3, first 2 shown]
	ds_load_b128 v[43:46], v192 offset:112
	s_wait_dscnt 0x1
	v_add_f64_e32 v[4:5], v[47:48], v[4:5]
	v_add_f64_e32 v[7:8], v[49:50], v[6:7]
	s_wait_dscnt 0x0
	s_delay_alu instid0(VALU_DEP_2) | instskip(NEXT) | instid1(VALU_DEP_2)
	v_add_f64_e32 v[5:6], v[4:5], v[43:44]
	v_add_f64_e32 v[7:8], v[7:8], v[45:46]
.LBB190_70:                             ;   in Loop: Header=BB190_4 Depth=1
	s_wait_alu 0xfffe
	s_or_b32 exec_lo, exec_lo, s18
	v_mul_f64_e32 v[43:44], v[35:36], v[39:40]
	v_mul_f64_e32 v[39:40], v[33:34], v[39:40]
	;; [unrolled: 1-line block ×4, first 2 shown]
	s_wait_loadcnt 0x0
	s_barrier_signal -1
	s_barrier_wait -1
	global_inv scope:SCOPE_SE
	v_fma_f64 v[33:34], v[33:34], v[37:38], -v[43:44]
	v_fma_f64 v[35:36], v[35:36], v[37:38], v[39:40]
	v_mul_f64_e32 v[37:38], v[15:16], v[23:24]
	v_mul_f64_e32 v[23:24], v[13:14], v[23:24]
	v_fma_f64 v[25:26], v[25:26], v[29:30], -v[45:46]
	v_fma_f64 v[27:28], v[27:28], v[29:30], v[31:32]
	v_add_f64_e32 v[29:30], 0, v[33:34]
	v_add_f64_e32 v[31:32], 0, v[35:36]
	v_mul_f64_e32 v[33:34], v[11:12], v[19:20]
	v_mul_f64_e32 v[19:20], v[9:10], v[19:20]
	v_fma_f64 v[13:14], v[13:14], v[21:22], -v[37:38]
	v_fma_f64 v[15:16], v[15:16], v[21:22], v[23:24]
	v_add_f64_e32 v[21:22], v[29:30], v[25:26]
	v_add_f64_e32 v[23:24], v[31:32], v[27:28]
	v_fma_f64 v[9:10], v[9:10], v[17:18], -v[33:34]
	v_fma_f64 v[11:12], v[11:12], v[17:18], v[19:20]
	s_delay_alu instid0(VALU_DEP_4) | instskip(NEXT) | instid1(VALU_DEP_4)
	v_add_f64_e32 v[13:14], v[21:22], v[13:14]
	v_add_f64_e32 v[15:16], v[23:24], v[15:16]
	s_delay_alu instid0(VALU_DEP_2) | instskip(NEXT) | instid1(VALU_DEP_2)
	v_add_f64_e32 v[9:10], v[13:14], v[9:10]
	v_add_f64_e32 v[11:12], v[15:16], v[11:12]
	ds_store_b128 v195, v[9:12]
	s_wait_loadcnt_dscnt 0x0
	s_barrier_signal -1
	s_barrier_wait -1
	global_inv scope:SCOPE_SE
	s_and_saveexec_b32 s18, s10
	s_cbranch_execz .LBB190_72
; %bb.71:                               ;   in Loop: Header=BB190_4 Depth=1
	ds_load_b128 v[9:12], v192
	ds_load_b128 v[13:16], v192 offset:16
	s_wait_dscnt 0x1
	v_add_f64_e32 v[4:5], v[5:6], v[9:10]
	v_add_f64_e32 v[6:7], v[7:8], v[11:12]
	s_wait_dscnt 0x0
	s_delay_alu instid0(VALU_DEP_2) | instskip(NEXT) | instid1(VALU_DEP_2)
	v_add_f64_e32 v[12:13], v[4:5], v[13:14]
	v_add_f64_e32 v[14:15], v[6:7], v[15:16]
	ds_load_b128 v[4:7], v192 offset:32
	ds_load_b128 v[8:11], v192 offset:48
	s_wait_dscnt 0x1
	v_add_f64_e32 v[4:5], v[12:13], v[4:5]
	v_add_f64_e32 v[6:7], v[14:15], v[6:7]
	s_wait_dscnt 0x0
	s_delay_alu instid0(VALU_DEP_2) | instskip(NEXT) | instid1(VALU_DEP_2)
	v_add_f64_e32 v[12:13], v[4:5], v[8:9]
	v_add_f64_e32 v[14:15], v[6:7], v[10:11]
	ds_load_b128 v[4:7], v192 offset:64
	;; [unrolled: 9-line block ×3, first 2 shown]
	ds_load_b128 v[8:11], v192 offset:112
	s_wait_dscnt 0x1
	v_add_f64_e32 v[4:5], v[12:13], v[4:5]
	v_add_f64_e32 v[12:13], v[14:15], v[6:7]
	s_wait_dscnt 0x0
	s_delay_alu instid0(VALU_DEP_2) | instskip(NEXT) | instid1(VALU_DEP_2)
	v_add_f64_e32 v[5:6], v[4:5], v[8:9]
	v_add_f64_e32 v[7:8], v[12:13], v[10:11]
.LBB190_72:                             ;   in Loop: Header=BB190_4 Depth=1
	s_wait_alu 0xfffe
	s_or_b32 exec_lo, exec_lo, s18
	s_mul_u64 s[60:61], s[36:37], s[28:29]
	s_and_not1_b32 vcc_lo, exec_lo, s67
	s_wait_alu 0xfffe
	s_lshl_b64 s[60:61], s[60:61], 4
	s_wait_loadcnt 0x0
	s_wait_alu 0xfffe
	s_add_nc_u64 s[60:61], s[40:41], s[60:61]
	s_barrier_signal -1
	s_barrier_wait -1
	global_inv scope:SCOPE_SE
	s_cbranch_vccnz .LBB190_130
; %bb.73:                               ;   in Loop: Header=BB190_4 Depth=1
	scratch_load_b32 v4, off, off offset:12 ; 4-byte Folded Reload
	v_add_co_u32 v240, vcc_lo, v41, s58
	s_wait_alu 0xfffd
	v_add_co_ci_u32_e64 v241, null, s59, v42, vcc_lo
	s_mov_b32 s71, ttmp9
	s_mov_b32 s62, s70
	s_wait_loadcnt 0x0
	v_add_co_u32 v242, vcc_lo, v2, v4
	scratch_load_b32 v4, off, off offset:8  ; 4-byte Folded Reload
	s_wait_loadcnt 0x0
	s_wait_alu 0xfffd
	v_add_co_ci_u32_e64 v243, null, v3, v4, vcc_lo
	scratch_load_b32 v4, off, off offset:20 ; 4-byte Folded Reload
	s_wait_loadcnt 0x0
	v_add_co_u32 v244, vcc_lo, v2, v4
	scratch_load_b32 v4, off, off offset:16 ; 4-byte Folded Reload
	s_wait_loadcnt 0x0
	s_wait_alu 0xfffd
	v_add_co_ci_u32_e64 v245, null, v3, v4, vcc_lo
	scratch_load_b32 v4, off, off offset:24 ; 4-byte Folded Reload
	s_wait_loadcnt 0x0
	v_add_co_u32 v246, vcc_lo, v2, v4
	scratch_load_b32 v4, off, off offset:28 ; 4-byte Folded Reload
	;; [unrolled: 7-line block ×15, first 2 shown]
	s_wait_loadcnt 0x0
	s_wait_alu 0xfffd
	v_add_co_ci_u32_e64 v222, null, v3, v2, vcc_lo
	s_cmp_eq_u32 s68, s71
	s_cselect_b32 s72, s33, 0
	s_and_saveexec_b32 s18, s0
	s_cbranch_execz .LBB190_78
.LBB190_74:                             ;   in Loop: Header=BB190_4 Depth=1
	s_wait_alu 0xfffe
	v_cmp_le_i32_e32 vcc_lo, s72, v181
	s_cmp_lg_u32 s72, 0
	s_cselect_b32 s63, -1, 0
	s_wait_alu 0xfffe
	s_and_b32 s63, s63, vcc_lo
	s_wait_alu 0xfffe
	s_and_saveexec_b32 s73, s63
	s_wait_alu 0xfffe
	s_xor_b32 s63, exec_lo, s73
; %bb.75:                               ;   in Loop: Header=BB190_4 Depth=1
	v_dual_mov_b32 v2, v1 :: v_dual_mov_b32 v3, v1
	v_mov_b32_e32 v4, v1
	ds_store_b128 v0, v[1:4]
; %bb.76:                               ;   in Loop: Header=BB190_4 Depth=1
	s_wait_alu 0xfffe
	s_and_not1_saveexec_b32 s63, s63
	s_cbranch_execz .LBB190_78
; %bb.77:                               ;   in Loop: Header=BB190_4 Depth=1
	s_ashr_i32 s63, s62, 31
	s_wait_alu 0xfffe
	s_mul_u64 s[74:75], s[30:31], s[62:63]
	s_wait_alu 0xfffe
	s_lshl_b64 s[74:75], s[74:75], 4
	s_wait_alu 0xfffe
	v_add_co_u32 v2, vcc_lo, v240, s74
	s_wait_alu 0xfffd
	v_add_co_ci_u32_e64 v3, null, s75, v241, vcc_lo
	flat_load_b128 v[9:12], v[2:3]
	s_wait_loadcnt_dscnt 0x0
	ds_store_2addr_b64 v0, v[9:10], v[11:12] offset1:1
.LBB190_78:                             ;   Parent Loop BB190_4 Depth=1
                                        ; =>  This Inner Loop Header: Depth=2
	s_wait_alu 0xfffe
	s_or_b32 exec_lo, exec_lo, s18
	s_cmp_eq_u32 s72, 0
	v_add_co_u32 v2, vcc_lo, v250, v182
	s_cselect_b32 s63, -1, 0
	s_cmp_lg_u32 s72, 0
	s_wait_alu 0xfffd
	v_add_co_ci_u32_e64 v3, null, 0, v251, vcc_lo
	s_cselect_b32 s18, -1, 0
	s_wait_dscnt 0x0
	s_wait_alu 0xfffe
	s_and_b32 vcc_lo, exec_lo, s18
	s_barrier_signal -1
	s_barrier_wait -1
	global_inv scope:SCOPE_SE
	s_wait_alu 0xfffe
	s_cbranch_vccz .LBB190_86
; %bb.79:                               ;   in Loop: Header=BB190_78 Depth=2
	v_mov_b32_e32 v9, 0
	v_dual_mov_b32 v10, 0 :: v_dual_mov_b32 v13, 0
	v_dual_mov_b32 v15, 0 :: v_dual_mov_b32 v14, 0
	v_mov_b32_e32 v16, 0
	s_mov_b32 s73, exec_lo
	v_cmpx_gt_i32_e64 s72, v198
	s_cbranch_execz .LBB190_81
; %bb.80:                               ;   in Loop: Header=BB190_78 Depth=2
	flat_load_b128 v[13:16], v[2:3]
.LBB190_81:                             ;   in Loop: Header=BB190_78 Depth=2
	s_wait_alu 0xfffe
	s_or_b32 exec_lo, exec_lo, s73
	v_mov_b32_e32 v11, 0
	v_or_b32_e32 v4, 1, v198
	v_mov_b32_e32 v12, 0
	s_mov_b32 s73, exec_lo
	s_delay_alu instid0(VALU_DEP_2)
	v_cmpx_gt_i32_e64 s72, v4
	s_cbranch_execz .LBB190_83
; %bb.82:                               ;   in Loop: Header=BB190_78 Depth=2
	v_add_co_u32 v9, vcc_lo, v246, v182
	s_wait_alu 0xfffd
	v_add_co_ci_u32_e64 v10, null, 0, v247, vcc_lo
	flat_load_b128 v[9:12], v[9:10]
.LBB190_83:                             ;   in Loop: Header=BB190_78 Depth=2
	s_wait_alu 0xfffe
	s_or_b32 exec_lo, exec_lo, s73
	v_mov_b32_e32 v17, 0
	v_dual_mov_b32 v18, 0 :: v_dual_mov_b32 v19, 0
	v_or_b32_e32 v4, 2, v198
	v_mov_b32_e32 v20, 0
	s_mov_b32 s73, exec_lo
	s_delay_alu instid0(VALU_DEP_2)
	v_cmpx_gt_i32_e64 s72, v4
	s_cbranch_execz .LBB190_85
; %bb.84:                               ;   in Loop: Header=BB190_78 Depth=2
	v_add_co_u32 v17, vcc_lo, v242, v182
	s_wait_alu 0xfffd
	v_add_co_ci_u32_e64 v18, null, 0, v243, vcc_lo
	flat_load_b128 v[17:20], v[17:18] offset:-8
.LBB190_85:                             ;   in Loop: Header=BB190_78 Depth=2
	s_wait_alu 0xfffe
	s_or_b32 exec_lo, exec_lo, s73
	v_or_b32_e32 v4, 3, v198
	s_delay_alu instid0(VALU_DEP_1)
	v_cmp_gt_i32_e64 s73, s72, v4
	s_branch .LBB190_88
.LBB190_86:                             ;   in Loop: Header=BB190_78 Depth=2
	s_mov_b32 s73, 0
                                        ; implicit-def: $vgpr19_vgpr20
                                        ; implicit-def: $vgpr11_vgpr12
                                        ; implicit-def: $vgpr15_vgpr16
	s_cbranch_execz .LBB190_88
; %bb.87:                               ;   in Loop: Header=BB190_78 Depth=2
	s_wait_loadcnt_dscnt 0x0
	v_add_co_u32 v9, vcc_lo, v246, v182
	s_wait_alu 0xfffd
	v_add_co_ci_u32_e64 v10, null, 0, v247, vcc_lo
	v_add_co_u32 v17, vcc_lo, v242, v182
	s_wait_alu 0xfffd
	v_add_co_ci_u32_e64 v18, null, 0, v243, vcc_lo
	flat_load_b128 v[13:16], v[2:3]
	flat_load_b128 v[9:12], v[9:10]
	flat_load_b128 v[17:20], v[17:18] offset:-8
	s_wait_alu 0xfffe
	s_or_b32 s73, s73, exec_lo
.LBB190_88:                             ;   in Loop: Header=BB190_78 Depth=2
	v_mov_b32_e32 v21, 0
	v_dual_mov_b32 v22, 0 :: v_dual_mov_b32 v23, 0
	v_mov_b32_e32 v24, 0
	s_wait_alu 0xfffe
	s_and_saveexec_b32 s74, s73
	s_cbranch_execz .LBB190_90
; %bb.89:                               ;   in Loop: Header=BB190_78 Depth=2
	v_add_co_u32 v2, vcc_lo, v254, v182
	s_wait_alu 0xfffd
	v_add_co_ci_u32_e64 v3, null, 0, v255, vcc_lo
	flat_load_b128 v[21:24], v[2:3]
.LBB190_90:                             ;   in Loop: Header=BB190_78 Depth=2
	s_wait_alu 0xfffe
	s_or_b32 exec_lo, exec_lo, s74
	ds_load_b128 v[29:32], v183
	ds_load_b128 v[25:28], v199
	v_cndmask_b32_e64 v4, 0, 1, s18
	s_wait_loadcnt_dscnt 0x1
	v_mul_f64_e32 v[2:3], v[15:16], v[31:32]
	v_mul_f64_e32 v[33:34], v[13:14], v[31:32]
	;; [unrolled: 1-line block ×8, first 2 shown]
	v_fma_f64 v[41:42], v[13:14], v[29:30], -v[2:3]
	v_fma_f64 v[43:44], v[15:16], v[29:30], v[33:34]
	v_fma_f64 v[45:46], v[9:10], v[29:30], -v[35:36]
	v_fma_f64 v[47:48], v[11:12], v[29:30], v[37:38]
	;; [unrolled: 2-line block ×4, first 2 shown]
	ds_load_b128 v[37:40], v199 offset:16
	ds_load_b128 v[33:36], v199 offset:32
	;; [unrolled: 1-line block ×3, first 2 shown]
	v_add_co_u32 v2, vcc_lo, v215, v182
	s_wait_alu 0xfffd
	v_add_co_ci_u32_e64 v3, null, 0, v216, vcc_lo
	s_and_not1_b32 vcc_lo, exec_lo, s18
	ds_store_b128 v200, v[41:44]
	ds_store_b128 v200, v[45:48] offset:1072
	ds_store_b128 v200, v[49:52] offset:2144
	;; [unrolled: 1-line block ×3, first 2 shown]
	s_wait_dscnt 0x0
	s_barrier_signal -1
	s_barrier_wait -1
	global_inv scope:SCOPE_SE
	ds_load_b128 v[97:100], v201
	ds_load_b128 v[93:96], v201 offset:16
	ds_load_b128 v[89:92], v201 offset:32
	;; [unrolled: 1-line block ×3, first 2 shown]
	s_wait_loadcnt_dscnt 0x0
	s_barrier_signal -1
	s_barrier_wait -1
	global_inv scope:SCOPE_SE
	s_wait_alu 0xfffe
	s_cbranch_vccnz .LBB190_98
; %bb.91:                               ;   in Loop: Header=BB190_78 Depth=2
	v_mov_b32_e32 v41, 0
	v_mov_b32_e32 v45, 0
	;; [unrolled: 1-line block ×3, first 2 shown]
	v_dual_mov_b32 v42, 0 :: v_dual_add_nc_u32 v43, 16, v198
	v_mov_b32_e32 v46, 0
	v_mov_b32_e32 v48, 0
	s_mov_b32 s18, exec_lo
	s_delay_alu instid0(VALU_DEP_3)
	v_cmpx_gt_i32_e64 s72, v43
	s_cbranch_execz .LBB190_93
; %bb.92:                               ;   in Loop: Header=BB190_78 Depth=2
	flat_load_b128 v[45:48], v[2:3]
.LBB190_93:                             ;   in Loop: Header=BB190_78 Depth=2
	s_wait_alu 0xfffe
	s_or_b32 exec_lo, exec_lo, s18
	v_mov_b32_e32 v43, 0
	v_dual_mov_b32 v44, 0 :: v_dual_add_nc_u32 v49, 17, v198
	s_mov_b32 s18, exec_lo
	s_delay_alu instid0(VALU_DEP_1)
	v_cmpx_gt_i32_e64 s72, v49
	s_cbranch_execz .LBB190_95
; %bb.94:                               ;   in Loop: Header=BB190_78 Depth=2
	v_add_co_u32 v41, vcc_lo, v211, v182
	s_wait_alu 0xfffd
	v_add_co_ci_u32_e64 v42, null, 0, v212, vcc_lo
	flat_load_b128 v[41:44], v[41:42]
.LBB190_95:                             ;   in Loop: Header=BB190_78 Depth=2
	s_wait_alu 0xfffe
	s_or_b32 exec_lo, exec_lo, s18
	v_mov_b32_e32 v49, 0
	v_mov_b32_e32 v51, 0
	v_dual_mov_b32 v50, 0 :: v_dual_add_nc_u32 v53, 18, v198
	v_mov_b32_e32 v52, 0
	s_mov_b32 s18, exec_lo
	s_delay_alu instid0(VALU_DEP_2)
	v_cmpx_gt_i32_e64 s72, v53
	s_cbranch_execz .LBB190_97
; %bb.96:                               ;   in Loop: Header=BB190_78 Depth=2
	v_add_co_u32 v49, vcc_lo, v207, v182
	s_wait_alu 0xfffd
	v_add_co_ci_u32_e64 v50, null, 0, v208, vcc_lo
	flat_load_b128 v[49:52], v[49:50] offset:-8
.LBB190_97:                             ;   in Loop: Header=BB190_78 Depth=2
	s_wait_alu 0xfffe
	s_or_b32 exec_lo, exec_lo, s18
	v_add_nc_u32_e32 v53, 19, v198
	s_delay_alu instid0(VALU_DEP_1)
	v_cmp_gt_i32_e64 s18, s72, v53
	s_branch .LBB190_100
.LBB190_98:                             ;   in Loop: Header=BB190_78 Depth=2
	s_mov_b32 s18, 0
                                        ; implicit-def: $vgpr51_vgpr52
                                        ; implicit-def: $vgpr43_vgpr44
                                        ; implicit-def: $vgpr47_vgpr48
	s_cbranch_execz .LBB190_100
; %bb.99:                               ;   in Loop: Header=BB190_78 Depth=2
	s_wait_loadcnt_dscnt 0x0
	v_add_co_u32 v41, vcc_lo, v211, v182
	s_wait_alu 0xfffd
	v_add_co_ci_u32_e64 v42, null, 0, v212, vcc_lo
	v_add_co_u32 v49, vcc_lo, v207, v182
	s_wait_alu 0xfffd
	v_add_co_ci_u32_e64 v50, null, 0, v208, vcc_lo
	flat_load_b128 v[45:48], v[2:3]
	flat_load_b128 v[41:44], v[41:42]
	flat_load_b128 v[49:52], v[49:50] offset:-8
	s_wait_alu 0xfffe
	s_or_b32 s18, s18, exec_lo
.LBB190_100:                            ;   in Loop: Header=BB190_78 Depth=2
	v_mov_b32_e32 v53, 0
	v_dual_mov_b32 v54, 0 :: v_dual_mov_b32 v55, 0
	v_mov_b32_e32 v56, 0
	s_wait_alu 0xfffe
	s_and_saveexec_b32 s73, s18
	s_cbranch_execz .LBB190_102
; %bb.101:                              ;   in Loop: Header=BB190_78 Depth=2
	v_add_co_u32 v2, vcc_lo, v219, v182
	s_wait_alu 0xfffd
	v_add_co_ci_u32_e64 v3, null, 0, v220, vcc_lo
	flat_load_b128 v[53:56], v[2:3]
.LBB190_102:                            ;   in Loop: Header=BB190_78 Depth=2
	s_wait_alu 0xfffe
	s_or_b32 exec_lo, exec_lo, s73
	ds_load_b128 v[61:64], v183
	ds_load_b128 v[57:60], v199 offset:256
	v_cmp_ne_u32_e32 vcc_lo, 1, v4
	s_and_b32 vcc_lo, exec_lo, vcc_lo
	s_wait_loadcnt_dscnt 0x1
	v_mul_f64_e32 v[2:3], v[47:48], v[63:64]
	v_mul_f64_e32 v[65:66], v[45:46], v[63:64]
	;; [unrolled: 1-line block ×8, first 2 shown]
	v_fma_f64 v[73:74], v[45:46], v[61:62], -v[2:3]
	v_fma_f64 v[75:76], v[47:48], v[61:62], v[65:66]
	v_fma_f64 v[77:78], v[41:42], v[61:62], -v[67:68]
	v_fma_f64 v[79:80], v[43:44], v[61:62], v[69:70]
	;; [unrolled: 2-line block ×4, first 2 shown]
	ds_load_b128 v[69:72], v199 offset:272
	ds_load_b128 v[65:68], v199 offset:288
	;; [unrolled: 1-line block ×3, first 2 shown]
	v_add_co_u32 v2, s18, v213, v182
	s_wait_alu 0xf1ff
	v_add_co_ci_u32_e64 v3, null, 0, v214, s18
	ds_store_b128 v200, v[73:76]
	ds_store_b128 v200, v[77:80] offset:1072
	ds_store_b128 v200, v[81:84] offset:2144
	;; [unrolled: 1-line block ×3, first 2 shown]
	s_wait_dscnt 0x0
	s_barrier_signal -1
	s_barrier_wait -1
	global_inv scope:SCOPE_SE
	ds_load_b128 v[145:148], v201
	ds_load_b128 v[141:144], v201 offset:16
	ds_load_b128 v[137:140], v201 offset:32
	;; [unrolled: 1-line block ×3, first 2 shown]
	s_wait_loadcnt_dscnt 0x0
	s_barrier_signal -1
	s_barrier_wait -1
	global_inv scope:SCOPE_SE
	s_wait_alu 0xfffe
	s_cbranch_vccnz .LBB190_110
; %bb.103:                              ;   in Loop: Header=BB190_78 Depth=2
	v_mov_b32_e32 v73, 0
	v_mov_b32_e32 v77, 0
	;; [unrolled: 1-line block ×3, first 2 shown]
	v_dual_mov_b32 v74, 0 :: v_dual_add_nc_u32 v75, 32, v198
	v_mov_b32_e32 v78, 0
	v_mov_b32_e32 v80, 0
	s_mov_b32 s18, exec_lo
	s_delay_alu instid0(VALU_DEP_3)
	v_cmpx_gt_i32_e64 s72, v75
	s_cbranch_execz .LBB190_105
; %bb.104:                              ;   in Loop: Header=BB190_78 Depth=2
	flat_load_b128 v[77:80], v[2:3] offset:-8
.LBB190_105:                            ;   in Loop: Header=BB190_78 Depth=2
	s_wait_alu 0xfffe
	s_or_b32 exec_lo, exec_lo, s18
	v_mov_b32_e32 v75, 0
	v_dual_mov_b32 v76, 0 :: v_dual_add_nc_u32 v81, 33, v198
	s_mov_b32 s18, exec_lo
	s_delay_alu instid0(VALU_DEP_1)
	v_cmpx_gt_i32_e64 s72, v81
	s_cbranch_execz .LBB190_107
; %bb.106:                              ;   in Loop: Header=BB190_78 Depth=2
	v_add_co_u32 v73, vcc_lo, v217, v182
	s_wait_alu 0xfffd
	v_add_co_ci_u32_e64 v74, null, 0, v218, vcc_lo
	flat_load_b128 v[73:76], v[73:74] offset:-8
.LBB190_107:                            ;   in Loop: Header=BB190_78 Depth=2
	s_wait_alu 0xfffe
	s_or_b32 exec_lo, exec_lo, s18
	v_mov_b32_e32 v81, 0
	v_mov_b32_e32 v83, 0
	v_dual_mov_b32 v82, 0 :: v_dual_add_nc_u32 v101, 34, v198
	v_mov_b32_e32 v84, 0
	s_mov_b32 s18, exec_lo
	s_delay_alu instid0(VALU_DEP_2)
	v_cmpx_gt_i32_e64 s72, v101
	s_cbranch_execz .LBB190_109
; %bb.108:                              ;   in Loop: Header=BB190_78 Depth=2
	v_add_co_u32 v81, vcc_lo, v221, v182
	s_wait_alu 0xfffd
	v_add_co_ci_u32_e64 v82, null, 0, v222, vcc_lo
	flat_load_b128 v[81:84], v[81:82] offset:-8
.LBB190_109:                            ;   in Loop: Header=BB190_78 Depth=2
	s_wait_alu 0xfffe
	s_or_b32 exec_lo, exec_lo, s18
	v_add_nc_u32_e32 v101, 35, v198
	s_delay_alu instid0(VALU_DEP_1)
	v_cmp_gt_i32_e64 s18, s72, v101
	s_branch .LBB190_112
.LBB190_110:                            ;   in Loop: Header=BB190_78 Depth=2
	s_mov_b32 s18, 0
                                        ; implicit-def: $vgpr83_vgpr84
                                        ; implicit-def: $vgpr75_vgpr76
                                        ; implicit-def: $vgpr79_vgpr80
	s_cbranch_execz .LBB190_112
; %bb.111:                              ;   in Loop: Header=BB190_78 Depth=2
	s_wait_loadcnt_dscnt 0x0
	v_add_co_u32 v73, vcc_lo, v217, v182
	s_wait_alu 0xfffd
	v_add_co_ci_u32_e64 v74, null, 0, v218, vcc_lo
	v_add_co_u32 v81, vcc_lo, v221, v182
	s_wait_alu 0xfffd
	v_add_co_ci_u32_e64 v82, null, 0, v222, vcc_lo
	flat_load_b128 v[77:80], v[2:3] offset:-8
	flat_load_b128 v[73:76], v[73:74] offset:-8
	flat_load_b128 v[81:84], v[81:82] offset:-8
	s_wait_alu 0xfffe
	s_or_b32 s18, s18, exec_lo
.LBB190_112:                            ;   in Loop: Header=BB190_78 Depth=2
	v_mov_b32_e32 v101, 0
	v_dual_mov_b32 v102, 0 :: v_dual_mov_b32 v103, 0
	v_mov_b32_e32 v104, 0
	s_wait_alu 0xfffe
	s_and_saveexec_b32 s73, s18
	s_cbranch_execz .LBB190_114
; %bb.113:                              ;   in Loop: Header=BB190_78 Depth=2
	v_add_co_u32 v2, vcc_lo, v209, v182
	s_wait_alu 0xfffd
	v_add_co_ci_u32_e64 v3, null, 0, v210, vcc_lo
	flat_load_b128 v[101:104], v[2:3] offset:-8
.LBB190_114:                            ;   in Loop: Header=BB190_78 Depth=2
	s_wait_alu 0xfffe
	s_or_b32 exec_lo, exec_lo, s73
	ds_load_b128 v[109:112], v183
	ds_load_b128 v[105:108], v199 offset:512
	v_cmp_ne_u32_e32 vcc_lo, 1, v4
	s_and_b32 vcc_lo, exec_lo, vcc_lo
	s_wait_loadcnt_dscnt 0x1
	v_mul_f64_e32 v[2:3], v[79:80], v[111:112]
	v_mul_f64_e32 v[115:116], v[77:78], v[111:112]
	;; [unrolled: 1-line block ×5, first 2 shown]
	v_fma_f64 v[113:114], v[77:78], v[109:110], -v[2:3]
	v_mul_f64_e32 v[2:3], v[81:82], v[111:112]
	v_fma_f64 v[115:116], v[79:80], v[109:110], v[115:116]
	v_fma_f64 v[117:118], v[73:74], v[109:110], -v[117:118]
	v_fma_f64 v[119:120], v[75:76], v[109:110], v[119:120]
	v_fma_f64 v[121:122], v[81:82], v[109:110], -v[121:122]
	ds_store_b128 v200, v[113:116]
	ds_store_b128 v200, v[117:120] offset:1072
	v_fma_f64 v[123:124], v[83:84], v[109:110], v[2:3]
	v_mul_f64_e32 v[2:3], v[103:104], v[111:112]
	v_mul_f64_e32 v[111:112], v[101:102], v[111:112]
	s_delay_alu instid0(VALU_DEP_2) | instskip(NEXT) | instid1(VALU_DEP_2)
	v_fma_f64 v[125:126], v[101:102], v[109:110], -v[2:3]
	v_fma_f64 v[127:128], v[103:104], v[109:110], v[111:112]
	ds_load_b128 v[113:116], v199 offset:528
	ds_load_b128 v[109:112], v199 offset:544
	ds_store_b128 v200, v[121:124] offset:2144
	ds_load_b128 v[117:120], v199 offset:560
	v_add_co_u32 v2, s18, v248, v182
	s_wait_alu 0xf1ff
	v_add_co_ci_u32_e64 v3, null, 0, v249, s18
	ds_store_b128 v200, v[125:128] offset:3216
	s_wait_dscnt 0x0
	s_barrier_signal -1
	s_barrier_wait -1
	global_inv scope:SCOPE_SE
	ds_load_b128 v[169:172], v201
	ds_load_b128 v[165:168], v201 offset:16
	ds_load_b128 v[161:164], v201 offset:32
	;; [unrolled: 1-line block ×3, first 2 shown]
	s_wait_loadcnt_dscnt 0x0
	s_barrier_signal -1
	s_barrier_wait -1
	global_inv scope:SCOPE_SE
	s_wait_alu 0xfffe
	s_cbranch_vccnz .LBB190_122
; %bb.115:                              ;   in Loop: Header=BB190_78 Depth=2
	v_dual_mov_b32 v121, 0 :: v_dual_add_nc_u32 v4, 48, v198
	v_dual_mov_b32 v122, 0 :: v_dual_mov_b32 v125, 0
	v_dual_mov_b32 v126, 0 :: v_dual_mov_b32 v127, 0
	v_mov_b32_e32 v128, 0
	s_mov_b32 s18, exec_lo
	v_cmpx_gt_i32_e64 s72, v4
	s_cbranch_execz .LBB190_117
; %bb.116:                              ;   in Loop: Header=BB190_78 Depth=2
	flat_load_b128 v[125:128], v[2:3] offset:-8
.LBB190_117:                            ;   in Loop: Header=BB190_78 Depth=2
	s_wait_alu 0xfffe
	s_or_b32 exec_lo, exec_lo, s18
	v_dual_mov_b32 v123, 0 :: v_dual_add_nc_u32 v4, 49, v198
	v_mov_b32_e32 v124, 0
	s_mov_b32 s18, exec_lo
	s_delay_alu instid0(VALU_DEP_2)
	v_cmpx_gt_i32_e64 s72, v4
	s_cbranch_execz .LBB190_119
; %bb.118:                              ;   in Loop: Header=BB190_78 Depth=2
	v_add_co_u32 v121, vcc_lo, v252, v182
	s_wait_alu 0xfffd
	v_add_co_ci_u32_e64 v122, null, 0, v253, vcc_lo
	flat_load_b128 v[121:124], v[121:122] offset:-8
.LBB190_119:                            ;   in Loop: Header=BB190_78 Depth=2
	s_wait_alu 0xfffe
	s_or_b32 exec_lo, exec_lo, s18
	v_dual_mov_b32 v129, 0 :: v_dual_add_nc_u32 v4, 50, v198
	v_dual_mov_b32 v130, 0 :: v_dual_mov_b32 v131, 0
	v_mov_b32_e32 v132, 0
	s_mov_b32 s18, exec_lo
	s_delay_alu instid0(VALU_DEP_3)
	v_cmpx_gt_i32_e64 s72, v4
	s_cbranch_execz .LBB190_121
; %bb.120:                              ;   in Loop: Header=BB190_78 Depth=2
	v_add_co_u32 v129, vcc_lo, v205, v182
	s_wait_alu 0xfffd
	v_add_co_ci_u32_e64 v130, null, 0, v206, vcc_lo
	flat_load_b128 v[129:132], v[129:130]
.LBB190_121:                            ;   in Loop: Header=BB190_78 Depth=2
	s_wait_alu 0xfffe
	s_or_b32 exec_lo, exec_lo, s18
	v_add_nc_u32_e32 v4, 51, v198
	s_delay_alu instid0(VALU_DEP_1)
	v_cmp_gt_i32_e64 s18, s72, v4
	s_branch .LBB190_124
.LBB190_122:                            ;   in Loop: Header=BB190_78 Depth=2
	s_mov_b32 s18, 0
                                        ; implicit-def: $vgpr131_vgpr132
                                        ; implicit-def: $vgpr123_vgpr124
                                        ; implicit-def: $vgpr127_vgpr128
	s_cbranch_execz .LBB190_124
; %bb.123:                              ;   in Loop: Header=BB190_78 Depth=2
	s_wait_loadcnt_dscnt 0x0
	v_add_co_u32 v121, vcc_lo, v252, v182
	s_wait_alu 0xfffd
	v_add_co_ci_u32_e64 v122, null, 0, v253, vcc_lo
	v_add_co_u32 v129, vcc_lo, v205, v182
	s_wait_alu 0xfffd
	v_add_co_ci_u32_e64 v130, null, 0, v206, vcc_lo
	flat_load_b128 v[125:128], v[2:3] offset:-8
	flat_load_b128 v[121:124], v[121:122] offset:-8
	flat_load_b128 v[129:132], v[129:130]
	s_wait_alu 0xfffe
	s_or_b32 s18, s18, exec_lo
.LBB190_124:                            ;   in Loop: Header=BB190_78 Depth=2
	v_mov_b32_e32 v149, 0
	v_dual_mov_b32 v150, 0 :: v_dual_mov_b32 v151, 0
	v_mov_b32_e32 v152, 0
	s_wait_alu 0xfffe
	s_and_saveexec_b32 s73, s18
	s_cbranch_execz .LBB190_126
; %bb.125:                              ;   in Loop: Header=BB190_78 Depth=2
	v_add_co_u32 v2, vcc_lo, v244, v182
	s_wait_alu 0xfffd
	v_add_co_ci_u32_e64 v3, null, 0, v245, vcc_lo
	flat_load_b128 v[149:152], v[2:3] offset:-8
.LBB190_126:                            ;   in Loop: Header=BB190_78 Depth=2
	s_wait_alu 0xfffe
	s_or_b32 exec_lo, exec_lo, s73
	ds_load_b128 v[223:226], v183
	ds_load_b128 v[153:156], v199 offset:768
	v_cmp_gt_i32_e32 vcc_lo, s72, v181
	s_or_b32 s18, s63, vcc_lo
	s_wait_alu 0xfffe
	s_and_b32 s63, s17, s18
	s_wait_loadcnt_dscnt 0x1
	v_mul_f64_e32 v[2:3], v[127:128], v[225:226]
	v_mul_f64_e32 v[175:176], v[125:126], v[225:226]
	;; [unrolled: 1-line block ×3, first 2 shown]
	s_delay_alu instid0(VALU_DEP_3) | instskip(SKIP_1) | instid1(VALU_DEP_4)
	v_fma_f64 v[227:228], v[125:126], v[223:224], -v[2:3]
	v_mul_f64_e32 v[2:3], v[123:124], v[225:226]
	v_fma_f64 v[229:230], v[127:128], v[223:224], v[175:176]
	v_mul_f64_e32 v[175:176], v[121:122], v[225:226]
	v_fma_f64 v[177:178], v[151:152], v[223:224], v[177:178]
	s_delay_alu instid0(VALU_DEP_4) | instskip(SKIP_1) | instid1(VALU_DEP_4)
	v_fma_f64 v[231:232], v[121:122], v[223:224], -v[2:3]
	v_mul_f64_e32 v[2:3], v[131:132], v[225:226]
	v_fma_f64 v[233:234], v[123:124], v[223:224], v[175:176]
	v_mul_f64_e32 v[175:176], v[129:130], v[225:226]
	s_delay_alu instid0(VALU_DEP_3) | instskip(SKIP_1) | instid1(VALU_DEP_3)
	v_fma_f64 v[185:186], v[129:130], v[223:224], -v[2:3]
	v_mul_f64_e32 v[2:3], v[151:152], v[225:226]
	v_fma_f64 v[187:188], v[131:132], v[223:224], v[175:176]
	s_delay_alu instid0(VALU_DEP_2)
	v_fma_f64 v[175:176], v[149:150], v[223:224], -v[2:3]
	v_add_f64_e32 v[2:3], 0, v[169:170]
	v_add_f64_e32 v[169:170], 0, v[171:172]
	ds_store_b128 v200, v[227:230]
	ds_store_b128 v200, v[231:234] offset:1072
	ds_store_b128 v200, v[185:188] offset:2144
	;; [unrolled: 1-line block ×3, first 2 shown]
	v_add_f64_e32 v[2:3], v[2:3], v[165:166]
	v_add_f64_e32 v[165:166], v[169:170], v[167:168]
	s_delay_alu instid0(VALU_DEP_2) | instskip(NEXT) | instid1(VALU_DEP_2)
	v_add_f64_e32 v[2:3], v[2:3], v[161:162]
	v_add_f64_e32 v[161:162], v[165:166], v[163:164]
	s_delay_alu instid0(VALU_DEP_2) | instskip(SKIP_2) | instid1(VALU_DEP_4)
	v_add_f64_e32 v[157:158], v[2:3], v[157:158]
	v_add_f64_e32 v[2:3], 0, v[97:98]
	;; [unrolled: 1-line block ×4, first 2 shown]
	s_delay_alu instid0(VALU_DEP_3) | instskip(NEXT) | instid1(VALU_DEP_3)
	v_add_f64_e32 v[2:3], v[2:3], v[93:94]
	v_add_f64_e32 v[93:94], v[97:98], v[95:96]
	s_delay_alu instid0(VALU_DEP_2) | instskip(NEXT) | instid1(VALU_DEP_2)
	v_add_f64_e32 v[2:3], v[2:3], v[89:90]
	v_add_f64_e32 v[89:90], v[93:94], v[91:92]
	s_delay_alu instid0(VALU_DEP_2) | instskip(SKIP_2) | instid1(VALU_DEP_4)
	v_add_f64_e32 v[97:98], v[2:3], v[85:86]
	v_add_f64_e32 v[85:86], 0, v[147:148]
	;; [unrolled: 1-line block ×4, first 2 shown]
	s_delay_alu instid0(VALU_DEP_3) | instskip(NEXT) | instid1(VALU_DEP_3)
	v_add_f64_e32 v[85:86], v[85:86], v[143:144]
	v_add_f64_e32 v[2:3], v[2:3], v[141:142]
	s_delay_alu instid0(VALU_DEP_2) | instskip(NEXT) | instid1(VALU_DEP_2)
	v_add_f64_e32 v[85:86], v[85:86], v[139:140]
	v_add_f64_e32 v[2:3], v[2:3], v[137:138]
	s_delay_alu instid0(VALU_DEP_2)
	v_add_f64_e32 v[135:136], v[85:86], v[135:136]
	ds_load_b128 v[93:96], v199 offset:784
	ds_load_b128 v[89:92], v199 offset:800
	;; [unrolled: 1-line block ×3, first 2 shown]
	s_wait_dscnt 0x0
	s_barrier_signal -1
	s_barrier_wait -1
	global_inv scope:SCOPE_SE
	ds_load_b128 v[137:140], v201
	ds_load_b128 v[141:144], v201 offset:16
	v_add_f64_e32 v[133:134], v[2:3], v[133:134]
	s_wait_dscnt 0x1
	v_add_f64_e32 v[2:3], 0, v[137:138]
	v_add_f64_e32 v[137:138], 0, v[139:140]
	s_wait_dscnt 0x0
	s_delay_alu instid0(VALU_DEP_2) | instskip(NEXT) | instid1(VALU_DEP_2)
	v_add_f64_e32 v[2:3], v[2:3], v[141:142]
	v_add_f64_e32 v[145:146], v[137:138], v[143:144]
	ds_load_b128 v[137:140], v201 offset:32
	ds_load_b128 v[141:144], v201 offset:48
	s_wait_loadcnt_dscnt 0x0
	s_barrier_signal -1
	s_barrier_wait -1
	global_inv scope:SCOPE_SE
	ds_store_b128 v238, v[97:100]
	ds_store_b128 v238, v[133:136] offset:256
	ds_store_b128 v238, v[157:160] offset:512
	v_add_f64_e32 v[2:3], v[2:3], v[137:138]
	v_add_f64_e32 v[139:140], v[145:146], v[139:140]
	s_delay_alu instid0(VALU_DEP_2) | instskip(NEXT) | instid1(VALU_DEP_2)
	v_add_f64_e32 v[137:138], v[2:3], v[141:142]
	v_add_f64_e32 v[139:140], v[139:140], v[143:144]
	ds_store_b128 v238, v[137:140] offset:768
	s_wait_loadcnt_dscnt 0x0
	s_barrier_signal -1
	s_barrier_wait -1
	global_inv scope:SCOPE_SE
	s_wait_alu 0xfffe
	s_and_saveexec_b32 s18, s63
	s_cbranch_execz .LBB190_128
; %bb.127:                              ;   in Loop: Header=BB190_78 Depth=2
	ds_load_b128 v[97:100], v202
	ds_load_b128 v[133:136], v202 offset:16
	s_wait_dscnt 0x0
	v_add_f64_e32 v[2:3], v[133:134], v[97:98]
	v_add_f64_e32 v[137:138], v[135:136], v[99:100]
	ds_load_b128 v[97:100], v202 offset:32
	ds_load_b128 v[133:136], v202 offset:48
	s_wait_dscnt 0x1
	v_add_f64_e32 v[2:3], v[2:3], v[97:98]
	v_add_f64_e32 v[97:98], v[137:138], v[99:100]
	s_wait_dscnt 0x0
	s_delay_alu instid0(VALU_DEP_2) | instskip(NEXT) | instid1(VALU_DEP_2)
	v_add_f64_e32 v[2:3], v[2:3], v[133:134]
	v_add_f64_e32 v[137:138], v[97:98], v[135:136]
	ds_load_b128 v[97:100], v202 offset:64
	ds_load_b128 v[133:136], v202 offset:80
	s_wait_dscnt 0x1
	v_add_f64_e32 v[2:3], v[2:3], v[97:98]
	v_add_f64_e32 v[97:98], v[137:138], v[99:100]
	s_wait_dscnt 0x0
	s_delay_alu instid0(VALU_DEP_2) | instskip(NEXT) | instid1(VALU_DEP_2)
	;; [unrolled: 9-line block ×6, first 2 shown]
	v_add_f64_e32 v[2:3], v[2:3], v[133:134]
	v_add_f64_e32 v[137:138], v[97:98], v[135:136]
	ds_load_b128 v[97:100], v202 offset:224
	ds_load_b128 v[133:136], v203
	s_wait_dscnt 0x1
	v_add_f64_e32 v[2:3], v[2:3], v[97:98]
	v_add_f64_e32 v[99:100], v[137:138], v[99:100]
	s_wait_dscnt 0x0
	s_delay_alu instid0(VALU_DEP_2) | instskip(NEXT) | instid1(VALU_DEP_2)
	v_add_f64_e32 v[97:98], v[2:3], v[133:134]
	v_add_f64_e32 v[99:100], v[99:100], v[135:136]
	v_add_nc_u32_e32 v2, s62, v181
	s_delay_alu instid0(VALU_DEP_1) | instskip(NEXT) | instid1(VALU_DEP_1)
	v_ashrrev_i32_e32 v3, 31, v2
	v_lshlrev_b64_e32 v[2:3], 4, v[2:3]
	s_delay_alu instid0(VALU_DEP_1) | instskip(SKIP_1) | instid1(VALU_DEP_2)
	v_add_co_u32 v2, vcc_lo, s60, v2
	s_wait_alu 0xfffd
	v_add_co_ci_u32_e64 v3, null, s61, v3, vcc_lo
	global_store_b128 v[2:3], v[97:100], off
.LBB190_128:                            ;   in Loop: Header=BB190_78 Depth=2
	s_wait_alu 0xfffe
	s_or_b32 exec_lo, exec_lo, s18
	v_mul_f64_e32 v[2:3], v[15:16], v[27:28]
	v_add_co_u32 v242, vcc_lo, v242, s50
	s_wait_alu 0xfffd
	v_add_co_ci_u32_e64 v243, null, s51, v243, vcc_lo
	v_add_co_u32 v244, vcc_lo, v244, s50
	s_wait_alu 0xfffd
	v_add_co_ci_u32_e64 v245, null, s51, v245, vcc_lo
	;; [unrolled: 3-line block ×9, first 2 shown]
	v_add_co_u32 v209, vcc_lo, v209, s50
	v_fma_f64 v[2:3], v[13:14], v[25:26], -v[2:3]
	v_mul_f64_e32 v[13:14], v[13:14], v[27:28]
	v_mul_f64_e32 v[27:28], v[43:44], v[71:72]
	s_wait_alu 0xfffd
	v_add_co_ci_u32_e64 v210, null, s51, v210, vcc_lo
	v_add_co_u32 v211, vcc_lo, v211, s50
	s_wait_alu 0xfffd
	v_add_co_ci_u32_e64 v212, null, s51, v212, vcc_lo
	v_add_co_u32 v213, vcc_lo, v213, s50
	;; [unrolled: 3-line block ×6, first 2 shown]
	s_wait_alu 0xfffd
	v_add_co_ci_u32_e64 v222, null, s51, v222, vcc_lo
	s_add_co_i32 s63, s71, 2
	s_add_co_i32 s18, s71, 1
	;; [unrolled: 1-line block ×3, first 2 shown]
	s_wait_alu 0xfffe
	s_cmp_ge_u32 s63, s34
	s_wait_loadcnt 0x0
	s_wait_storecnt 0x0
	s_barrier_signal -1
	s_barrier_wait -1
	global_inv scope:SCOPE_SE
	v_add_f64_e32 v[2:3], v[5:6], v[2:3]
	v_fma_f64 v[13:14], v[15:16], v[25:26], v[13:14]
	v_mul_f64_e32 v[15:16], v[11:12], v[39:40]
	v_mul_f64_e32 v[25:26], v[45:46], v[59:60]
	v_fma_f64 v[27:28], v[41:42], v[69:70], -v[27:28]
	s_delay_alu instid0(VALU_DEP_4) | instskip(NEXT) | instid1(VALU_DEP_4)
	v_add_f64_e32 v[4:5], v[7:8], v[13:14]
	v_fma_f64 v[15:16], v[9:10], v[37:38], -v[15:16]
	v_mul_f64_e32 v[9:10], v[9:10], v[39:40]
	v_fma_f64 v[25:26], v[47:48], v[57:58], v[25:26]
	v_mul_f64_e32 v[39:40], v[79:80], v[107:108]
	s_delay_alu instid0(VALU_DEP_4) | instskip(NEXT) | instid1(VALU_DEP_4)
	v_add_f64_e32 v[2:3], v[2:3], v[15:16]
	v_fma_f64 v[9:10], v[11:12], v[37:38], v[9:10]
	v_mul_f64_e32 v[11:12], v[19:20], v[35:36]
	v_mul_f64_e32 v[37:38], v[53:54], v[63:64]
	v_fma_f64 v[39:40], v[77:78], v[105:106], -v[39:40]
	s_delay_alu instid0(VALU_DEP_4) | instskip(NEXT) | instid1(VALU_DEP_4)
	v_add_f64_e32 v[4:5], v[4:5], v[9:10]
	v_fma_f64 v[11:12], v[17:18], v[33:34], -v[11:12]
	v_mul_f64_e32 v[17:18], v[17:18], v[35:36]
	v_mul_f64_e32 v[35:36], v[55:56], v[63:64]
	v_fma_f64 v[37:38], v[55:56], v[61:62], v[37:38]
	v_mul_f64_e32 v[55:56], v[127:128], v[155:156]
	v_mul_f64_e32 v[63:64], v[131:132], v[91:92]
	v_add_f64_e32 v[2:3], v[2:3], v[11:12]
	v_fma_f64 v[17:18], v[19:20], v[33:34], v[17:18]
	v_mul_f64_e32 v[19:20], v[23:24], v[31:32]
	v_mul_f64_e32 v[33:34], v[49:50], v[67:68]
	v_fma_f64 v[35:36], v[53:54], v[61:62], -v[35:36]
	v_mul_f64_e32 v[53:54], v[101:102], v[119:120]
	v_fma_f64 v[55:56], v[125:126], v[153:154], -v[55:56]
	v_mul_f64_e32 v[61:62], v[121:122], v[95:96]
	v_fma_f64 v[63:64], v[129:130], v[89:90], -v[63:64]
	v_add_f64_e32 v[4:5], v[4:5], v[17:18]
	v_fma_f64 v[19:20], v[21:22], v[29:30], -v[19:20]
	v_mul_f64_e32 v[21:22], v[21:22], v[31:32]
	v_mul_f64_e32 v[31:32], v[51:52], v[67:68]
	v_fma_f64 v[33:34], v[51:52], v[65:66], v[33:34]
	v_mul_f64_e32 v[51:52], v[103:104], v[119:120]
	v_fma_f64 v[53:54], v[103:104], v[117:118], v[53:54]
	v_fma_f64 v[61:62], v[123:124], v[93:94], v[61:62]
	v_mul_f64_e32 v[67:68], v[151:152], v[87:88]
	v_add_f64_e32 v[2:3], v[2:3], v[19:20]
	v_fma_f64 v[21:22], v[23:24], v[29:30], v[21:22]
	v_mul_f64_e32 v[23:24], v[47:48], v[59:60]
	v_mul_f64_e32 v[29:30], v[41:42], v[71:72]
	v_fma_f64 v[31:32], v[49:50], v[65:66], -v[31:32]
	v_mul_f64_e32 v[41:42], v[77:78], v[107:108]
	v_mul_f64_e32 v[47:48], v[83:84], v[111:112]
	;; [unrolled: 1-line block ×3, first 2 shown]
	v_fma_f64 v[51:52], v[101:102], v[117:118], -v[51:52]
	v_mul_f64_e32 v[59:60], v[123:124], v[95:96]
	v_mul_f64_e32 v[65:66], v[129:130], v[91:92]
	v_fma_f64 v[67:68], v[149:150], v[85:86], -v[67:68]
	v_add_f64_e32 v[4:5], v[4:5], v[21:22]
	v_fma_f64 v[23:24], v[45:46], v[57:58], -v[23:24]
	v_fma_f64 v[29:30], v[43:44], v[69:70], v[29:30]
	v_mul_f64_e32 v[43:44], v[75:76], v[115:116]
	v_fma_f64 v[41:42], v[79:80], v[105:106], v[41:42]
	v_mul_f64_e32 v[45:46], v[73:74], v[115:116]
	v_fma_f64 v[47:48], v[81:82], v[109:110], -v[47:48]
	v_fma_f64 v[49:50], v[83:84], v[109:110], v[49:50]
	v_mul_f64_e32 v[57:58], v[125:126], v[155:156]
	v_fma_f64 v[59:60], v[121:122], v[93:94], -v[59:60]
	v_fma_f64 v[65:66], v[131:132], v[89:90], v[65:66]
	v_mul_f64_e32 v[69:70], v[149:150], v[87:88]
	v_add_f64_e32 v[4:5], v[4:5], v[25:26]
	v_add_f64_e32 v[2:3], v[2:3], v[23:24]
	v_fma_f64 v[43:44], v[73:74], v[113:114], -v[43:44]
	v_fma_f64 v[45:46], v[75:76], v[113:114], v[45:46]
	v_fma_f64 v[57:58], v[127:128], v[153:154], v[57:58]
	;; [unrolled: 1-line block ×3, first 2 shown]
	v_add_f64_e32 v[4:5], v[4:5], v[29:30]
	v_add_f64_e32 v[2:3], v[2:3], v[27:28]
	s_delay_alu instid0(VALU_DEP_2) | instskip(NEXT) | instid1(VALU_DEP_2)
	v_add_f64_e32 v[4:5], v[4:5], v[33:34]
	v_add_f64_e32 v[2:3], v[2:3], v[31:32]
	s_delay_alu instid0(VALU_DEP_2) | instskip(NEXT) | instid1(VALU_DEP_2)
	;; [unrolled: 3-line block ×10, first 2 shown]
	v_add_f64_e32 v[7:8], v[7:8], v[69:70]
	v_add_f64_e32 v[5:6], v[2:3], v[67:68]
	s_cbranch_scc1 .LBB190_130
; %bb.129:                              ;   in Loop: Header=BB190_78 Depth=2
	s_mov_b32 s71, s18
	s_delay_alu instid0(SALU_CYCLE_1)
	s_cmp_eq_u32 s68, s71
	s_cselect_b32 s72, s33, 0
	s_and_saveexec_b32 s18, s0
	s_cbranch_execnz .LBB190_74
	s_branch .LBB190_78
.LBB190_130:                            ;   in Loop: Header=BB190_4 Depth=1
	scratch_load_b32 v2, off, off           ; 4-byte Folded Reload
	s_wait_loadcnt 0x0
	ds_store_b128 v2, v[5:8]
	s_wait_dscnt 0x0
	s_barrier_signal -1
	s_barrier_wait -1
	global_inv scope:SCOPE_SE
	s_and_saveexec_b32 s18, s69
	s_cbranch_execz .LBB190_2
; %bb.131:                              ;   in Loop: Header=BB190_4 Depth=1
	ds_load_b128 v[2:5], v182 offset:1072
	ds_load_b128 v[6:9], v182
	s_wait_dscnt 0x0
	v_add_f64_e32 v[10:11], v[2:3], v[6:7]
	v_add_f64_e32 v[12:13], v[4:5], v[8:9]
	ds_load_b128 v[2:5], v182 offset:2144
	ds_load_b128 v[6:9], v182 offset:3216
	s_wait_dscnt 0x1
	v_add_f64_e32 v[2:3], v[10:11], v[2:3]
	v_add_f64_e32 v[4:5], v[12:13], v[4:5]
	s_wait_dscnt 0x0
	s_delay_alu instid0(VALU_DEP_2)
	v_add_f64_e32 v[2:3], v[2:3], v[6:7]
	scratch_load_b64 v[6:7], off, off offset:136 ; 8-byte Folded Reload
	v_add_f64_e32 v[4:5], v[4:5], v[8:9]
	s_wait_loadcnt 0x0
	s_wait_alu 0xfffe
	v_add_co_u32 v6, vcc_lo, s60, v6
	s_wait_alu 0xfffd
	v_add_co_ci_u32_e64 v7, null, s61, v7, vcc_lo
	global_store_b128 v[6:7], v[2:5], off
	s_branch .LBB190_2
.LBB190_132:                            ;   in Loop: Header=BB190_4 Depth=1
	ds_load_b128 v[4:7], v189
	s_wait_dscnt 0x0
	ds_store_b128 v237, v[4:7]
	s_wait_alu 0xfffe
	s_or_b32 exec_lo, exec_lo, s18
	s_and_saveexec_b32 s18, s7
	s_cbranch_execz .LBB190_28
.LBB190_133:                            ;   in Loop: Header=BB190_4 Depth=1
	ds_load_b128 v[4:7], v190
	v_add_nc_u32_e32 v8, 16, v237
	s_wait_dscnt 0x0
	ds_store_b128 v8, v[4:7]
	s_wait_alu 0xfffe
	s_or_b32 exec_lo, exec_lo, s18
	s_and_saveexec_b32 s18, s8
	s_cbranch_execz .LBB190_29
.LBB190_134:                            ;   in Loop: Header=BB190_4 Depth=1
	ds_load_b128 v[4:7], v191
	v_add_nc_u32_e32 v8, 32, v237
	s_wait_dscnt 0x0
	ds_store_b128 v8, v[4:7]
	s_wait_alu 0xfffe
	s_or_b32 exec_lo, exec_lo, s18
	s_and_saveexec_b32 s18, s9
	s_cbranch_execnz .LBB190_30
	s_branch .LBB190_31
.LBB190_135:                            ;   in Loop: Header=BB190_4 Depth=1
	ds_load_b128 v[11:14], v189
	s_wait_dscnt 0x0
	ds_store_b128 v196, v[11:14]
	s_wait_alu 0xfffe
	s_or_b32 exec_lo, exec_lo, s18
	s_and_saveexec_b32 s18, s7
	s_cbranch_execz .LBB190_49
.LBB190_136:                            ;   in Loop: Header=BB190_4 Depth=1
	ds_load_b128 v[11:14], v190
	v_add_nc_u32_e32 v2, 16, v196
	s_wait_dscnt 0x0
	ds_store_b128 v2, v[11:14]
	s_wait_alu 0xfffe
	s_or_b32 exec_lo, exec_lo, s18
	s_and_saveexec_b32 s18, s8
	s_cbranch_execz .LBB190_50
.LBB190_137:                            ;   in Loop: Header=BB190_4 Depth=1
	ds_load_b128 v[11:14], v191
	v_add_nc_u32_e32 v2, 32, v196
	s_wait_dscnt 0x0
	ds_store_b128 v2, v[11:14]
	s_wait_alu 0xfffe
	s_or_b32 exec_lo, exec_lo, s18
	s_and_saveexec_b32 s18, s9
	s_cbranch_execnz .LBB190_51
	s_branch .LBB190_52
.LBB190_138:                            ;   in Loop: Header=BB190_4 Depth=1
	flat_load_b128 v[9:12], v[7:8]
	s_wait_loadcnt_dscnt 0x0
	ds_store_2addr_b64 v184, v[9:10], v[11:12] offset1:1
	s_or_b32 exec_lo, exec_lo, s18
	s_and_saveexec_b32 s18, s3
	s_wait_alu 0xfffe
	s_xor_b32 s18, exec_lo, s18
	s_cbranch_execz .LBB190_17
.LBB190_139:                            ;   in Loop: Header=BB190_4 Depth=1
	v_dual_mov_b32 v2, v1 :: v_dual_mov_b32 v3, v1
	v_dual_mov_b32 v4, v1 :: v_dual_add_nc_u32 v9, 0x1080, v184
	ds_store_b128 v9, v[1:4]
	s_wait_alu 0xfffe
	s_and_not1_saveexec_b32 s18, s18
	s_cbranch_execz .LBB190_18
.LBB190_140:                            ;   in Loop: Header=BB190_4 Depth=1
	v_add_co_u32 v2, vcc_lo, v7, s42
	s_wait_alu 0xfffd
	v_add_co_ci_u32_e64 v3, null, s43, v8, vcc_lo
	flat_load_b128 v[9:12], v[2:3]
	v_add_nc_u32_e32 v2, 0x1080, v184
	s_wait_loadcnt_dscnt 0x0
	ds_store_2addr_b64 v2, v[9:10], v[11:12] offset1:1
	s_wait_alu 0xfffe
	s_or_b32 exec_lo, exec_lo, s18
	s_and_saveexec_b32 s18, s4
	s_wait_alu 0xfffe
	s_xor_b32 s18, exec_lo, s18
	s_cbranch_execz .LBB190_19
.LBB190_141:                            ;   in Loop: Header=BB190_4 Depth=1
	v_dual_mov_b32 v2, v1 :: v_dual_mov_b32 v3, v1
	v_dual_mov_b32 v4, v1 :: v_dual_add_nc_u32 v9, 0x2100, v184
	ds_store_b128 v9, v[1:4]
	s_wait_alu 0xfffe
	s_and_not1_saveexec_b32 s18, s18
	s_cbranch_execz .LBB190_20
.LBB190_142:                            ;   in Loop: Header=BB190_4 Depth=1
	v_add_co_u32 v2, vcc_lo, v7, s44
	s_wait_alu 0xfffd
	v_add_co_ci_u32_e64 v3, null, s45, v8, vcc_lo
	flat_load_b128 v[9:12], v[2:3]
	v_add_nc_u32_e32 v2, 0x2100, v184
	s_wait_loadcnt_dscnt 0x0
	ds_store_2addr_b64 v2, v[9:10], v[11:12] offset1:1
	s_wait_alu 0xfffe
	s_or_b32 exec_lo, exec_lo, s18
	s_and_saveexec_b32 s18, s5
	s_wait_alu 0xfffe
	s_xor_b32 s18, exec_lo, s18
	s_cbranch_execz .LBB190_21
.LBB190_143:                            ;   in Loop: Header=BB190_4 Depth=1
	v_dual_mov_b32 v2, v1 :: v_dual_mov_b32 v3, v1
	v_mov_b32_e32 v4, v1
	ds_store_b128 v204, v[1:4]
	s_wait_alu 0xfffe
	s_and_not1_saveexec_b32 s18, s18
	s_cbranch_execnz .LBB190_22
	s_branch .LBB190_23
.LBB190_144:                            ;   in Loop: Header=BB190_4 Depth=1
	flat_load_b128 v[15:18], v[9:10]
	s_wait_loadcnt_dscnt 0x0
	ds_store_2addr_b64 v184, v[15:16], v[17:18] offset1:1
	s_or_b32 exec_lo, exec_lo, s18
	s_and_saveexec_b32 s18, s13
	s_wait_alu 0xfffe
	s_xor_b32 s18, exec_lo, s18
	s_cbranch_execz .LBB190_38
.LBB190_145:                            ;   in Loop: Header=BB190_4 Depth=1
	v_dual_mov_b32 v2, v1 :: v_dual_mov_b32 v3, v1
	v_dual_mov_b32 v4, v1 :: v_dual_add_nc_u32 v15, 0x1080, v184
	ds_store_b128 v15, v[1:4]
	s_wait_alu 0xfffe
	s_and_not1_saveexec_b32 s18, s18
	s_cbranch_execz .LBB190_39
.LBB190_146:                            ;   in Loop: Header=BB190_4 Depth=1
	v_add_co_u32 v2, vcc_lo, v9, s42
	s_wait_alu 0xfffd
	v_add_co_ci_u32_e64 v3, null, s43, v10, vcc_lo
	flat_load_b128 v[15:18], v[2:3]
	v_add_nc_u32_e32 v2, 0x1080, v184
	s_wait_loadcnt_dscnt 0x0
	ds_store_2addr_b64 v2, v[15:16], v[17:18] offset1:1
	s_wait_alu 0xfffe
	s_or_b32 exec_lo, exec_lo, s18
	s_and_saveexec_b32 s18, s14
	s_wait_alu 0xfffe
	s_xor_b32 s18, exec_lo, s18
	s_cbranch_execz .LBB190_40
.LBB190_147:                            ;   in Loop: Header=BB190_4 Depth=1
	v_dual_mov_b32 v2, v1 :: v_dual_mov_b32 v3, v1
	v_dual_mov_b32 v4, v1 :: v_dual_add_nc_u32 v15, 0x2100, v184
	ds_store_b128 v15, v[1:4]
	s_wait_alu 0xfffe
	s_and_not1_saveexec_b32 s18, s18
	s_cbranch_execz .LBB190_41
.LBB190_148:                            ;   in Loop: Header=BB190_4 Depth=1
	v_add_co_u32 v2, vcc_lo, v9, s44
	s_wait_alu 0xfffd
	v_add_co_ci_u32_e64 v3, null, s45, v10, vcc_lo
	flat_load_b128 v[15:18], v[2:3]
	v_add_nc_u32_e32 v2, 0x2100, v184
	s_wait_loadcnt_dscnt 0x0
	ds_store_2addr_b64 v2, v[15:16], v[17:18] offset1:1
	s_wait_alu 0xfffe
	s_or_b32 exec_lo, exec_lo, s18
	s_and_saveexec_b32 s18, s15
	s_wait_alu 0xfffe
	s_xor_b32 s18, exec_lo, s18
	s_cbranch_execz .LBB190_42
.LBB190_149:                            ;   in Loop: Header=BB190_4 Depth=1
	v_dual_mov_b32 v2, v1 :: v_dual_mov_b32 v3, v1
	v_mov_b32_e32 v4, v1
	ds_store_b128 v204, v[1:4]
	s_wait_alu 0xfffe
	s_and_not1_saveexec_b32 s18, s18
	s_cbranch_execnz .LBB190_43
	s_branch .LBB190_44
.LBB190_150:                            ;   in Loop: Header=BB190_4 Depth=1
	flat_load_b128 v[15:18], v[13:14]
	s_wait_loadcnt_dscnt 0x0
	ds_store_2addr_b64 v184, v[15:16], v[17:18] offset1:1
	s_or_b32 exec_lo, exec_lo, s18
	s_and_saveexec_b32 s18, s13
	s_wait_alu 0xfffe
	s_xor_b32 s18, exec_lo, s18
	s_cbranch_execz .LBB190_59
.LBB190_151:                            ;   in Loop: Header=BB190_4 Depth=1
	v_dual_mov_b32 v2, v1 :: v_dual_mov_b32 v3, v1
	v_dual_mov_b32 v4, v1 :: v_dual_add_nc_u32 v15, 0x1080, v184
	ds_store_b128 v15, v[1:4]
	s_wait_alu 0xfffe
	s_and_not1_saveexec_b32 s18, s18
	s_cbranch_execz .LBB190_60
.LBB190_152:                            ;   in Loop: Header=BB190_4 Depth=1
	v_add_co_u32 v2, vcc_lo, v13, s42
	s_wait_alu 0xfffd
	v_add_co_ci_u32_e64 v3, null, s43, v14, vcc_lo
	flat_load_b128 v[15:18], v[2:3]
	v_add_nc_u32_e32 v2, 0x1080, v184
	s_wait_loadcnt_dscnt 0x0
	ds_store_2addr_b64 v2, v[15:16], v[17:18] offset1:1
	s_wait_alu 0xfffe
	s_or_b32 exec_lo, exec_lo, s18
	s_and_saveexec_b32 s18, s14
	s_wait_alu 0xfffe
	s_xor_b32 s18, exec_lo, s18
	s_cbranch_execz .LBB190_61
.LBB190_153:                            ;   in Loop: Header=BB190_4 Depth=1
	v_dual_mov_b32 v2, v1 :: v_dual_mov_b32 v3, v1
	v_dual_mov_b32 v4, v1 :: v_dual_add_nc_u32 v15, 0x2100, v184
	ds_store_b128 v15, v[1:4]
	s_wait_alu 0xfffe
	s_and_not1_saveexec_b32 s18, s18
	s_cbranch_execz .LBB190_62
.LBB190_154:                            ;   in Loop: Header=BB190_4 Depth=1
	v_add_co_u32 v2, vcc_lo, v13, s44
	s_wait_alu 0xfffd
	v_add_co_ci_u32_e64 v3, null, s45, v14, vcc_lo
	flat_load_b128 v[15:18], v[2:3]
	v_add_nc_u32_e32 v2, 0x2100, v184
	s_wait_loadcnt_dscnt 0x0
	ds_store_2addr_b64 v2, v[15:16], v[17:18] offset1:1
	s_wait_alu 0xfffe
	s_or_b32 exec_lo, exec_lo, s18
	s_and_saveexec_b32 s18, s15
	s_wait_alu 0xfffe
	s_xor_b32 s18, exec_lo, s18
	s_cbranch_execz .LBB190_63
.LBB190_155:                            ;   in Loop: Header=BB190_4 Depth=1
	v_dual_mov_b32 v2, v1 :: v_dual_mov_b32 v3, v1
	v_mov_b32_e32 v4, v1
	ds_store_b128 v204, v[1:4]
	s_wait_alu 0xfffe
	s_and_not1_saveexec_b32 s18, s18
	s_cbranch_execnz .LBB190_64
	s_branch .LBB190_65
.LBB190_156:
	s_nop 0
	s_sendmsg sendmsg(MSG_DEALLOC_VGPRS)
	s_endpgm
	.section	.rodata,"a",@progbits
	.p2align	6, 0x0
	.amdhsa_kernel _ZL26rocblas_hemvn_kernel_upperILb0ELi64ELi4ELi33ELi32ELi16El19rocblas_complex_numIdEPKPKS1_PS1_EviT6_lT7_lT5_lS8_lS9_lS7_lT8_i
		.amdhsa_group_segment_fixed_size 19200
		.amdhsa_private_segment_fixed_size 148
		.amdhsa_kernarg_size 392
		.amdhsa_user_sgpr_count 2
		.amdhsa_user_sgpr_dispatch_ptr 0
		.amdhsa_user_sgpr_queue_ptr 0
		.amdhsa_user_sgpr_kernarg_segment_ptr 1
		.amdhsa_user_sgpr_dispatch_id 0
		.amdhsa_user_sgpr_private_segment_size 0
		.amdhsa_wavefront_size32 1
		.amdhsa_uses_dynamic_stack 0
		.amdhsa_enable_private_segment 1
		.amdhsa_system_sgpr_workgroup_id_x 1
		.amdhsa_system_sgpr_workgroup_id_y 0
		.amdhsa_system_sgpr_workgroup_id_z 1
		.amdhsa_system_sgpr_workgroup_info 0
		.amdhsa_system_vgpr_workitem_id 1
		.amdhsa_next_free_vgpr 256
		.amdhsa_next_free_sgpr 76
		.amdhsa_reserve_vcc 1
		.amdhsa_float_round_mode_32 0
		.amdhsa_float_round_mode_16_64 0
		.amdhsa_float_denorm_mode_32 3
		.amdhsa_float_denorm_mode_16_64 3
		.amdhsa_fp16_overflow 0
		.amdhsa_workgroup_processor_mode 1
		.amdhsa_memory_ordered 1
		.amdhsa_forward_progress 1
		.amdhsa_inst_pref_size 107
		.amdhsa_round_robin_scheduling 0
		.amdhsa_exception_fp_ieee_invalid_op 0
		.amdhsa_exception_fp_denorm_src 0
		.amdhsa_exception_fp_ieee_div_zero 0
		.amdhsa_exception_fp_ieee_overflow 0
		.amdhsa_exception_fp_ieee_underflow 0
		.amdhsa_exception_fp_ieee_inexact 0
		.amdhsa_exception_int_div_zero 0
	.end_amdhsa_kernel
	.section	.text._ZL26rocblas_hemvn_kernel_upperILb0ELi64ELi4ELi33ELi32ELi16El19rocblas_complex_numIdEPKPKS1_PS1_EviT6_lT7_lT5_lS8_lS9_lS7_lT8_i,"axG",@progbits,_ZL26rocblas_hemvn_kernel_upperILb0ELi64ELi4ELi33ELi32ELi16El19rocblas_complex_numIdEPKPKS1_PS1_EviT6_lT7_lT5_lS8_lS9_lS7_lT8_i,comdat
.Lfunc_end190:
	.size	_ZL26rocblas_hemvn_kernel_upperILb0ELi64ELi4ELi33ELi32ELi16El19rocblas_complex_numIdEPKPKS1_PS1_EviT6_lT7_lT5_lS8_lS9_lS7_lT8_i, .Lfunc_end190-_ZL26rocblas_hemvn_kernel_upperILb0ELi64ELi4ELi33ELi32ELi16El19rocblas_complex_numIdEPKPKS1_PS1_EviT6_lT7_lT5_lS8_lS9_lS7_lT8_i
                                        ; -- End function
	.set _ZL26rocblas_hemvn_kernel_upperILb0ELi64ELi4ELi33ELi32ELi16El19rocblas_complex_numIdEPKPKS1_PS1_EviT6_lT7_lT5_lS8_lS9_lS7_lT8_i.num_vgpr, 256
	.set _ZL26rocblas_hemvn_kernel_upperILb0ELi64ELi4ELi33ELi32ELi16El19rocblas_complex_numIdEPKPKS1_PS1_EviT6_lT7_lT5_lS8_lS9_lS7_lT8_i.num_agpr, 0
	.set _ZL26rocblas_hemvn_kernel_upperILb0ELi64ELi4ELi33ELi32ELi16El19rocblas_complex_numIdEPKPKS1_PS1_EviT6_lT7_lT5_lS8_lS9_lS7_lT8_i.numbered_sgpr, 76
	.set _ZL26rocblas_hemvn_kernel_upperILb0ELi64ELi4ELi33ELi32ELi16El19rocblas_complex_numIdEPKPKS1_PS1_EviT6_lT7_lT5_lS8_lS9_lS7_lT8_i.num_named_barrier, 0
	.set _ZL26rocblas_hemvn_kernel_upperILb0ELi64ELi4ELi33ELi32ELi16El19rocblas_complex_numIdEPKPKS1_PS1_EviT6_lT7_lT5_lS8_lS9_lS7_lT8_i.private_seg_size, 148
	.set _ZL26rocblas_hemvn_kernel_upperILb0ELi64ELi4ELi33ELi32ELi16El19rocblas_complex_numIdEPKPKS1_PS1_EviT6_lT7_lT5_lS8_lS9_lS7_lT8_i.uses_vcc, 1
	.set _ZL26rocblas_hemvn_kernel_upperILb0ELi64ELi4ELi33ELi32ELi16El19rocblas_complex_numIdEPKPKS1_PS1_EviT6_lT7_lT5_lS8_lS9_lS7_lT8_i.uses_flat_scratch, 1
	.set _ZL26rocblas_hemvn_kernel_upperILb0ELi64ELi4ELi33ELi32ELi16El19rocblas_complex_numIdEPKPKS1_PS1_EviT6_lT7_lT5_lS8_lS9_lS7_lT8_i.has_dyn_sized_stack, 0
	.set _ZL26rocblas_hemvn_kernel_upperILb0ELi64ELi4ELi33ELi32ELi16El19rocblas_complex_numIdEPKPKS1_PS1_EviT6_lT7_lT5_lS8_lS9_lS7_lT8_i.has_recursion, 0
	.set _ZL26rocblas_hemvn_kernel_upperILb0ELi64ELi4ELi33ELi32ELi16El19rocblas_complex_numIdEPKPKS1_PS1_EviT6_lT7_lT5_lS8_lS9_lS7_lT8_i.has_indirect_call, 0
	.section	.AMDGPU.csdata,"",@progbits
; Kernel info:
; codeLenInByte = 13580
; TotalNumSgprs: 78
; NumVgprs: 256
; ScratchSize: 148
; MemoryBound: 1
; FloatMode: 240
; IeeeMode: 1
; LDSByteSize: 19200 bytes/workgroup (compile time only)
; SGPRBlocks: 0
; VGPRBlocks: 31
; NumSGPRsForWavesPerEU: 78
; NumVGPRsForWavesPerEU: 256
; Occupancy: 5
; WaveLimiterHint : 1
; COMPUTE_PGM_RSRC2:SCRATCH_EN: 1
; COMPUTE_PGM_RSRC2:USER_SGPR: 2
; COMPUTE_PGM_RSRC2:TRAP_HANDLER: 0
; COMPUTE_PGM_RSRC2:TGID_X_EN: 1
; COMPUTE_PGM_RSRC2:TGID_Y_EN: 0
; COMPUTE_PGM_RSRC2:TGID_Z_EN: 1
; COMPUTE_PGM_RSRC2:TIDIG_COMP_CNT: 1
	.section	.text._ZL26rocblas_hemvn_kernel_upperILb0ELi64ELi4ELi33ELi32ELi16Ei19rocblas_complex_numIdEPKPKS1_PS1_EviT6_lT7_lT5_lS8_lS9_lS7_lT8_i,"axG",@progbits,_ZL26rocblas_hemvn_kernel_upperILb0ELi64ELi4ELi33ELi32ELi16Ei19rocblas_complex_numIdEPKPKS1_PS1_EviT6_lT7_lT5_lS8_lS9_lS7_lT8_i,comdat
	.globl	_ZL26rocblas_hemvn_kernel_upperILb0ELi64ELi4ELi33ELi32ELi16Ei19rocblas_complex_numIdEPKPKS1_PS1_EviT6_lT7_lT5_lS8_lS9_lS7_lT8_i ; -- Begin function _ZL26rocblas_hemvn_kernel_upperILb0ELi64ELi4ELi33ELi32ELi16Ei19rocblas_complex_numIdEPKPKS1_PS1_EviT6_lT7_lT5_lS8_lS9_lS7_lT8_i
	.p2align	8
	.type	_ZL26rocblas_hemvn_kernel_upperILb0ELi64ELi4ELi33ELi32ELi16Ei19rocblas_complex_numIdEPKPKS1_PS1_EviT6_lT7_lT5_lS8_lS9_lS7_lT8_i,@function
_ZL26rocblas_hemvn_kernel_upperILb0ELi64ELi4ELi33ELi32ELi16Ei19rocblas_complex_numIdEPKPKS1_PS1_EviT6_lT7_lT5_lS8_lS9_lS7_lT8_i: ; @_ZL26rocblas_hemvn_kernel_upperILb0ELi64ELi4ELi33ELi32ELi16Ei19rocblas_complex_numIdEPKPKS1_PS1_EviT6_lT7_lT5_lS8_lS9_lS7_lT8_i
; %bb.0:
	s_clause 0x1
	s_load_b64 s[2:3], s[0:1], 0x94
	s_load_b32 s33, s[0:1], 0x80
	s_lshr_b32 s28, ttmp7, 16
	s_wait_kmcnt 0x0
	s_lshr_b32 s4, s2, 16
	s_and_b32 s2, s2, 0xffff
	s_and_b32 s3, s3, 0xffff
	s_mul_i32 s2, s4, s2
	s_delay_alu instid0(SALU_CYCLE_1) | instskip(NEXT) | instid1(SALU_CYCLE_1)
	s_mul_i32 s2, s2, s3
	s_cmp_lg_u32 s2, 0x100
	s_cselect_b32 s2, -1, 0
	s_cmp_ge_u32 s28, s33
	s_cselect_b32 s3, -1, 0
	s_delay_alu instid0(SALU_CYCLE_1) | instskip(NEXT) | instid1(SALU_CYCLE_1)
	s_or_b32 s2, s2, s3
	s_and_b32 vcc_lo, exec_lo, s2
	s_cbranch_vccnz .LBB191_156
; %bb.1:
	s_clause 0x3
	s_load_b128 s[12:15], s[0:1], 0x8
	s_load_b128 s[36:39], s[0:1], 0x60
	s_load_b32 s10, s[0:1], 0x0
	s_load_b64 s[8:9], s[0:1], 0x78
	s_add_nc_u64 s[2:3], s[0:1], 0x88
	s_clause 0x3
	s_load_b128 s[20:23], s[0:1], 0x20
	s_load_b32 s18, s[0:1], 0x30
	s_load_b128 s[24:27], s[0:1], 0x40
	s_load_b32 s50, s[0:1], 0x50
	v_bfe_u32 v4, v0, 10, 10
	s_load_b32 s30, s[2:3], 0x0
	v_and_b32_e32 v173, 0x3ff, v0
	v_dual_mov_b32 v1, 0 :: v_dual_and_b32 v2, 31, v0
	s_delay_alu instid0(VALU_DEP_3) | instskip(SKIP_2) | instid1(VALU_DEP_2)
	v_lshlrev_b32_e32 v13, 6, v4
	s_mov_b32 s29, 0
	s_lshl_b32 s54, ttmp9, 6
	v_sub_co_u32 v5, s2, 0, v2
	s_delay_alu instid0(VALU_DEP_2)
	v_add_nc_u32_e32 v14, v13, v173
	v_sub_co_ci_u32_e64 v6, null, 0, 0, s2
	s_mov_b32 s31, s29
	s_wait_kmcnt 0x0
	v_cmp_eq_f64_e64 s1, s[12:13], 0
	v_cmp_eq_f64_e64 s4, s[14:15], 0
	v_cmp_neq_f64_e64 s5, s[36:37], 1.0
	v_cmp_neq_f64_e64 s7, s[38:39], 0
	s_ashr_i32 s11, s10, 31
	v_lshrrev_b32_e32 v12, 5, v14
	s_lshr_b32 s2, s11, 26
	v_lshlrev_b32_e32 v11, 4, v2
	s_wait_alu 0xfffe
	s_add_co_i32 s2, s10, s2
	s_add_co_i32 s3, s30, -1
	s_wait_alu 0xfffe
	s_and_not1_b32 s2, s2, 63
	v_lshlrev_b32_e32 v18, 2, v12
	s_ashr_i32 s19, s18, 31
	s_mul_u64 s[34:35], s[30:31], s[10:11]
	s_wait_alu 0xfffe
	s_sub_co_i32 s31, s10, s2
	v_lshl_or_b32 v19, v2, 9, v11
	v_lshlrev_b32_e32 v20, 6, v12
	v_or_b32_e32 v21, 1, v18
	s_mov_b32 s6, ttmp9
	v_lshlrev_b32_e32 v22, 4, v173
	v_mad_u32_u24 v188, 0x210, v12, v11
	v_add_nc_u32_e32 v19, v19, v20
	v_mad_u32_u24 v250, 0x840, v12, v11
	v_mad_u32_u24 v208, 0x210, v21, v11
	v_mul_u32_u24_e32 v11, 33, v2
	v_add_nc_u32_e32 v3, s54, v173
	v_cmp_eq_u32_e64 s0, 0, v4
	v_add_nc_u32_e32 v15, 8, v12
	v_lshlrev_b32_e32 v201, 2, v4
	v_lshlrev_b32_e32 v196, 4, v11
	v_or_b32_e32 v11, 32, v2
	v_mad_u32_u24 v204, 0x10c0, v4, v22
	v_mad_u32_u24 v4, 0x430, v4, v22
	scratch_store_b32 off, v19, off         ; 4-byte Folded Spill
	v_or_b32_e32 v19, 2, v18
	v_mad_co_u64_u32 v[9:10], null, s18, v12, v[2:3]
	v_add_nc_u32_e32 v16, 16, v12
	v_add_nc_u32_e32 v17, 24, v12
	s_and_b32 s64, s1, s4
	v_cmp_eq_u32_e64 s16, 1, v12
	s_or_b32 s65, s5, s7
	s_cmp_eq_u32 ttmp9, s3
	s_mul_i32 s56, s18, s54
	s_cselect_b32 s36, s31, 0
	s_mul_i32 s42, s18, 24
	s_wait_alu 0xfffe
	s_cmp_lg_u32 s36, 0
	v_cmp_le_i32_e64 s2, s36, v12
	s_cselect_b32 s66, -1, 0
	s_cmp_eq_u32 s36, 0
	v_cmp_le_i32_e64 s3, s36, v15
	s_cselect_b32 s5, -1, 0
	s_ashr_i32 s7, ttmp9, 31
	s_sub_co_i32 s15, s36, 32
	s_mul_u64 s[6:7], s[10:11], s[6:7]
	v_cmp_gt_i32_e64 s11, s36, v11
	s_lshl_b64 s[6:7], s[6:7], 4
	s_wait_alu 0xfffe
	v_cmp_le_i32_e64 s12, s15, v12
	s_add_nc_u64 s[40:41], s[8:9], s[6:7]
	v_cmp_gt_u32_e64 s6, v18, v2
	v_cmp_ge_u32_e64 s7, v18, v2
	v_or_b32_e32 v18, 3, v18
	v_cmp_gt_u32_e64 s8, v19, v2
	v_lshlrev_b32_e32 v19, 4, v12
	v_cmp_le_i32_e64 s13, s15, v15
	v_mul_i32_i24_e32 v15, 0xffffffd0, v12
	v_mad_co_u64_u32 v[11:12], null, s18, v201, v[173:174]
	v_cmp_gt_i32_e32 vcc_lo, s36, v173
	v_cmp_gt_u32_e64 s9, v18, v2
	v_and_b32_e32 v18, 48, v0
	v_cmp_le_i32_e64 s14, s15, v16
	v_cmp_le_i32_e64 s15, s15, v17
	s_or_b32 s46, s5, vcc_lo
	v_cmp_le_i32_e64 s5, s36, v17
	v_and_b32_e32 v17, 15, v0
	v_add_nc_u32_e32 v0, 0x4300, v13
	v_lshlrev_b32_e32 v13, 4, v18
	v_cmp_le_i32_e64 s4, s36, v16
	v_lshrrev_b32_e32 v16, 4, v14
	v_ashrrev_i32_e32 v12, 31, v11
	s_lshl_b32 s48, s18, 5
	v_mad_u32_u24 v206, 0x430, v17, v13
	s_ashr_i32 s49, s48, 31
	v_add_co_u32 v13, vcc_lo, s48, v11
	v_add_nc_u32_e32 v252, v196, v19
	v_add_nc_u32_e32 v202, 0x4700, v19
	v_lshlrev_b32_e32 v19, 6, v16
	v_or_b32_e32 v18, 0xf0, v22
	s_lshl_b32 s38, s18, 3
	s_lshl_b32 s58, s18, 4
	v_cmp_gt_u32_e64 s10, 32, v14
	s_mul_i32 s44, s50, s54
	v_cmp_gt_u32_e64 s17, 64, v14
	v_add_co_ci_u32_e64 v14, null, s49, v12, vcc_lo
	s_add_co_i32 s51, ttmp9, 1
	s_ashr_i32 s55, s54, 31
	s_ashr_i32 s57, s56, 31
	;; [unrolled: 1-line block ×3, first 2 shown]
	s_wait_alu 0xfffe
	s_ashr_i32 s39, s38, 31
	s_xor_b32 s67, s46, -1
	s_ashr_i32 s59, s58, 31
	s_ashr_i32 s43, s42, 31
	;; [unrolled: 1-line block ×3, first 2 shown]
	s_cmp_lt_u32 s51, s30
	v_lshlrev_b64_e32 v[11:12], 4, v[11:12]
	v_ashrrev_i32_e32 v10, 31, v9
	v_mad_u32_u24 v205, 0x430, v17, v19
	v_mad_u32_u24 v207, 0x430, v17, v18
	v_add_nc_u32_e32 v17, 64, v3
	s_cselect_b32 s68, -1, 0
	s_lshl_b64 s[76:77], s[18:19], 5
	s_lshl_b64 s[48:49], s[48:49], 4
	v_lshlrev_b64_e32 v[13:14], 4, v[13:14]
	s_wait_alu 0xfffe
	s_add_nc_u64 s[78:79], s[76:77], s[48:49]
	scratch_store_b32 off, v17, off offset:32 ; 4-byte Folded Spill
	v_lshlrev_b64_e32 v[17:18], 4, v[9:10]
	v_add_co_u32 v9, vcc_lo, s78, v11
	v_add_nc_u32_e32 v186, 0x4700, v20
	v_add_nc_u32_e32 v195, v196, v20
	v_mad_co_i64_i32 v[19:20], null, s58, 48, v[13:14]
	s_mul_i32 s74, s18, 3
	s_wait_alu 0xfffd
	v_add_co_ci_u32_e64 v10, null, s79, v12, vcc_lo
	v_or_b32_e32 v9, 8, v9
	s_ashr_i32 s75, s74, 31
	s_clause 0x3
	scratch_store_b32 off, v4, off offset:8
	scratch_store_b64 off, v[17:18], off offset:12
	scratch_store_b32 off, v10, off offset:44
	scratch_store_b32 off, v9, off offset:48
	s_lshl_b64 s[74:75], s[74:75], 4
	s_lshl_b32 s52, s18, 1
	v_add_co_u32 v9, vcc_lo, v19, s74
	s_wait_alu 0xfffd
	v_add_co_ci_u32_e64 v10, null, s75, v20, vcc_lo
	s_ashr_i32 s53, s52, 31
	v_or_b32_e32 v9, 8, v9
	s_lshl_b64 s[62:63], s[18:19], 4
	s_and_b32 s71, s0, s46
	s_lshl_b64 s[46:47], s[18:19], 7
	v_sub_co_u32 v210, s18, 0, v17
	s_add_nc_u64 s[82:83], s[62:63], s[48:49]
	s_lshl_b64 s[84:85], s[52:53], 4
	v_sub_co_ci_u32_e64 v211, null, 0, v18, s18
	scratch_store_b32 off, v10, off offset:52 ; 4-byte Folded Spill
	v_add_co_u32 v10, s18, s82, v11
	scratch_store_b32 off, v9, off offset:56 ; 4-byte Folded Spill
	v_add_co_u32 v9, vcc_lo, v19, s84
	v_mul_lo_u32 v7, s50, v3
	v_or_b32_e32 v19, 8, v19
	v_cmp_gt_i32_e64 s1, s36, v2
	s_delay_alu instid0(VALU_DEP_4)
	v_or_b32_e32 v9, 8, v9
	scratch_store_b32 off, v10, off offset:60 ; 4-byte Folded Spill
	s_wait_alu 0xf1ff
	v_add_co_ci_u32_e64 v10, null, s83, v12, s18
	s_add_nc_u64 s[18:19], s[48:49], s[84:85]
	scratch_store_b32 off, v9, off offset:72 ; 4-byte Folded Spill
	v_ashrrev_i32_e32 v8, 31, v7
	scratch_store_b32 off, v10, off offset:64 ; 4-byte Folded Spill
	s_wait_alu 0xfffd
	v_add_co_ci_u32_e64 v10, null, s85, v20, vcc_lo
	v_add_co_u32 v9, vcc_lo, s48, v11
	v_lshlrev_b64_e32 v[7:8], 4, v[7:8]
	scratch_store_b32 off, v10, off offset:68 ; 4-byte Folded Spill
	v_ashrrev_i32_e32 v4, 31, v3
	scratch_store_b32 off, v9, off offset:76 ; 4-byte Folded Spill
	s_wait_alu 0xfffd
	v_add_co_ci_u32_e64 v9, null, s49, v12, vcc_lo
	v_lshlrev_b64_e32 v[174:175], 4, v[5:6]
	v_add_nc_u32_e32 v5, v195, v15
	v_lshlrev_b32_e32 v2, 4, v2
	scratch_store_b32 off, v9, off offset:80 ; 4-byte Folded Spill
	s_wait_alu 0xfffe
	v_add_co_u32 v9, vcc_lo, s18, v11
	v_lshlrev_b64_e32 v[3:4], 4, v[3:4]
	s_mul_u64 s[80:81], s[58:59], 48
	s_lshl_b64 s[52:53], s[58:59], 4
	scratch_store_b32 off, v9, off offset:84 ; 4-byte Folded Spill
	s_wait_alu 0xfffd
	v_add_co_ci_u32_e64 v9, null, s19, v12, vcc_lo
	s_add_nc_u64 s[18:19], s[48:49], s[74:75]
	s_lshl_b32 s70, s50, 6
	s_mul_i32 s50, s50, s51
	scratch_store_b32 off, v9, off offset:88 ; 4-byte Folded Spill
	v_add_co_u32 v9, vcc_lo, v19, s62
	s_clause 0x1
	scratch_store_b32 off, v9, off offset:92
	scratch_store_b64 off, v[19:20], off offset:36
	s_wait_alu 0xfffd
	v_add_co_ci_u32_e64 v9, null, s63, v20, vcc_lo
	s_clause 0x3
	scratch_store_b64 off, v[7:8], off offset:20
	scratch_store_b32 off, v5, off offset:28
	scratch_store_b32 off, v2, off offset:4
	;; [unrolled: 1-line block ×3, first 2 shown]
	s_wait_alu 0xfffe
	v_add_co_u32 v9, vcc_lo, s18, v11
	s_lshl_b32 s72, s50, 6
	s_lshl_b64 s[50:51], s[58:59], 6
	s_lshl_b64 s[58:59], s[58:59], 5
	s_clause 0x1
	scratch_store_b32 off, v9, off offset:100
	scratch_store_b64 off, v[3:4], off offset:196
	s_wait_alu 0xfffd
	v_add_co_ci_u32_e64 v9, null, s19, v12, vcc_lo
	s_add_nc_u64 s[18:19], s[80:81], s[76:77]
	s_wait_alu 0xfffe
	s_add_nc_u64 s[76:77], s[58:59], s[48:49]
	s_add_nc_u64 s[58:59], s[78:79], s[58:59]
	scratch_store_b32 off, v9, off offset:104 ; 4-byte Folded Spill
	v_add_co_u32 v9, vcc_lo, s18, v13
	s_add_nc_u64 s[80:81], s[76:77], s[74:75]
	s_add_nc_u64 s[62:63], s[76:77], s[62:63]
	v_mul_i32_i24_e32 v16, 0xffffffd0, v16
	scratch_store_b32 off, v9, off offset:108 ; 4-byte Folded Spill
	s_wait_alu 0xfffd
	v_add_co_ci_u32_e64 v9, null, s19, v14, vcc_lo
	s_add_nc_u64 s[18:19], s[78:79], s[52:53]
	v_add_nc_u32_e32 v187, 0x4700, v22
	v_add_nc_u32_e32 v203, 0x4300, v22
	scratch_store_b32 off, v9, off offset:112 ; 4-byte Folded Spill
	s_wait_alu 0xfffe
	v_add_co_u32 v9, vcc_lo, s18, v11
	s_wait_alu 0xfffd
	v_add_co_ci_u32_e64 v13, null, s19, v12, vcc_lo
	v_add_co_u32 v10, s18, s80, v11
	s_delay_alu instid0(VALU_DEP_3)
	v_or_b32_e32 v9, 8, v9
	scratch_store_b32 off, v13, off offset:116 ; 4-byte Folded Spill
	v_add_nc_u32_e32 v251, v205, v16
	s_sub_nc_u64 s[60:61], 0, s[44:45]
	s_add_co_i32 s69, s30, -2
	scratch_store_b32 off, v9, off offset:120 ; 4-byte Folded Spill
	s_wait_alu 0xf1ff
	v_add_co_ci_u32_e64 v9, null, s81, v12, s18
	s_add_nc_u64 s[18:19], s[82:83], s[52:53]
	s_add_nc_u64 s[80:81], s[76:77], s[84:85]
	s_sub_nc_u64 s[44:45], 0, s[36:37]
	scratch_store_b32 off, v9, off offset:124 ; 4-byte Folded Spill
	v_or_b32_e32 v9, 8, v10
	s_wait_alu 0xfffe
	v_add_co_u32 v10, s18, s18, v11
	s_lshl_b64 s[26:27], s[26:27], 4
	s_lshl_b64 s[22:23], s[22:23], 4
	scratch_store_b32 off, v9, off offset:128 ; 4-byte Folded Spill
	v_add_co_u32 v9, vcc_lo, s80, v11
	s_lshl_b64 s[54:55], s[54:55], 4
	s_lshl_b64 s[56:57], s[56:57], 4
	v_or_b32_e32 v9, 8, v9
	scratch_store_b32 off, v10, off offset:132 ; 4-byte Folded Spill
	v_add_co_ci_u32_e64 v10, null, s19, v12, s18
	s_clause 0x1
	scratch_store_b32 off, v9, off offset:144
	scratch_store_b32 off, v10, off offset:136
	s_wait_alu 0xfffd
	v_add_co_ci_u32_e64 v10, null, s81, v12, vcc_lo
	v_add_co_u32 v9, vcc_lo, s76, v11
	s_add_nc_u64 s[80:81], s[48:49], s[52:53]
	v_or_b32_e32 v9, 8, v9
	scratch_store_b32 off, v10, off offset:140 ; 4-byte Folded Spill
	s_wait_alu 0xfffe
	v_add_co_u32 v10, s18, s80, v11
	s_clause 0x1
	scratch_store_b32 off, v9, off offset:160
	scratch_store_b32 off, v10, off offset:148
	s_wait_alu 0xf1ff
	v_add_co_ci_u32_e64 v10, null, s81, v12, s18
	s_add_nc_u64 s[18:19], s[80:81], s[84:85]
	scratch_store_b32 off, v10, off offset:152 ; 4-byte Folded Spill
	s_wait_alu 0xfffd
	v_add_co_ci_u32_e64 v10, null, s77, v12, vcc_lo
	v_add_co_u32 v9, vcc_lo, s62, v11
	s_delay_alu instid0(VALU_DEP_1)
	v_or_b32_e32 v9, 8, v9
	scratch_store_b32 off, v10, off offset:156 ; 4-byte Folded Spill
	s_wait_alu 0xfffe
	v_add_co_u32 v10, s18, s18, v11
	s_clause 0x1
	scratch_store_b32 off, v9, off offset:176
	scratch_store_b32 off, v10, off offset:164
	s_wait_alu 0xf1ff
	v_add_co_ci_u32_e64 v10, null, s19, v12, s18
	s_add_nc_u64 s[18:19], s[80:81], s[74:75]
	scratch_store_b32 off, v10, off offset:168 ; 4-byte Folded Spill
	s_wait_alu 0xfffd
	v_add_co_ci_u32_e64 v10, null, s63, v12, vcc_lo
	v_add_co_u32 v9, vcc_lo, s58, v11
	s_delay_alu instid0(VALU_DEP_1)
	v_or_b32_e32 v9, 8, v9
	scratch_store_b32 off, v10, off offset:172 ; 4-byte Folded Spill
	s_wait_alu 0xfffe
	v_add_co_u32 v10, s18, s18, v11
	s_clause 0x1
	scratch_store_b32 off, v9, off offset:192
	scratch_store_b32 off, v10, off offset:180
	s_wait_alu 0xf1ff
	v_add_co_ci_u32_e64 v10, null, s19, v12, s18
	scratch_store_b32 off, v10, off offset:184 ; 4-byte Folded Spill
	s_wait_alu 0xfffd
	v_add_co_ci_u32_e64 v10, null, s59, v12, vcc_lo
	s_lshl_b64 s[58:59], s[60:61], 4
	scratch_store_b32 off, v10, off offset:188 ; 4-byte Folded Spill
	s_branch .LBB191_4
.LBB191_2:                              ;   in Loop: Header=BB191_4 Depth=1
	s_wait_alu 0xfffe
	s_or_b32 exec_lo, exec_lo, s18
.LBB191_3:                              ;   in Loop: Header=BB191_4 Depth=1
	s_add_co_i32 s28, s28, 0x10000
	s_delay_alu instid0(SALU_CYCLE_1)
	s_cmp_lt_u32 s28, s33
	s_cbranch_scc0 .LBB191_156
.LBB191_4:                              ; =>This Loop Header: Depth=1
                                        ;     Child Loop BB191_78 Depth 2
	s_and_not1_b32 vcc_lo, exec_lo, s64
	s_mov_b32 s18, -1
	s_wait_alu 0xfffe
	s_cbranch_vccz .LBB191_6
; %bb.5:                                ;   in Loop: Header=BB191_4 Depth=1
	s_and_not1_b32 vcc_lo, exec_lo, s18
	s_wait_alu 0xfffe
	s_cbranch_vccnz .LBB191_3
	s_branch .LBB191_7
.LBB191_6:                              ;   in Loop: Header=BB191_4 Depth=1
	s_and_b32 vcc_lo, exec_lo, s65
	s_cbranch_execnz .LBB191_3
.LBB191_7:                              ;   in Loop: Header=BB191_4 Depth=1
	s_lshl_b64 s[18:19], s[28:29], 3
	scratch_load_b64 v[7:8], off, off offset:20 ; 8-byte Folded Reload
	s_wait_alu 0xfffe
	s_add_nc_u64 s[60:61], s[24:25], s[18:19]
	s_add_nc_u64 s[18:19], s[20:21], s[18:19]
	s_clause 0x1
	global_load_b64 v[2:3], v1, s[60:61]
	global_load_b64 v[5:6], v1, s[18:19]
	s_wait_loadcnt 0x1
	v_add_co_u32 v2, vcc_lo, v2, s26
	s_wait_alu 0xfffd
	v_add_co_ci_u32_e64 v3, null, s27, v3, vcc_lo
	s_delay_alu instid0(VALU_DEP_2) | instskip(SKIP_1) | instid1(VALU_DEP_2)
	v_add_co_u32 v41, vcc_lo, v2, v7
	s_wait_alu 0xfffd
	v_add_co_ci_u32_e64 v42, null, v3, v8, vcc_lo
	s_and_saveexec_b32 s18, s0
	s_cbranch_execz .LBB191_12
; %bb.8:                                ;   in Loop: Header=BB191_4 Depth=1
	s_and_saveexec_b32 s19, s67
	s_wait_alu 0xfffe
	s_xor_b32 s19, exec_lo, s19
; %bb.9:                                ;   in Loop: Header=BB191_4 Depth=1
	v_dual_mov_b32 v2, v1 :: v_dual_mov_b32 v3, v1
	v_mov_b32_e32 v4, v1
	ds_store_b128 v187, v[1:4]
; %bb.10:                               ;   in Loop: Header=BB191_4 Depth=1
	s_wait_alu 0xfffe
	s_and_not1_saveexec_b32 s19, s19
	s_cbranch_execz .LBB191_12
; %bb.11:                               ;   in Loop: Header=BB191_4 Depth=1
	flat_load_b128 v[7:10], v[41:42]
	s_wait_loadcnt_dscnt 0x0
	ds_store_2addr_b64 v187, v[7:8], v[9:10] offset1:1
.LBB191_12:                             ;   in Loop: Header=BB191_4 Depth=1
	s_wait_alu 0xfffe
	s_or_b32 exec_lo, exec_lo, s18
	s_wait_loadcnt 0x0
	v_add_co_u32 v2, vcc_lo, v5, s22
	scratch_load_b64 v[4:5], off, off offset:12 ; 8-byte Folded Reload
	s_wait_alu 0xfffd
	v_add_co_ci_u32_e64 v3, null, s23, v6, vcc_lo
	v_add_co_u32 v2, vcc_lo, v2, s54
	s_mov_b32 s18, -1
	s_wait_alu 0xfffd
	v_add_co_ci_u32_e64 v3, null, s55, v3, vcc_lo
	s_wait_loadcnt 0x0
	v_add_co_u32 v2, vcc_lo, v2, v4
	s_wait_alu 0xfffd
	s_delay_alu instid0(VALU_DEP_2) | instskip(NEXT) | instid1(VALU_DEP_2)
	v_add_co_ci_u32_e64 v3, null, v3, v5, vcc_lo
	v_add_co_u32 v5, vcc_lo, v2, s56
	s_wait_alu 0xfffd
	s_delay_alu instid0(VALU_DEP_2)
	v_add_co_ci_u32_e64 v6, null, s57, v3, vcc_lo
	s_and_b32 vcc_lo, exec_lo, s66
                                        ; implicit-def: $vgpr2_vgpr3
	s_wait_alu 0xfffe
	s_cbranch_vccz .LBB191_24
; %bb.13:                               ;   in Loop: Header=BB191_4 Depth=1
	s_and_saveexec_b32 s18, s2
	s_wait_alu 0xfffe
	s_xor_b32 s18, exec_lo, s18
; %bb.14:                               ;   in Loop: Header=BB191_4 Depth=1
	v_dual_mov_b32 v2, v1 :: v_dual_mov_b32 v3, v1
	v_mov_b32_e32 v4, v1
	ds_store_b128 v188, v[1:4]
; %bb.15:                               ;   in Loop: Header=BB191_4 Depth=1
	s_wait_alu 0xfffe
	s_or_saveexec_b32 s18, s18
	v_add_co_u32 v2, vcc_lo, v5, v174
	s_wait_alu 0xfffd
	v_add_co_ci_u32_e64 v3, null, v6, v175, vcc_lo
	s_lshl_b64 s[60:61], s[36:37], 4
	s_wait_alu 0xfffe
	v_add_co_u32 v2, vcc_lo, v2, s60
	s_wait_alu 0xfffd
	v_add_co_ci_u32_e64 v3, null, s61, v3, vcc_lo
	s_delay_alu instid0(VALU_DEP_2) | instskip(SKIP_1) | instid1(VALU_DEP_2)
	v_add_co_u32 v2, vcc_lo, v2, -16
	s_wait_alu 0xfffd
	v_add_co_ci_u32_e64 v3, null, -1, v3, vcc_lo
	s_delay_alu instid0(VALU_DEP_2) | instskip(NEXT) | instid1(VALU_DEP_2)
	v_cndmask_b32_e64 v7, v2, v5, s1
	v_cndmask_b32_e64 v8, v3, v6, s1
	s_xor_b32 exec_lo, exec_lo, s18
	s_cbranch_execnz .LBB191_138
; %bb.16:                               ;   in Loop: Header=BB191_4 Depth=1
	s_or_b32 exec_lo, exec_lo, s18
	s_and_saveexec_b32 s18, s3
	s_wait_alu 0xfffe
	s_xor_b32 s18, exec_lo, s18
	s_cbranch_execnz .LBB191_139
.LBB191_17:                             ;   in Loop: Header=BB191_4 Depth=1
	s_wait_alu 0xfffe
	s_and_not1_saveexec_b32 s18, s18
	s_cbranch_execnz .LBB191_140
.LBB191_18:                             ;   in Loop: Header=BB191_4 Depth=1
	s_wait_alu 0xfffe
	s_or_b32 exec_lo, exec_lo, s18
	s_and_saveexec_b32 s18, s4
	s_wait_alu 0xfffe
	s_xor_b32 s18, exec_lo, s18
	s_cbranch_execnz .LBB191_141
.LBB191_19:                             ;   in Loop: Header=BB191_4 Depth=1
	s_wait_alu 0xfffe
	s_and_not1_saveexec_b32 s18, s18
	s_cbranch_execnz .LBB191_142
.LBB191_20:                             ;   in Loop: Header=BB191_4 Depth=1
	s_wait_alu 0xfffe
	s_or_b32 exec_lo, exec_lo, s18
	s_and_saveexec_b32 s18, s5
	s_wait_alu 0xfffe
	s_xor_b32 s18, exec_lo, s18
	s_cbranch_execnz .LBB191_143
.LBB191_21:                             ;   in Loop: Header=BB191_4 Depth=1
	s_wait_alu 0xfffe
	s_and_not1_saveexec_b32 s18, s18
	s_cbranch_execz .LBB191_23
.LBB191_22:                             ;   in Loop: Header=BB191_4 Depth=1
	s_lshl_b64 s[60:61], s[42:43], 4
	s_wait_alu 0xfffe
	v_add_co_u32 v2, vcc_lo, v7, s60
	s_wait_alu 0xfffd
	v_add_co_ci_u32_e64 v3, null, s61, v8, vcc_lo
	flat_load_b128 v[9:12], v[2:3]
	v_add_nc_u32_e32 v2, 0x3180, v188
	s_wait_loadcnt_dscnt 0x0
	ds_store_2addr_b64 v2, v[9:10], v[11:12] offset1:1
.LBB191_23:                             ;   in Loop: Header=BB191_4 Depth=1
	s_wait_alu 0xfffe
	s_or_b32 exec_lo, exec_lo, s18
	scratch_load_b32 v2, off, off offset:4  ; 4-byte Folded Reload
	s_lshl_b64 s[18:19], s[44:45], 4
	s_wait_loadcnt 0x0
	v_add_co_u32 v2, vcc_lo, v7, v2
	s_wait_alu 0xfffd
	v_add_co_ci_u32_e64 v3, null, 0, v8, vcc_lo
	s_wait_alu 0xfffe
	s_delay_alu instid0(VALU_DEP_2) | instskip(SKIP_1) | instid1(VALU_DEP_2)
	v_add_co_u32 v2, vcc_lo, v2, s18
	s_wait_alu 0xfffd
	v_add_co_ci_u32_e64 v3, null, s19, v3, vcc_lo
	s_mov_b32 s18, 0
	v_add_co_u32 v2, vcc_lo, v2, 16
	s_wait_alu 0xfffd
	v_add_co_ci_u32_e64 v3, null, 0, v3, vcc_lo
	s_delay_alu instid0(VALU_DEP_2) | instskip(NEXT) | instid1(VALU_DEP_2)
	v_cndmask_b32_e64 v2, v2, v5, s1
	v_cndmask_b32_e64 v3, v3, v6, s1
.LBB191_24:                             ;   in Loop: Header=BB191_4 Depth=1
	s_wait_alu 0xfffe
	s_and_b32 vcc_lo, exec_lo, s18
	s_wait_alu 0xfffe
	s_cbranch_vccz .LBB191_26
; %bb.25:                               ;   in Loop: Header=BB191_4 Depth=1
	flat_load_b128 v[7:10], v[5:6]
	s_lshl_b64 s[18:19], s[38:39], 4
	v_add_nc_u32_e32 v4, 0x1080, v188
	s_wait_alu 0xfffe
	v_add_co_u32 v2, vcc_lo, v5, s18
	s_wait_alu 0xfffd
	v_add_co_ci_u32_e64 v3, null, s19, v6, vcc_lo
	s_wait_loadcnt_dscnt 0x0
	ds_store_2addr_b64 v188, v[7:8], v[9:10] offset1:1
	flat_load_b128 v[7:10], v[2:3]
	v_add_co_u32 v2, vcc_lo, v2, s46
	s_wait_alu 0xfffd
	v_add_co_ci_u32_e64 v3, null, s47, v3, vcc_lo
	s_wait_loadcnt_dscnt 0x0
	ds_store_2addr_b64 v4, v[7:8], v[9:10] offset1:1
	flat_load_b128 v[7:10], v[2:3]
	v_add_co_u32 v2, vcc_lo, v2, s46
	v_add_nc_u32_e32 v4, 0x2100, v188
	s_wait_alu 0xfffd
	v_add_co_ci_u32_e64 v3, null, s47, v3, vcc_lo
	s_wait_loadcnt_dscnt 0x0
	ds_store_2addr_b64 v4, v[7:8], v[9:10] offset1:1
	flat_load_b128 v[7:10], v[2:3]
	v_dual_mov_b32 v2, v5 :: v_dual_mov_b32 v3, v6
	v_add_nc_u32_e32 v4, 0x3180, v188
	s_wait_loadcnt_dscnt 0x0
	ds_store_2addr_b64 v4, v[7:8], v[9:10] offset1:1
.LBB191_26:                             ;   in Loop: Header=BB191_4 Depth=1
	s_wait_storecnt_dscnt 0x0
	s_barrier_signal -1
	s_barrier_wait -1
	global_inv scope:SCOPE_SE
	s_and_saveexec_b32 s18, s6
	s_cbranch_execnz .LBB191_132
; %bb.27:                               ;   in Loop: Header=BB191_4 Depth=1
	s_wait_alu 0xfffe
	s_or_b32 exec_lo, exec_lo, s18
	s_and_saveexec_b32 s18, s7
	s_cbranch_execnz .LBB191_133
.LBB191_28:                             ;   in Loop: Header=BB191_4 Depth=1
	s_wait_alu 0xfffe
	s_or_b32 exec_lo, exec_lo, s18
	s_and_saveexec_b32 s18, s8
	s_cbranch_execnz .LBB191_134
.LBB191_29:                             ;   in Loop: Header=BB191_4 Depth=1
	s_wait_alu 0xfffe
	s_or_b32 exec_lo, exec_lo, s18
	s_and_saveexec_b32 s18, s9
	s_cbranch_execz .LBB191_31
.LBB191_30:                             ;   in Loop: Header=BB191_4 Depth=1
	scratch_load_b32 v8, off, off           ; 4-byte Folded Reload
	v_add_nc_u32_e32 v4, 0x420, v208
	ds_load_b128 v[4:7], v4
	s_wait_loadcnt 0x0
	v_add_nc_u32_e32 v8, 48, v8
	s_wait_dscnt 0x0
	ds_store_b128 v8, v[4:7]
.LBB191_31:                             ;   in Loop: Header=BB191_4 Depth=1
	s_wait_alu 0xfffe
	s_or_b32 exec_lo, exec_lo, s18
	s_wait_loadcnt_dscnt 0x0
	s_barrier_signal -1
	s_barrier_wait -1
	global_inv scope:SCOPE_SE
	ds_load_b128 v[4:7], v250
	ds_load_b128 v[8:11], v186
	ds_load_b128 v[12:15], v186 offset:16
	ds_load_b128 v[16:19], v208
	v_add_nc_u32_e32 v22, 0x420, v208
	s_wait_dscnt 0x2
	v_mul_f64_e32 v[20:21], v[10:11], v[6:7]
	v_mul_f64_e32 v[6:7], v[8:9], v[6:7]
	s_wait_dscnt 0x0
	v_mul_f64_e32 v[26:27], v[14:15], v[18:19]
	v_mul_f64_e32 v[28:29], v[12:13], v[18:19]
	s_delay_alu instid0(VALU_DEP_4) | instskip(NEXT) | instid1(VALU_DEP_4)
	v_fma_f64 v[30:31], v[8:9], v[4:5], -v[20:21]
	v_fma_f64 v[32:33], v[10:11], v[4:5], v[6:7]
	v_add_nc_u32_e32 v4, 0x210, v208
	ds_load_b128 v[4:7], v4
	ds_load_b128 v[8:11], v186 offset:32
	ds_load_b128 v[18:21], v186 offset:48
	v_fma_f64 v[12:13], v[12:13], v[16:17], -v[26:27]
	v_fma_f64 v[14:15], v[14:15], v[16:17], v[28:29]
	ds_load_b128 v[22:25], v22
	s_wait_loadcnt_dscnt 0x0
	s_barrier_signal -1
	s_barrier_wait -1
	global_inv scope:SCOPE_SE
	v_mul_f64_e32 v[34:35], v[10:11], v[6:7]
	v_mul_f64_e32 v[6:7], v[8:9], v[6:7]
	;; [unrolled: 1-line block ×4, first 2 shown]
	v_add_f64_e32 v[16:17], 0, v[30:31]
	v_add_f64_e32 v[26:27], 0, v[32:33]
	v_fma_f64 v[8:9], v[8:9], v[4:5], -v[34:35]
	v_fma_f64 v[4:5], v[10:11], v[4:5], v[6:7]
	s_delay_alu instid0(VALU_DEP_4) | instskip(NEXT) | instid1(VALU_DEP_4)
	v_add_f64_e32 v[6:7], v[16:17], v[12:13]
	v_add_f64_e32 v[10:11], v[26:27], v[14:15]
	v_fma_f64 v[12:13], v[18:19], v[22:23], -v[28:29]
	v_fma_f64 v[14:15], v[20:21], v[22:23], v[24:25]
	s_delay_alu instid0(VALU_DEP_4) | instskip(NEXT) | instid1(VALU_DEP_4)
	v_add_f64_e32 v[6:7], v[6:7], v[8:9]
	v_add_f64_e32 v[4:5], v[10:11], v[4:5]
	s_delay_alu instid0(VALU_DEP_2) | instskip(NEXT) | instid1(VALU_DEP_2)
	v_add_f64_e32 v[9:10], v[6:7], v[12:13]
	v_add_f64_e32 v[11:12], v[4:5], v[14:15]
	v_mov_b32_e32 v5, 0
	v_dual_mov_b32 v7, 0 :: v_dual_mov_b32 v6, 0
	v_mov_b32_e32 v8, 0
	ds_store_b128 v252, v[9:12]
	s_wait_loadcnt_dscnt 0x0
	s_barrier_signal -1
	s_barrier_wait -1
	global_inv scope:SCOPE_SE
	s_and_saveexec_b32 s18, s10
	s_cbranch_execz .LBB191_33
; %bb.32:                               ;   in Loop: Header=BB191_4 Depth=1
	ds_load_b128 v[4:7], v196
	ds_load_b128 v[8:11], v196 offset:16
	s_wait_dscnt 0x0
	v_add_f64_e32 v[12:13], v[8:9], v[4:5]
	v_add_f64_e32 v[14:15], v[10:11], v[6:7]
	ds_load_b128 v[4:7], v196 offset:32
	ds_load_b128 v[8:11], v196 offset:48
	s_wait_dscnt 0x1
	v_add_f64_e32 v[4:5], v[12:13], v[4:5]
	v_add_f64_e32 v[6:7], v[14:15], v[6:7]
	s_wait_dscnt 0x0
	s_delay_alu instid0(VALU_DEP_2) | instskip(NEXT) | instid1(VALU_DEP_2)
	v_add_f64_e32 v[12:13], v[4:5], v[8:9]
	v_add_f64_e32 v[14:15], v[6:7], v[10:11]
	ds_load_b128 v[4:7], v196 offset:64
	ds_load_b128 v[8:11], v196 offset:80
	s_wait_dscnt 0x1
	v_add_f64_e32 v[4:5], v[12:13], v[4:5]
	v_add_f64_e32 v[6:7], v[14:15], v[6:7]
	s_wait_dscnt 0x0
	s_delay_alu instid0(VALU_DEP_2) | instskip(NEXT) | instid1(VALU_DEP_2)
	;; [unrolled: 9-line block ×3, first 2 shown]
	v_add_f64_e32 v[5:6], v[4:5], v[8:9]
	v_add_f64_e32 v[7:8], v[12:13], v[10:11]
.LBB191_33:                             ;   in Loop: Header=BB191_4 Depth=1
	s_wait_alu 0xfffe
	s_or_b32 exec_lo, exec_lo, s18
	v_add_co_u32 v13, vcc_lo, v2, s48
	s_wait_alu 0xfffd
	v_add_co_ci_u32_e64 v14, null, s49, v3, vcc_lo
	s_mov_b32 s18, -1
	v_add_co_u32 v11, vcc_lo, 0x200, v13
	s_wait_alu 0xfffd
	v_add_co_ci_u32_e64 v12, null, 0, v14, vcc_lo
	s_and_b32 vcc_lo, exec_lo, s66
	s_wait_loadcnt 0x0
	s_barrier_signal -1
	s_barrier_wait -1
	global_inv scope:SCOPE_SE
                                        ; implicit-def: $vgpr9_vgpr10
	s_wait_alu 0xfffe
	s_cbranch_vccz .LBB191_45
; %bb.34:                               ;   in Loop: Header=BB191_4 Depth=1
	s_and_saveexec_b32 s18, s12
	s_wait_alu 0xfffe
	s_xor_b32 s18, exec_lo, s18
; %bb.35:                               ;   in Loop: Header=BB191_4 Depth=1
	v_dual_mov_b32 v2, v1 :: v_dual_mov_b32 v3, v1
	v_mov_b32_e32 v4, v1
	ds_store_b128 v188, v[1:4]
; %bb.36:                               ;   in Loop: Header=BB191_4 Depth=1
	s_wait_alu 0xfffe
	s_or_saveexec_b32 s18, s18
	v_add_co_u32 v2, vcc_lo, v13, v174
	s_wait_alu 0xfffd
	v_add_co_ci_u32_e64 v3, null, v14, v175, vcc_lo
	s_lshl_b64 s[60:61], s[36:37], 4
	s_wait_alu 0xfffe
	v_add_co_u32 v2, vcc_lo, v2, s60
	s_wait_alu 0xfffd
	v_add_co_ci_u32_e64 v3, null, s61, v3, vcc_lo
	s_delay_alu instid0(VALU_DEP_2) | instskip(SKIP_1) | instid1(VALU_DEP_2)
	v_add_co_u32 v2, vcc_lo, v2, -16
	s_wait_alu 0xfffd
	v_add_co_ci_u32_e64 v3, null, -1, v3, vcc_lo
	s_delay_alu instid0(VALU_DEP_2) | instskip(NEXT) | instid1(VALU_DEP_2)
	v_cndmask_b32_e64 v9, v2, v11, s11
	v_cndmask_b32_e64 v10, v3, v12, s11
	s_xor_b32 exec_lo, exec_lo, s18
	s_cbranch_execnz .LBB191_144
; %bb.37:                               ;   in Loop: Header=BB191_4 Depth=1
	s_or_b32 exec_lo, exec_lo, s18
	s_and_saveexec_b32 s18, s13
	s_wait_alu 0xfffe
	s_xor_b32 s18, exec_lo, s18
	s_cbranch_execnz .LBB191_145
.LBB191_38:                             ;   in Loop: Header=BB191_4 Depth=1
	s_wait_alu 0xfffe
	s_and_not1_saveexec_b32 s18, s18
	s_cbranch_execnz .LBB191_146
.LBB191_39:                             ;   in Loop: Header=BB191_4 Depth=1
	s_wait_alu 0xfffe
	s_or_b32 exec_lo, exec_lo, s18
	s_and_saveexec_b32 s18, s14
	s_wait_alu 0xfffe
	s_xor_b32 s18, exec_lo, s18
	s_cbranch_execnz .LBB191_147
.LBB191_40:                             ;   in Loop: Header=BB191_4 Depth=1
	s_wait_alu 0xfffe
	s_and_not1_saveexec_b32 s18, s18
	s_cbranch_execnz .LBB191_148
.LBB191_41:                             ;   in Loop: Header=BB191_4 Depth=1
	s_wait_alu 0xfffe
	s_or_b32 exec_lo, exec_lo, s18
	s_and_saveexec_b32 s18, s15
	s_wait_alu 0xfffe
	s_xor_b32 s18, exec_lo, s18
	s_cbranch_execnz .LBB191_149
.LBB191_42:                             ;   in Loop: Header=BB191_4 Depth=1
	s_wait_alu 0xfffe
	s_and_not1_saveexec_b32 s18, s18
	s_cbranch_execz .LBB191_44
.LBB191_43:                             ;   in Loop: Header=BB191_4 Depth=1
	s_lshl_b64 s[60:61], s[42:43], 4
	s_wait_alu 0xfffe
	v_add_co_u32 v2, vcc_lo, v9, s60
	s_wait_alu 0xfffd
	v_add_co_ci_u32_e64 v3, null, s61, v10, vcc_lo
	flat_load_b128 v[15:18], v[2:3]
	v_add_nc_u32_e32 v2, 0x3180, v188
	s_wait_loadcnt_dscnt 0x0
	ds_store_2addr_b64 v2, v[15:16], v[17:18] offset1:1
.LBB191_44:                             ;   in Loop: Header=BB191_4 Depth=1
	s_wait_alu 0xfffe
	s_or_b32 exec_lo, exec_lo, s18
	scratch_load_b32 v2, off, off offset:4  ; 4-byte Folded Reload
	s_lshl_b64 s[18:19], s[44:45], 4
	s_wait_loadcnt 0x0
	v_add_co_u32 v2, vcc_lo, v9, v2
	s_wait_alu 0xfffd
	v_add_co_ci_u32_e64 v3, null, 0, v10, vcc_lo
	s_wait_alu 0xfffe
	s_delay_alu instid0(VALU_DEP_2) | instskip(SKIP_1) | instid1(VALU_DEP_2)
	v_add_co_u32 v2, vcc_lo, v2, s18
	s_wait_alu 0xfffd
	v_add_co_ci_u32_e64 v3, null, s19, v3, vcc_lo
	s_mov_b32 s18, 0
	v_add_co_u32 v2, vcc_lo, 0x210, v2
	s_wait_alu 0xfffd
	v_add_co_ci_u32_e64 v3, null, 0, v3, vcc_lo
	s_delay_alu instid0(VALU_DEP_2) | instskip(NEXT) | instid1(VALU_DEP_2)
	v_cndmask_b32_e64 v9, v2, v11, s11
	v_cndmask_b32_e64 v10, v3, v12, s11
.LBB191_45:                             ;   in Loop: Header=BB191_4 Depth=1
	s_wait_alu 0xfffe
	s_and_b32 vcc_lo, exec_lo, s18
	s_wait_alu 0xfffe
	s_cbranch_vccz .LBB191_47
; %bb.46:                               ;   in Loop: Header=BB191_4 Depth=1
	flat_load_b128 v[15:18], v[11:12]
	s_lshl_b64 s[18:19], s[38:39], 4
	v_dual_mov_b32 v9, v11 :: v_dual_add_nc_u32 v4, 0x1080, v188
	s_wait_alu 0xfffe
	v_add_co_u32 v2, vcc_lo, v13, s18
	s_wait_alu 0xfffd
	v_add_co_ci_u32_e64 v3, null, s19, v14, vcc_lo
	v_mov_b32_e32 v10, v12
	s_wait_loadcnt_dscnt 0x0
	ds_store_2addr_b64 v188, v[15:16], v[17:18] offset1:1
	flat_load_b128 v[13:16], v[2:3] offset:512
	v_add_co_u32 v2, vcc_lo, v2, s46
	s_wait_alu 0xfffd
	v_add_co_ci_u32_e64 v3, null, s47, v3, vcc_lo
	s_wait_loadcnt_dscnt 0x0
	ds_store_2addr_b64 v4, v[13:14], v[15:16] offset1:1
	flat_load_b128 v[13:16], v[2:3] offset:512
	v_add_co_u32 v2, vcc_lo, v2, s46
	v_add_nc_u32_e32 v4, 0x2100, v188
	s_wait_alu 0xfffd
	v_add_co_ci_u32_e64 v3, null, s47, v3, vcc_lo
	s_wait_loadcnt_dscnt 0x0
	ds_store_2addr_b64 v4, v[13:14], v[15:16] offset1:1
	flat_load_b128 v[13:16], v[2:3] offset:512
	v_add_nc_u32_e32 v2, 0x3180, v188
	s_wait_loadcnt_dscnt 0x0
	ds_store_2addr_b64 v2, v[13:14], v[15:16] offset1:1
.LBB191_47:                             ;   in Loop: Header=BB191_4 Depth=1
	s_wait_loadcnt_dscnt 0x0
	s_barrier_signal -1
	s_barrier_wait -1
	global_inv scope:SCOPE_SE
	s_and_saveexec_b32 s18, s6
	s_cbranch_execnz .LBB191_135
; %bb.48:                               ;   in Loop: Header=BB191_4 Depth=1
	s_wait_alu 0xfffe
	s_or_b32 exec_lo, exec_lo, s18
	s_and_saveexec_b32 s18, s7
	s_cbranch_execnz .LBB191_136
.LBB191_49:                             ;   in Loop: Header=BB191_4 Depth=1
	s_wait_alu 0xfffe
	s_or_b32 exec_lo, exec_lo, s18
	s_and_saveexec_b32 s18, s8
	s_cbranch_execnz .LBB191_137
.LBB191_50:                             ;   in Loop: Header=BB191_4 Depth=1
	s_wait_alu 0xfffe
	s_or_b32 exec_lo, exec_lo, s18
	s_and_saveexec_b32 s18, s9
	s_cbranch_execz .LBB191_52
.LBB191_51:                             ;   in Loop: Header=BB191_4 Depth=1
	v_add_nc_u32_e32 v2, 0x420, v208
	ds_load_b128 v[11:14], v2
	v_add_nc_u32_e32 v2, 48, v195
	s_wait_dscnt 0x0
	ds_store_b128 v2, v[11:14]
.LBB191_52:                             ;   in Loop: Header=BB191_4 Depth=1
	s_wait_alu 0xfffe
	s_or_b32 exec_lo, exec_lo, s18
	s_wait_loadcnt_dscnt 0x0
	s_barrier_signal -1
	s_barrier_wait -1
	global_inv scope:SCOPE_SE
	ds_load_b128 v[11:14], v250
	ds_load_b128 v[15:18], v186 offset:512
	ds_load_b128 v[19:22], v186 offset:528
	ds_load_b128 v[23:26], v208
	v_add_nc_u32_e32 v4, 0x210, v208
	s_wait_dscnt 0x2
	v_mul_f64_e32 v[2:3], v[17:18], v[13:14]
	v_mul_f64_e32 v[13:14], v[15:16], v[13:14]
	s_wait_dscnt 0x0
	v_mul_f64_e32 v[33:34], v[21:22], v[25:26]
	v_mul_f64_e32 v[35:36], v[19:20], v[25:26]
	s_delay_alu instid0(VALU_DEP_4) | instskip(NEXT) | instid1(VALU_DEP_4)
	v_fma_f64 v[2:3], v[15:16], v[11:12], -v[2:3]
	v_fma_f64 v[37:38], v[17:18], v[11:12], v[13:14]
	ds_load_b128 v[11:14], v4
	ds_load_b128 v[15:18], v186 offset:544
	ds_load_b128 v[25:28], v186 offset:560
	v_fma_f64 v[19:20], v[19:20], v[23:24], -v[33:34]
	v_fma_f64 v[21:22], v[21:22], v[23:24], v[35:36]
	v_add_nc_u32_e32 v4, 0x420, v208
	ds_load_b128 v[29:32], v4
	s_wait_loadcnt_dscnt 0x0
	s_barrier_signal -1
	s_barrier_wait -1
	global_inv scope:SCOPE_SE
	v_mul_f64_e32 v[39:40], v[17:18], v[13:14]
	v_mul_f64_e32 v[13:14], v[15:16], v[13:14]
	;; [unrolled: 1-line block ×4, first 2 shown]
	v_add_f64_e32 v[2:3], 0, v[2:3]
	v_add_f64_e32 v[23:24], 0, v[37:38]
	v_fma_f64 v[15:16], v[15:16], v[11:12], -v[39:40]
	v_fma_f64 v[11:12], v[17:18], v[11:12], v[13:14]
	v_fma_f64 v[17:18], v[25:26], v[29:30], -v[33:34]
	v_add_f64_e32 v[2:3], v[2:3], v[19:20]
	v_add_f64_e32 v[13:14], v[23:24], v[21:22]
	v_fma_f64 v[19:20], v[27:28], v[29:30], v[31:32]
	s_delay_alu instid0(VALU_DEP_3) | instskip(NEXT) | instid1(VALU_DEP_3)
	v_add_f64_e32 v[2:3], v[2:3], v[15:16]
	v_add_f64_e32 v[13:14], v[13:14], v[11:12]
	s_delay_alu instid0(VALU_DEP_2) | instskip(NEXT) | instid1(VALU_DEP_2)
	v_add_f64_e32 v[11:12], v[2:3], v[17:18]
	v_add_f64_e32 v[13:14], v[13:14], v[19:20]
	ds_store_b128 v252, v[11:14]
	s_wait_loadcnt_dscnt 0x0
	s_barrier_signal -1
	s_barrier_wait -1
	global_inv scope:SCOPE_SE
	s_and_saveexec_b32 s18, s16
	s_cbranch_execz .LBB191_54
; %bb.53:                               ;   in Loop: Header=BB191_4 Depth=1
	ds_load_b128 v[2:5], v196
	ds_load_b128 v[11:14], v196 offset:16
	s_wait_dscnt 0x0
	v_add_f64_e32 v[6:7], v[11:12], v[2:3]
	v_add_f64_e32 v[15:16], v[13:14], v[4:5]
	ds_load_b128 v[2:5], v196 offset:32
	ds_load_b128 v[11:14], v196 offset:48
	s_wait_dscnt 0x1
	v_add_f64_e32 v[2:3], v[6:7], v[2:3]
	v_add_f64_e32 v[4:5], v[15:16], v[4:5]
	s_wait_dscnt 0x0
	s_delay_alu instid0(VALU_DEP_2) | instskip(NEXT) | instid1(VALU_DEP_2)
	v_add_f64_e32 v[6:7], v[2:3], v[11:12]
	v_add_f64_e32 v[15:16], v[4:5], v[13:14]
	ds_load_b128 v[2:5], v196 offset:64
	ds_load_b128 v[11:14], v196 offset:80
	s_wait_dscnt 0x1
	v_add_f64_e32 v[2:3], v[6:7], v[2:3]
	v_add_f64_e32 v[4:5], v[15:16], v[4:5]
	s_wait_dscnt 0x0
	s_delay_alu instid0(VALU_DEP_2) | instskip(NEXT) | instid1(VALU_DEP_2)
	;; [unrolled: 9-line block ×3, first 2 shown]
	v_add_f64_e32 v[5:6], v[2:3], v[11:12]
	v_add_f64_e32 v[7:8], v[7:8], v[13:14]
.LBB191_54:                             ;   in Loop: Header=BB191_4 Depth=1
	s_wait_alu 0xfffe
	s_or_b32 exec_lo, exec_lo, s18
	v_add_co_u32 v11, vcc_lo, 0xfffffe00, v9
	s_wait_alu 0xfffd
	v_add_co_ci_u32_e64 v12, null, -1, v10, vcc_lo
	s_and_b32 vcc_lo, exec_lo, s66
	s_mov_b32 s18, -1
	s_wait_loadcnt 0x0
	s_barrier_signal -1
	s_barrier_wait -1
	global_inv scope:SCOPE_SE
                                        ; implicit-def: $vgpr2_vgpr3
	s_wait_alu 0xfffe
	s_cbranch_vccz .LBB191_66
; %bb.55:                               ;   in Loop: Header=BB191_4 Depth=1
	s_and_saveexec_b32 s18, s12
	s_wait_alu 0xfffe
	s_xor_b32 s18, exec_lo, s18
; %bb.56:                               ;   in Loop: Header=BB191_4 Depth=1
	v_dual_mov_b32 v2, v1 :: v_dual_mov_b32 v3, v1
	v_mov_b32_e32 v4, v1
	ds_store_b128 v188, v[1:4]
; %bb.57:                               ;   in Loop: Header=BB191_4 Depth=1
	s_wait_alu 0xfffe
	s_or_saveexec_b32 s18, s18
	v_add_co_u32 v2, vcc_lo, v9, v174
	s_wait_alu 0xfffd
	v_add_co_ci_u32_e64 v3, null, v10, v175, vcc_lo
	s_lshl_b64 s[60:61], s[36:37], 4
	s_wait_alu 0xfffe
	v_add_co_u32 v2, vcc_lo, v2, s60
	s_wait_alu 0xfffd
	v_add_co_ci_u32_e64 v3, null, s61, v3, vcc_lo
	s_delay_alu instid0(VALU_DEP_2) | instskip(SKIP_1) | instid1(VALU_DEP_2)
	v_add_co_u32 v2, vcc_lo, 0xfffffdf0, v2
	s_wait_alu 0xfffd
	v_add_co_ci_u32_e64 v3, null, -1, v3, vcc_lo
	s_delay_alu instid0(VALU_DEP_2) | instskip(NEXT) | instid1(VALU_DEP_2)
	v_cndmask_b32_e64 v13, v2, v11, s1
	v_cndmask_b32_e64 v14, v3, v12, s1
	s_xor_b32 exec_lo, exec_lo, s18
	s_cbranch_execnz .LBB191_150
; %bb.58:                               ;   in Loop: Header=BB191_4 Depth=1
	s_or_b32 exec_lo, exec_lo, s18
	s_and_saveexec_b32 s18, s13
	s_wait_alu 0xfffe
	s_xor_b32 s18, exec_lo, s18
	s_cbranch_execnz .LBB191_151
.LBB191_59:                             ;   in Loop: Header=BB191_4 Depth=1
	s_wait_alu 0xfffe
	s_and_not1_saveexec_b32 s18, s18
	s_cbranch_execnz .LBB191_152
.LBB191_60:                             ;   in Loop: Header=BB191_4 Depth=1
	s_wait_alu 0xfffe
	s_or_b32 exec_lo, exec_lo, s18
	s_and_saveexec_b32 s18, s14
	s_wait_alu 0xfffe
	s_xor_b32 s18, exec_lo, s18
	s_cbranch_execnz .LBB191_153
.LBB191_61:                             ;   in Loop: Header=BB191_4 Depth=1
	s_wait_alu 0xfffe
	s_and_not1_saveexec_b32 s18, s18
	s_cbranch_execnz .LBB191_154
.LBB191_62:                             ;   in Loop: Header=BB191_4 Depth=1
	s_wait_alu 0xfffe
	s_or_b32 exec_lo, exec_lo, s18
	s_and_saveexec_b32 s18, s15
	s_wait_alu 0xfffe
	s_xor_b32 s18, exec_lo, s18
	s_cbranch_execnz .LBB191_155
.LBB191_63:                             ;   in Loop: Header=BB191_4 Depth=1
	s_wait_alu 0xfffe
	s_and_not1_saveexec_b32 s18, s18
	s_cbranch_execz .LBB191_65
.LBB191_64:                             ;   in Loop: Header=BB191_4 Depth=1
	s_lshl_b64 s[60:61], s[42:43], 4
	s_wait_alu 0xfffe
	v_add_co_u32 v2, vcc_lo, v13, s60
	s_wait_alu 0xfffd
	v_add_co_ci_u32_e64 v3, null, s61, v14, vcc_lo
	flat_load_b128 v[15:18], v[2:3]
	v_add_nc_u32_e32 v2, 0x3180, v188
	s_wait_loadcnt_dscnt 0x0
	ds_store_2addr_b64 v2, v[15:16], v[17:18] offset1:1
.LBB191_65:                             ;   in Loop: Header=BB191_4 Depth=1
	s_wait_alu 0xfffe
	s_or_b32 exec_lo, exec_lo, s18
	scratch_load_b32 v2, off, off offset:4  ; 4-byte Folded Reload
	s_lshl_b64 s[18:19], s[44:45], 4
	s_wait_loadcnt 0x0
	v_add_co_u32 v2, vcc_lo, v13, v2
	s_wait_alu 0xfffd
	v_add_co_ci_u32_e64 v3, null, 0, v14, vcc_lo
	s_wait_alu 0xfffe
	s_delay_alu instid0(VALU_DEP_2) | instskip(SKIP_1) | instid1(VALU_DEP_2)
	v_add_co_u32 v2, vcc_lo, v2, s18
	s_wait_alu 0xfffd
	v_add_co_ci_u32_e64 v3, null, s19, v3, vcc_lo
	s_mov_b32 s18, 0
	v_add_co_u32 v2, vcc_lo, v2, 16
	s_wait_alu 0xfffd
	v_add_co_ci_u32_e64 v3, null, 0, v3, vcc_lo
	s_delay_alu instid0(VALU_DEP_2) | instskip(NEXT) | instid1(VALU_DEP_2)
	v_cndmask_b32_e64 v2, v2, v11, s1
	v_cndmask_b32_e64 v3, v3, v12, s1
.LBB191_66:                             ;   in Loop: Header=BB191_4 Depth=1
	s_wait_alu 0xfffe
	s_and_b32 vcc_lo, exec_lo, s18
	s_wait_alu 0xfffe
	s_cbranch_vccz .LBB191_68
; %bb.67:                               ;   in Loop: Header=BB191_4 Depth=1
	flat_load_b128 v[13:16], v[11:12]
	s_lshl_b64 s[18:19], s[38:39], 4
	v_add_nc_u32_e32 v4, 0x1080, v188
	s_wait_alu 0xfffe
	v_add_co_u32 v2, vcc_lo, v9, s18
	s_wait_alu 0xfffd
	v_add_co_ci_u32_e64 v3, null, s19, v10, vcc_lo
	s_wait_loadcnt_dscnt 0x0
	ds_store_2addr_b64 v188, v[13:14], v[15:16] offset1:1
	flat_load_b128 v[13:16], v[2:3] offset:-512
	v_add_co_u32 v2, vcc_lo, v2, s46
	s_wait_alu 0xfffd
	v_add_co_ci_u32_e64 v3, null, s47, v3, vcc_lo
	s_wait_loadcnt_dscnt 0x0
	ds_store_2addr_b64 v4, v[13:14], v[15:16] offset1:1
	flat_load_b128 v[13:16], v[2:3] offset:-512
	v_add_co_u32 v2, vcc_lo, v2, s46
	v_add_nc_u32_e32 v4, 0x2100, v188
	s_wait_alu 0xfffd
	v_add_co_ci_u32_e64 v3, null, s47, v3, vcc_lo
	s_wait_loadcnt_dscnt 0x0
	ds_store_2addr_b64 v4, v[13:14], v[15:16] offset1:1
	flat_load_b128 v[13:16], v[2:3] offset:-512
	v_dual_mov_b32 v2, v11 :: v_dual_mov_b32 v3, v12
	v_add_nc_u32_e32 v4, 0x3180, v188
	s_wait_loadcnt_dscnt 0x0
	ds_store_2addr_b64 v4, v[13:14], v[15:16] offset1:1
.LBB191_68:                             ;   in Loop: Header=BB191_4 Depth=1
	s_wait_loadcnt_dscnt 0x0
	s_barrier_signal -1
	s_barrier_wait -1
	global_inv scope:SCOPE_SE
	scratch_load_b32 v4, off, off offset:28 ; 4-byte Folded Reload
	s_wait_loadcnt 0x0
	ds_load_b128 v[9:12], v4
	ds_load_b128 v[13:16], v202
	ds_load_b128 v[17:20], v252 offset:384
	ds_load_b128 v[21:24], v202 offset:384
	;; [unrolled: 1-line block ×6, first 2 shown]
	v_add_nc_u32_e32 v4, 0x210, v208
	s_wait_dscnt 0x6
	v_mul_f64_e32 v[43:44], v[11:12], v[15:16]
	v_mul_f64_e32 v[15:16], v[9:10], v[15:16]
	s_wait_dscnt 0x2
	v_mul_f64_e32 v[45:46], v[31:32], v[27:28]
	v_mul_f64_e32 v[27:28], v[29:30], v[27:28]
	s_delay_alu instid0(VALU_DEP_4) | instskip(NEXT) | instid1(VALU_DEP_4)
	v_fma_f64 v[9:10], v[9:10], v[13:14], -v[43:44]
	v_fma_f64 v[11:12], v[11:12], v[13:14], v[15:16]
	s_wait_dscnt 0x0
	v_mul_f64_e32 v[13:14], v[35:36], v[39:40]
	v_mul_f64_e32 v[15:16], v[33:34], v[39:40]
	v_fma_f64 v[29:30], v[29:30], v[25:26], -v[45:46]
	v_fma_f64 v[25:26], v[31:32], v[25:26], v[27:28]
	v_mul_f64_e32 v[27:28], v[19:20], v[23:24]
	v_mul_f64_e32 v[23:24], v[17:18], v[23:24]
	v_add_f64_e32 v[9:10], 0, v[9:10]
	v_add_f64_e32 v[11:12], 0, v[11:12]
	v_fma_f64 v[13:14], v[33:34], v[37:38], -v[13:14]
	v_fma_f64 v[15:16], v[35:36], v[37:38], v[15:16]
	v_fma_f64 v[17:18], v[17:18], v[21:22], -v[27:28]
	v_fma_f64 v[19:20], v[19:20], v[21:22], v[23:24]
	v_add_f64_e32 v[9:10], v[9:10], v[29:30]
	v_add_f64_e32 v[11:12], v[11:12], v[25:26]
	s_delay_alu instid0(VALU_DEP_2) | instskip(NEXT) | instid1(VALU_DEP_2)
	v_add_f64_e32 v[9:10], v[9:10], v[13:14]
	v_add_f64_e32 v[11:12], v[11:12], v[15:16]
	s_delay_alu instid0(VALU_DEP_2) | instskip(NEXT) | instid1(VALU_DEP_2)
	v_add_f64_e32 v[43:44], v[9:10], v[17:18]
	v_add_f64_e32 v[45:46], v[11:12], v[19:20]
	ds_load_b128 v[33:36], v186 offset:512
	ds_load_b128 v[25:28], v186 offset:528
	;; [unrolled: 1-line block ×4, first 2 shown]
	ds_load_b128 v[37:40], v250
	ds_load_b128 v[29:32], v208
	;; [unrolled: 1-line block ×3, first 2 shown]
	v_add_nc_u32_e32 v4, 0x420, v208
	ds_load_b128 v[17:20], v4
	s_wait_dscnt 0x0
	s_barrier_signal -1
	s_barrier_wait -1
	global_inv scope:SCOPE_SE
	ds_store_b128 v252, v[43:46]
	s_wait_loadcnt_dscnt 0x0
	s_barrier_signal -1
	s_barrier_wait -1
	global_inv scope:SCOPE_SE
	s_and_saveexec_b32 s18, s16
	s_cbranch_execz .LBB191_70
; %bb.69:                               ;   in Loop: Header=BB191_4 Depth=1
	ds_load_b128 v[43:46], v196
	ds_load_b128 v[47:50], v196 offset:16
	s_wait_dscnt 0x1
	v_add_f64_e32 v[4:5], v[5:6], v[43:44]
	v_add_f64_e32 v[6:7], v[7:8], v[45:46]
	s_wait_dscnt 0x0
	s_delay_alu instid0(VALU_DEP_2) | instskip(NEXT) | instid1(VALU_DEP_2)
	v_add_f64_e32 v[47:48], v[4:5], v[47:48]
	v_add_f64_e32 v[49:50], v[6:7], v[49:50]
	ds_load_b128 v[4:7], v196 offset:32
	ds_load_b128 v[43:46], v196 offset:48
	s_wait_dscnt 0x1
	v_add_f64_e32 v[4:5], v[47:48], v[4:5]
	v_add_f64_e32 v[6:7], v[49:50], v[6:7]
	s_wait_dscnt 0x0
	s_delay_alu instid0(VALU_DEP_2) | instskip(NEXT) | instid1(VALU_DEP_2)
	v_add_f64_e32 v[47:48], v[4:5], v[43:44]
	v_add_f64_e32 v[49:50], v[6:7], v[45:46]
	ds_load_b128 v[4:7], v196 offset:64
	ds_load_b128 v[43:46], v196 offset:80
	s_wait_dscnt 0x1
	v_add_f64_e32 v[4:5], v[47:48], v[4:5]
	v_add_f64_e32 v[6:7], v[49:50], v[6:7]
	s_wait_dscnt 0x0
	s_delay_alu instid0(VALU_DEP_2) | instskip(NEXT) | instid1(VALU_DEP_2)
	v_add_f64_e32 v[47:48], v[4:5], v[43:44]
	v_add_f64_e32 v[49:50], v[6:7], v[45:46]
	ds_load_b128 v[4:7], v196 offset:96
	ds_load_b128 v[43:46], v196 offset:112
	s_wait_dscnt 0x1
	v_add_f64_e32 v[4:5], v[47:48], v[4:5]
	v_add_f64_e32 v[7:8], v[49:50], v[6:7]
	s_wait_dscnt 0x0
	s_delay_alu instid0(VALU_DEP_2) | instskip(NEXT) | instid1(VALU_DEP_2)
	v_add_f64_e32 v[5:6], v[4:5], v[43:44]
	v_add_f64_e32 v[7:8], v[7:8], v[45:46]
.LBB191_70:                             ;   in Loop: Header=BB191_4 Depth=1
	s_wait_alu 0xfffe
	s_or_b32 exec_lo, exec_lo, s18
	v_mul_f64_e32 v[43:44], v[35:36], v[39:40]
	v_mul_f64_e32 v[39:40], v[33:34], v[39:40]
	;; [unrolled: 1-line block ×4, first 2 shown]
	s_wait_loadcnt 0x0
	s_barrier_signal -1
	s_barrier_wait -1
	global_inv scope:SCOPE_SE
	v_fma_f64 v[33:34], v[33:34], v[37:38], -v[43:44]
	v_fma_f64 v[35:36], v[35:36], v[37:38], v[39:40]
	v_mul_f64_e32 v[37:38], v[15:16], v[23:24]
	v_mul_f64_e32 v[23:24], v[13:14], v[23:24]
	v_fma_f64 v[25:26], v[25:26], v[29:30], -v[45:46]
	v_fma_f64 v[27:28], v[27:28], v[29:30], v[31:32]
	v_add_f64_e32 v[29:30], 0, v[33:34]
	v_add_f64_e32 v[31:32], 0, v[35:36]
	v_mul_f64_e32 v[33:34], v[11:12], v[19:20]
	v_mul_f64_e32 v[19:20], v[9:10], v[19:20]
	v_fma_f64 v[13:14], v[13:14], v[21:22], -v[37:38]
	v_fma_f64 v[15:16], v[15:16], v[21:22], v[23:24]
	v_add_f64_e32 v[21:22], v[29:30], v[25:26]
	v_add_f64_e32 v[23:24], v[31:32], v[27:28]
	v_fma_f64 v[9:10], v[9:10], v[17:18], -v[33:34]
	v_fma_f64 v[11:12], v[11:12], v[17:18], v[19:20]
	s_delay_alu instid0(VALU_DEP_4) | instskip(NEXT) | instid1(VALU_DEP_4)
	v_add_f64_e32 v[13:14], v[21:22], v[13:14]
	v_add_f64_e32 v[15:16], v[23:24], v[15:16]
	s_delay_alu instid0(VALU_DEP_2) | instskip(NEXT) | instid1(VALU_DEP_2)
	v_add_f64_e32 v[9:10], v[13:14], v[9:10]
	v_add_f64_e32 v[11:12], v[15:16], v[11:12]
	ds_store_b128 v252, v[9:12]
	s_wait_loadcnt_dscnt 0x0
	s_barrier_signal -1
	s_barrier_wait -1
	global_inv scope:SCOPE_SE
	s_and_saveexec_b32 s18, s10
	s_cbranch_execz .LBB191_72
; %bb.71:                               ;   in Loop: Header=BB191_4 Depth=1
	ds_load_b128 v[9:12], v196
	ds_load_b128 v[13:16], v196 offset:16
	s_wait_dscnt 0x1
	v_add_f64_e32 v[4:5], v[5:6], v[9:10]
	v_add_f64_e32 v[6:7], v[7:8], v[11:12]
	s_wait_dscnt 0x0
	s_delay_alu instid0(VALU_DEP_2) | instskip(NEXT) | instid1(VALU_DEP_2)
	v_add_f64_e32 v[12:13], v[4:5], v[13:14]
	v_add_f64_e32 v[14:15], v[6:7], v[15:16]
	ds_load_b128 v[4:7], v196 offset:32
	ds_load_b128 v[8:11], v196 offset:48
	s_wait_dscnt 0x1
	v_add_f64_e32 v[4:5], v[12:13], v[4:5]
	v_add_f64_e32 v[6:7], v[14:15], v[6:7]
	s_wait_dscnt 0x0
	s_delay_alu instid0(VALU_DEP_2) | instskip(NEXT) | instid1(VALU_DEP_2)
	v_add_f64_e32 v[12:13], v[4:5], v[8:9]
	v_add_f64_e32 v[14:15], v[6:7], v[10:11]
	ds_load_b128 v[4:7], v196 offset:64
	;; [unrolled: 9-line block ×3, first 2 shown]
	ds_load_b128 v[8:11], v196 offset:112
	s_wait_dscnt 0x1
	v_add_f64_e32 v[4:5], v[12:13], v[4:5]
	v_add_f64_e32 v[12:13], v[14:15], v[6:7]
	s_wait_dscnt 0x0
	s_delay_alu instid0(VALU_DEP_2) | instskip(NEXT) | instid1(VALU_DEP_2)
	v_add_f64_e32 v[5:6], v[4:5], v[8:9]
	v_add_f64_e32 v[7:8], v[12:13], v[10:11]
.LBB191_72:                             ;   in Loop: Header=BB191_4 Depth=1
	s_wait_alu 0xfffe
	s_or_b32 exec_lo, exec_lo, s18
	s_mul_u64 s[18:19], s[34:35], s[28:29]
	s_and_not1_b32 vcc_lo, exec_lo, s68
	s_wait_alu 0xfffe
	s_lshl_b64 s[18:19], s[18:19], 4
	s_wait_loadcnt 0x0
	s_wait_alu 0xfffe
	s_add_nc_u64 s[60:61], s[40:41], s[18:19]
	s_barrier_signal -1
	s_barrier_wait -1
	global_inv scope:SCOPE_SE
	s_cbranch_vccnz .LBB191_130
; %bb.73:                               ;   in Loop: Header=BB191_4 Depth=1
	scratch_load_b32 v4, off, off offset:48 ; 4-byte Folded Reload
	v_add_co_u32 v253, vcc_lo, v41, s58
	s_wait_alu 0xfffd
	v_add_co_ci_u32_e64 v254, null, s59, v42, vcc_lo
	s_mov_b32 s19, ttmp9
	s_mov_b32 s62, s72
	s_clause 0x1
	scratch_load_b64 v[9:10], off, off offset:36
	scratch_load_b32 v184, off, off offset:32
	s_wait_loadcnt 0x2
	v_add_co_u32 v255, vcc_lo, v2, v4
	scratch_load_b32 v4, off, off offset:44 ; 4-byte Folded Reload
	s_wait_loadcnt 0x0
	s_wait_alu 0xfffd
	v_add_co_ci_u32_e64 v209, null, v3, v4, vcc_lo
	scratch_load_b32 v4, off, off offset:56 ; 4-byte Folded Reload
	s_wait_loadcnt 0x0
	v_add_co_u32 v212, vcc_lo, v2, v4
	scratch_load_b32 v4, off, off offset:52 ; 4-byte Folded Reload
	s_wait_loadcnt 0x0
	s_wait_alu 0xfffd
	v_add_co_ci_u32_e64 v213, null, v3, v4, vcc_lo
	scratch_load_b32 v4, off, off offset:60 ; 4-byte Folded Reload
	s_wait_loadcnt 0x0
	v_add_co_u32 v214, vcc_lo, v2, v4
	scratch_load_b32 v4, off, off offset:64 ; 4-byte Folded Reload
	s_wait_loadcnt 0x0
	s_wait_alu 0xfffd
	v_add_co_ci_u32_e64 v215, null, v3, v4, vcc_lo
	scratch_load_b32 v4, off, off offset:72 ; 4-byte Folded Reload
	s_wait_loadcnt 0x0
	v_add_co_u32 v216, vcc_lo, v2, v4
	scratch_load_b32 v4, off, off offset:68 ; 4-byte Folded Reload
	s_wait_loadcnt 0x0
	s_wait_alu 0xfffd
	v_add_co_ci_u32_e64 v217, null, v3, v4, vcc_lo
	scratch_load_b32 v4, off, off offset:76 ; 4-byte Folded Reload
	s_wait_loadcnt 0x0
	v_add_co_u32 v218, vcc_lo, v2, v4
	scratch_load_b32 v4, off, off offset:80 ; 4-byte Folded Reload
	s_wait_loadcnt 0x0
	s_wait_alu 0xfffd
	v_add_co_ci_u32_e64 v219, null, v3, v4, vcc_lo
	scratch_load_b32 v4, off, off offset:84 ; 4-byte Folded Reload
	v_add_co_u32 v220, vcc_lo, v2, v9
	s_wait_alu 0xfffd
	v_add_co_ci_u32_e64 v221, null, v3, v10, vcc_lo
	s_wait_loadcnt 0x0
	v_add_co_u32 v222, vcc_lo, v2, v4
	scratch_load_b32 v4, off, off offset:88 ; 4-byte Folded Reload
	s_wait_loadcnt 0x0
	s_wait_alu 0xfffd
	v_add_co_ci_u32_e64 v223, null, v3, v4, vcc_lo
	scratch_load_b32 v4, off, off offset:92 ; 4-byte Folded Reload
	s_wait_loadcnt 0x0
	v_add_co_u32 v224, vcc_lo, v2, v4
	scratch_load_b32 v4, off, off offset:96 ; 4-byte Folded Reload
	s_wait_loadcnt 0x0
	s_wait_alu 0xfffd
	v_add_co_ci_u32_e64 v225, null, v3, v4, vcc_lo
	scratch_load_b32 v4, off, off offset:100 ; 4-byte Folded Reload
	;; [unrolled: 7-line block ×13, first 2 shown]
	s_wait_loadcnt 0x0
	v_add_co_u32 v248, vcc_lo, v2, v4
	scratch_load_b32 v2, off, off offset:188 ; 4-byte Folded Reload
	s_wait_loadcnt 0x0
	s_wait_alu 0xfffd
	v_add_co_ci_u32_e64 v249, null, v3, v2, vcc_lo
	s_wait_alu 0xfffe
	s_cmp_eq_u32 s69, s19
	s_cselect_b32 s73, s31, 0
	s_and_saveexec_b32 s18, s0
	s_cbranch_execz .LBB191_78
.LBB191_74:                             ;   in Loop: Header=BB191_4 Depth=1
	s_wait_alu 0xfffe
	v_cmp_le_i32_e32 vcc_lo, s73, v173
	s_cmp_lg_u32 s73, 0
	s_cselect_b32 s63, -1, 0
	s_wait_alu 0xfffe
	s_and_b32 s63, s63, vcc_lo
	s_wait_alu 0xfffe
	s_and_saveexec_b32 s74, s63
	s_wait_alu 0xfffe
	s_xor_b32 s63, exec_lo, s74
; %bb.75:                               ;   in Loop: Header=BB191_4 Depth=1
	v_dual_mov_b32 v2, v1 :: v_dual_mov_b32 v3, v1
	v_mov_b32_e32 v4, v1
	ds_store_b128 v203, v[1:4]
; %bb.76:                               ;   in Loop: Header=BB191_4 Depth=1
	s_wait_alu 0xfffe
	s_and_not1_saveexec_b32 s63, s63
	s_cbranch_execz .LBB191_78
; %bb.77:                               ;   in Loop: Header=BB191_4 Depth=1
	s_ashr_i32 s63, s62, 31
	s_wait_alu 0xfffe
	s_lshl_b64 s[74:75], s[62:63], 4
	s_wait_alu 0xfffe
	v_add_co_u32 v2, vcc_lo, v253, s74
	s_wait_alu 0xfffd
	v_add_co_ci_u32_e64 v3, null, s75, v254, vcc_lo
	flat_load_b128 v[9:12], v[2:3]
	s_wait_loadcnt_dscnt 0x0
	ds_store_2addr_b64 v203, v[9:10], v[11:12] offset1:1
.LBB191_78:                             ;   Parent Loop BB191_4 Depth=1
                                        ; =>  This Inner Loop Header: Depth=2
	s_wait_alu 0xfffe
	s_or_b32 exec_lo, exec_lo, s18
	s_cmp_eq_u32 s73, 0
	v_add_co_u32 v2, vcc_lo, v218, v210
	s_cselect_b32 s63, -1, 0
	s_cmp_lg_u32 s73, 0
	s_wait_alu 0xfffd
	v_add_co_ci_u32_e64 v3, null, v219, v211, vcc_lo
	s_cselect_b32 s18, -1, 0
	s_wait_dscnt 0x0
	s_wait_alu 0xfffe
	s_and_b32 vcc_lo, exec_lo, s18
	s_barrier_signal -1
	s_barrier_wait -1
	global_inv scope:SCOPE_SE
	s_wait_alu 0xfffe
	s_cbranch_vccz .LBB191_86
; %bb.79:                               ;   in Loop: Header=BB191_78 Depth=2
	v_mov_b32_e32 v9, 0
	v_dual_mov_b32 v10, 0 :: v_dual_mov_b32 v13, 0
	v_dual_mov_b32 v15, 0 :: v_dual_mov_b32 v14, 0
	v_mov_b32_e32 v16, 0
	s_mov_b32 s74, exec_lo
	v_cmpx_gt_i32_e64 s73, v201
	s_cbranch_execz .LBB191_81
; %bb.80:                               ;   in Loop: Header=BB191_78 Depth=2
	flat_load_b128 v[13:16], v[2:3]
.LBB191_81:                             ;   in Loop: Header=BB191_78 Depth=2
	s_wait_alu 0xfffe
	s_or_b32 exec_lo, exec_lo, s74
	v_mov_b32_e32 v11, 0
	v_or_b32_e32 v4, 1, v201
	v_mov_b32_e32 v12, 0
	s_mov_b32 s74, exec_lo
	s_delay_alu instid0(VALU_DEP_2)
	v_cmpx_gt_i32_e64 s73, v4
	s_cbranch_execz .LBB191_83
; %bb.82:                               ;   in Loop: Header=BB191_78 Depth=2
	v_add_co_u32 v9, vcc_lo, v214, v210
	s_wait_alu 0xfffd
	v_add_co_ci_u32_e64 v10, null, v215, v211, vcc_lo
	flat_load_b128 v[9:12], v[9:10]
.LBB191_83:                             ;   in Loop: Header=BB191_78 Depth=2
	s_wait_alu 0xfffe
	s_or_b32 exec_lo, exec_lo, s74
	v_mov_b32_e32 v17, 0
	v_dual_mov_b32 v18, 0 :: v_dual_mov_b32 v19, 0
	v_or_b32_e32 v4, 2, v201
	v_mov_b32_e32 v20, 0
	s_mov_b32 s74, exec_lo
	s_delay_alu instid0(VALU_DEP_2)
	v_cmpx_gt_i32_e64 s73, v4
	s_cbranch_execz .LBB191_85
; %bb.84:                               ;   in Loop: Header=BB191_78 Depth=2
	v_add_co_u32 v17, vcc_lo, v222, v210
	s_wait_alu 0xfffd
	v_add_co_ci_u32_e64 v18, null, v223, v211, vcc_lo
	flat_load_b128 v[17:20], v[17:18]
.LBB191_85:                             ;   in Loop: Header=BB191_78 Depth=2
	s_wait_alu 0xfffe
	s_or_b32 exec_lo, exec_lo, s74
	v_or_b32_e32 v4, 3, v201
	s_delay_alu instid0(VALU_DEP_1)
	v_cmp_gt_i32_e64 s74, s73, v4
	s_branch .LBB191_88
.LBB191_86:                             ;   in Loop: Header=BB191_78 Depth=2
	s_mov_b32 s74, 0
                                        ; implicit-def: $vgpr19_vgpr20
                                        ; implicit-def: $vgpr11_vgpr12
                                        ; implicit-def: $vgpr15_vgpr16
	s_cbranch_execz .LBB191_88
; %bb.87:                               ;   in Loop: Header=BB191_78 Depth=2
	s_wait_loadcnt_dscnt 0x0
	v_add_co_u32 v9, vcc_lo, v214, v210
	s_wait_alu 0xfffd
	v_add_co_ci_u32_e64 v10, null, v215, v211, vcc_lo
	v_add_co_u32 v17, vcc_lo, v255, v210
	s_wait_alu 0xfffd
	v_add_co_ci_u32_e64 v18, null, v209, v211, vcc_lo
	flat_load_b128 v[13:16], v[2:3]
	flat_load_b128 v[9:12], v[9:10]
	flat_load_b128 v[17:20], v[17:18] offset:-8
	s_wait_alu 0xfffe
	s_or_b32 s74, s74, exec_lo
.LBB191_88:                             ;   in Loop: Header=BB191_78 Depth=2
	v_mov_b32_e32 v21, 0
	v_dual_mov_b32 v22, 0 :: v_dual_mov_b32 v23, 0
	v_mov_b32_e32 v24, 0
	s_wait_alu 0xfffe
	s_and_saveexec_b32 s75, s74
	s_cbranch_execz .LBB191_90
; %bb.89:                               ;   in Loop: Header=BB191_78 Depth=2
	v_add_co_u32 v2, vcc_lo, v226, v210
	s_wait_alu 0xfffd
	v_add_co_ci_u32_e64 v3, null, v227, v211, vcc_lo
	flat_load_b128 v[21:24], v[2:3]
.LBB191_90:                             ;   in Loop: Header=BB191_78 Depth=2
	s_wait_alu 0xfffe
	s_or_b32 exec_lo, exec_lo, s75
	ds_load_b128 v[29:32], v187
	ds_load_b128 v[25:28], v0
	v_cndmask_b32_e64 v4, 0, 1, s18
	s_wait_loadcnt_dscnt 0x1
	v_mul_f64_e32 v[2:3], v[15:16], v[31:32]
	v_mul_f64_e32 v[33:34], v[13:14], v[31:32]
	;; [unrolled: 1-line block ×8, first 2 shown]
	v_fma_f64 v[41:42], v[13:14], v[29:30], -v[2:3]
	v_fma_f64 v[43:44], v[15:16], v[29:30], v[33:34]
	v_fma_f64 v[45:46], v[9:10], v[29:30], -v[35:36]
	v_fma_f64 v[47:48], v[11:12], v[29:30], v[37:38]
	;; [unrolled: 2-line block ×4, first 2 shown]
	ds_load_b128 v[37:40], v0 offset:16
	ds_load_b128 v[33:36], v0 offset:32
	ds_load_b128 v[29:32], v0 offset:48
	v_add_co_u32 v2, vcc_lo, v238, v210
	s_wait_alu 0xfffd
	v_add_co_ci_u32_e64 v3, null, v239, v211, vcc_lo
	s_and_not1_b32 vcc_lo, exec_lo, s18
	ds_store_b128 v204, v[41:44]
	ds_store_b128 v204, v[45:48] offset:1072
	ds_store_b128 v204, v[49:52] offset:2144
	;; [unrolled: 1-line block ×3, first 2 shown]
	s_wait_dscnt 0x0
	s_barrier_signal -1
	s_barrier_wait -1
	global_inv scope:SCOPE_SE
	ds_load_b128 v[97:100], v205
	ds_load_b128 v[93:96], v205 offset:16
	ds_load_b128 v[89:92], v205 offset:32
	ds_load_b128 v[85:88], v205 offset:48
	s_wait_loadcnt_dscnt 0x0
	s_barrier_signal -1
	s_barrier_wait -1
	global_inv scope:SCOPE_SE
	s_wait_alu 0xfffe
	s_cbranch_vccnz .LBB191_98
; %bb.91:                               ;   in Loop: Header=BB191_78 Depth=2
	v_mov_b32_e32 v41, 0
	v_mov_b32_e32 v45, 0
	;; [unrolled: 1-line block ×3, first 2 shown]
	v_dual_mov_b32 v42, 0 :: v_dual_add_nc_u32 v43, 16, v201
	v_mov_b32_e32 v46, 0
	v_mov_b32_e32 v48, 0
	s_mov_b32 s18, exec_lo
	s_delay_alu instid0(VALU_DEP_3)
	v_cmpx_gt_i32_e64 s73, v43
	s_cbranch_execz .LBB191_93
; %bb.92:                               ;   in Loop: Header=BB191_78 Depth=2
	flat_load_b128 v[45:48], v[2:3]
.LBB191_93:                             ;   in Loop: Header=BB191_78 Depth=2
	s_wait_alu 0xfffe
	s_or_b32 exec_lo, exec_lo, s18
	v_mov_b32_e32 v43, 0
	v_dual_mov_b32 v44, 0 :: v_dual_add_nc_u32 v49, 17, v201
	s_mov_b32 s18, exec_lo
	s_delay_alu instid0(VALU_DEP_1)
	v_cmpx_gt_i32_e64 s73, v49
	s_cbranch_execz .LBB191_95
; %bb.94:                               ;   in Loop: Header=BB191_78 Depth=2
	v_add_co_u32 v41, vcc_lo, v234, v210
	s_wait_alu 0xfffd
	v_add_co_ci_u32_e64 v42, null, v235, v211, vcc_lo
	flat_load_b128 v[41:44], v[41:42]
.LBB191_95:                             ;   in Loop: Header=BB191_78 Depth=2
	s_wait_alu 0xfffe
	s_or_b32 exec_lo, exec_lo, s18
	v_mov_b32_e32 v49, 0
	v_mov_b32_e32 v51, 0
	v_dual_mov_b32 v50, 0 :: v_dual_add_nc_u32 v53, 18, v201
	v_mov_b32_e32 v52, 0
	s_mov_b32 s18, exec_lo
	s_delay_alu instid0(VALU_DEP_2)
	v_cmpx_gt_i32_e64 s73, v53
	s_cbranch_execz .LBB191_97
; %bb.96:                               ;   in Loop: Header=BB191_78 Depth=2
	v_add_co_u32 v49, vcc_lo, v242, v210
	s_wait_alu 0xfffd
	v_add_co_ci_u32_e64 v50, null, v243, v211, vcc_lo
	flat_load_b128 v[49:52], v[49:50]
.LBB191_97:                             ;   in Loop: Header=BB191_78 Depth=2
	s_wait_alu 0xfffe
	s_or_b32 exec_lo, exec_lo, s18
	v_add_nc_u32_e32 v53, 19, v201
	s_delay_alu instid0(VALU_DEP_1)
	v_cmp_gt_i32_e64 s18, s73, v53
	s_branch .LBB191_100
.LBB191_98:                             ;   in Loop: Header=BB191_78 Depth=2
	s_mov_b32 s18, 0
                                        ; implicit-def: $vgpr51_vgpr52
                                        ; implicit-def: $vgpr43_vgpr44
                                        ; implicit-def: $vgpr47_vgpr48
	s_cbranch_execz .LBB191_100
; %bb.99:                               ;   in Loop: Header=BB191_78 Depth=2
	s_wait_loadcnt_dscnt 0x0
	v_add_co_u32 v41, vcc_lo, v234, v210
	s_wait_alu 0xfffd
	v_add_co_ci_u32_e64 v42, null, v235, v211, vcc_lo
	v_add_co_u32 v49, vcc_lo, v230, v210
	s_wait_alu 0xfffd
	v_add_co_ci_u32_e64 v50, null, v231, v211, vcc_lo
	flat_load_b128 v[45:48], v[2:3]
	flat_load_b128 v[41:44], v[41:42]
	flat_load_b128 v[49:52], v[49:50] offset:-8
	s_wait_alu 0xfffe
	s_or_b32 s18, s18, exec_lo
.LBB191_100:                            ;   in Loop: Header=BB191_78 Depth=2
	v_mov_b32_e32 v53, 0
	v_dual_mov_b32 v54, 0 :: v_dual_mov_b32 v55, 0
	v_mov_b32_e32 v56, 0
	s_wait_alu 0xfffe
	s_and_saveexec_b32 s74, s18
	s_cbranch_execz .LBB191_102
; %bb.101:                              ;   in Loop: Header=BB191_78 Depth=2
	v_add_co_u32 v2, vcc_lo, v246, v210
	s_wait_alu 0xfffd
	v_add_co_ci_u32_e64 v3, null, v247, v211, vcc_lo
	flat_load_b128 v[53:56], v[2:3]
.LBB191_102:                            ;   in Loop: Header=BB191_78 Depth=2
	s_wait_alu 0xfffe
	s_or_b32 exec_lo, exec_lo, s74
	ds_load_b128 v[61:64], v187
	ds_load_b128 v[57:60], v0 offset:256
	v_cmp_ne_u32_e32 vcc_lo, 1, v4
	s_and_b32 vcc_lo, exec_lo, vcc_lo
	s_wait_loadcnt_dscnt 0x1
	v_mul_f64_e32 v[2:3], v[47:48], v[63:64]
	v_mul_f64_e32 v[65:66], v[45:46], v[63:64]
	;; [unrolled: 1-line block ×8, first 2 shown]
	v_fma_f64 v[73:74], v[45:46], v[61:62], -v[2:3]
	v_fma_f64 v[75:76], v[47:48], v[61:62], v[65:66]
	v_fma_f64 v[77:78], v[41:42], v[61:62], -v[67:68]
	v_fma_f64 v[79:80], v[43:44], v[61:62], v[69:70]
	;; [unrolled: 2-line block ×4, first 2 shown]
	ds_load_b128 v[69:72], v0 offset:272
	ds_load_b128 v[65:68], v0 offset:288
	;; [unrolled: 1-line block ×3, first 2 shown]
	v_add_co_u32 v2, s18, v240, v210
	s_wait_alu 0xf1ff
	v_add_co_ci_u32_e64 v3, null, v241, v211, s18
	ds_store_b128 v204, v[73:76]
	ds_store_b128 v204, v[77:80] offset:1072
	ds_store_b128 v204, v[81:84] offset:2144
	;; [unrolled: 1-line block ×3, first 2 shown]
	s_wait_dscnt 0x0
	s_barrier_signal -1
	s_barrier_wait -1
	global_inv scope:SCOPE_SE
	ds_load_b128 v[145:148], v205
	ds_load_b128 v[141:144], v205 offset:16
	ds_load_b128 v[137:140], v205 offset:32
	;; [unrolled: 1-line block ×3, first 2 shown]
	s_wait_loadcnt_dscnt 0x0
	s_barrier_signal -1
	s_barrier_wait -1
	global_inv scope:SCOPE_SE
	s_wait_alu 0xfffe
	s_cbranch_vccnz .LBB191_110
; %bb.103:                              ;   in Loop: Header=BB191_78 Depth=2
	v_mov_b32_e32 v73, 0
	v_mov_b32_e32 v77, 0
	v_mov_b32_e32 v79, 0
	v_dual_mov_b32 v74, 0 :: v_dual_add_nc_u32 v75, 32, v201
	v_mov_b32_e32 v78, 0
	v_mov_b32_e32 v80, 0
	s_mov_b32 s18, exec_lo
	s_delay_alu instid0(VALU_DEP_3)
	v_cmpx_gt_i32_e64 s73, v75
	s_cbranch_execz .LBB191_105
; %bb.104:                              ;   in Loop: Header=BB191_78 Depth=2
	flat_load_b128 v[77:80], v[2:3] offset:-8
.LBB191_105:                            ;   in Loop: Header=BB191_78 Depth=2
	s_wait_alu 0xfffe
	s_or_b32 exec_lo, exec_lo, s18
	v_mov_b32_e32 v75, 0
	v_dual_mov_b32 v76, 0 :: v_dual_add_nc_u32 v81, 33, v201
	s_mov_b32 s18, exec_lo
	s_delay_alu instid0(VALU_DEP_1)
	v_cmpx_gt_i32_e64 s73, v81
	s_cbranch_execz .LBB191_107
; %bb.106:                              ;   in Loop: Header=BB191_78 Depth=2
	v_add_co_u32 v73, vcc_lo, v244, v210
	s_wait_alu 0xfffd
	v_add_co_ci_u32_e64 v74, null, v245, v211, vcc_lo
	flat_load_b128 v[73:76], v[73:74] offset:-8
.LBB191_107:                            ;   in Loop: Header=BB191_78 Depth=2
	s_wait_alu 0xfffe
	s_or_b32 exec_lo, exec_lo, s18
	v_mov_b32_e32 v81, 0
	v_mov_b32_e32 v83, 0
	v_dual_mov_b32 v82, 0 :: v_dual_add_nc_u32 v101, 34, v201
	v_mov_b32_e32 v84, 0
	s_mov_b32 s18, exec_lo
	s_delay_alu instid0(VALU_DEP_2)
	v_cmpx_gt_i32_e64 s73, v101
	s_cbranch_execz .LBB191_109
; %bb.108:                              ;   in Loop: Header=BB191_78 Depth=2
	v_add_co_u32 v81, vcc_lo, v236, v210
	s_wait_alu 0xfffd
	v_add_co_ci_u32_e64 v82, null, v237, v211, vcc_lo
	flat_load_b128 v[81:84], v[81:82] offset:-8
.LBB191_109:                            ;   in Loop: Header=BB191_78 Depth=2
	s_wait_alu 0xfffe
	s_or_b32 exec_lo, exec_lo, s18
	v_add_nc_u32_e32 v101, 35, v201
	s_delay_alu instid0(VALU_DEP_1)
	v_cmp_gt_i32_e64 s18, s73, v101
	s_branch .LBB191_112
.LBB191_110:                            ;   in Loop: Header=BB191_78 Depth=2
	s_mov_b32 s18, 0
                                        ; implicit-def: $vgpr83_vgpr84
                                        ; implicit-def: $vgpr75_vgpr76
                                        ; implicit-def: $vgpr79_vgpr80
	s_cbranch_execz .LBB191_112
; %bb.111:                              ;   in Loop: Header=BB191_78 Depth=2
	s_wait_loadcnt_dscnt 0x0
	v_add_co_u32 v73, vcc_lo, v244, v210
	s_wait_alu 0xfffd
	v_add_co_ci_u32_e64 v74, null, v245, v211, vcc_lo
	v_add_co_u32 v81, vcc_lo, v248, v210
	s_wait_alu 0xfffd
	v_add_co_ci_u32_e64 v82, null, v249, v211, vcc_lo
	flat_load_b128 v[77:80], v[2:3] offset:-8
	flat_load_b128 v[73:76], v[73:74] offset:-8
	;; [unrolled: 1-line block ×3, first 2 shown]
	s_wait_alu 0xfffe
	s_or_b32 s18, s18, exec_lo
.LBB191_112:                            ;   in Loop: Header=BB191_78 Depth=2
	v_mov_b32_e32 v101, 0
	v_dual_mov_b32 v102, 0 :: v_dual_mov_b32 v103, 0
	v_mov_b32_e32 v104, 0
	s_wait_alu 0xfffe
	s_and_saveexec_b32 s74, s18
	s_cbranch_execz .LBB191_114
; %bb.113:                              ;   in Loop: Header=BB191_78 Depth=2
	v_add_co_u32 v2, vcc_lo, v232, v210
	s_wait_alu 0xfffd
	v_add_co_ci_u32_e64 v3, null, v233, v211, vcc_lo
	flat_load_b128 v[101:104], v[2:3] offset:-8
.LBB191_114:                            ;   in Loop: Header=BB191_78 Depth=2
	s_wait_alu 0xfffe
	s_or_b32 exec_lo, exec_lo, s74
	ds_load_b128 v[109:112], v187
	ds_load_b128 v[105:108], v0 offset:512
	v_cmp_ne_u32_e32 vcc_lo, 1, v4
	s_and_b32 vcc_lo, exec_lo, vcc_lo
	s_wait_loadcnt_dscnt 0x1
	v_mul_f64_e32 v[2:3], v[79:80], v[111:112]
	v_mul_f64_e32 v[115:116], v[77:78], v[111:112]
	;; [unrolled: 1-line block ×5, first 2 shown]
	v_fma_f64 v[113:114], v[77:78], v[109:110], -v[2:3]
	v_mul_f64_e32 v[2:3], v[83:84], v[111:112]
	v_fma_f64 v[115:116], v[79:80], v[109:110], v[115:116]
	v_fma_f64 v[117:118], v[73:74], v[109:110], -v[117:118]
	v_fma_f64 v[119:120], v[75:76], v[109:110], v[119:120]
	v_fma_f64 v[127:128], v[83:84], v[109:110], v[121:122]
	ds_store_b128 v204, v[113:116]
	ds_store_b128 v204, v[117:120] offset:1072
	v_fma_f64 v[125:126], v[81:82], v[109:110], -v[2:3]
	v_mul_f64_e32 v[2:3], v[103:104], v[111:112]
	v_mul_f64_e32 v[111:112], v[101:102], v[111:112]
	ds_load_b128 v[121:124], v0 offset:528
	ds_load_b128 v[113:116], v0 offset:544
	v_fma_f64 v[129:130], v[101:102], v[109:110], -v[2:3]
	v_fma_f64 v[131:132], v[103:104], v[109:110], v[111:112]
	ds_store_b128 v204, v[125:128] offset:2144
	ds_load_b128 v[109:112], v0 offset:560
	v_add_co_u32 v2, s18, v220, v210
	s_wait_alu 0xf1ff
	v_add_co_ci_u32_e64 v3, null, v221, v211, s18
	ds_store_b128 v204, v[129:132] offset:3216
	s_wait_dscnt 0x0
	s_barrier_signal -1
	s_barrier_wait -1
	global_inv scope:SCOPE_SE
	ds_load_b128 v[169:172], v205
	ds_load_b128 v[165:168], v205 offset:16
	ds_load_b128 v[161:164], v205 offset:32
	;; [unrolled: 1-line block ×3, first 2 shown]
	s_wait_loadcnt_dscnt 0x0
	s_barrier_signal -1
	s_barrier_wait -1
	global_inv scope:SCOPE_SE
	s_wait_alu 0xfffe
	s_cbranch_vccnz .LBB191_122
; %bb.115:                              ;   in Loop: Header=BB191_78 Depth=2
	v_dual_mov_b32 v117, 0 :: v_dual_add_nc_u32 v4, 48, v201
	v_dual_mov_b32 v118, 0 :: v_dual_mov_b32 v125, 0
	v_dual_mov_b32 v126, 0 :: v_dual_mov_b32 v127, 0
	v_mov_b32_e32 v128, 0
	s_mov_b32 s18, exec_lo
	v_cmpx_gt_i32_e64 s73, v4
	s_cbranch_execz .LBB191_117
; %bb.116:                              ;   in Loop: Header=BB191_78 Depth=2
	flat_load_b128 v[125:128], v[2:3] offset:-8
.LBB191_117:                            ;   in Loop: Header=BB191_78 Depth=2
	s_wait_alu 0xfffe
	s_or_b32 exec_lo, exec_lo, s18
	v_dual_mov_b32 v119, 0 :: v_dual_add_nc_u32 v4, 49, v201
	v_mov_b32_e32 v120, 0
	s_mov_b32 s18, exec_lo
	s_delay_alu instid0(VALU_DEP_2)
	v_cmpx_gt_i32_e64 s73, v4
	s_cbranch_execz .LBB191_119
; %bb.118:                              ;   in Loop: Header=BB191_78 Depth=2
	v_add_co_u32 v117, vcc_lo, v224, v210
	s_wait_alu 0xfffd
	v_add_co_ci_u32_e64 v118, null, v225, v211, vcc_lo
	flat_load_b128 v[117:120], v[117:118] offset:-8
.LBB191_119:                            ;   in Loop: Header=BB191_78 Depth=2
	s_wait_alu 0xfffe
	s_or_b32 exec_lo, exec_lo, s18
	v_dual_mov_b32 v129, 0 :: v_dual_add_nc_u32 v4, 50, v201
	v_dual_mov_b32 v130, 0 :: v_dual_mov_b32 v131, 0
	v_mov_b32_e32 v132, 0
	s_mov_b32 s18, exec_lo
	s_delay_alu instid0(VALU_DEP_3)
	v_cmpx_gt_i32_e64 s73, v4
	s_cbranch_execz .LBB191_121
; %bb.120:                              ;   in Loop: Header=BB191_78 Depth=2
	v_add_co_u32 v129, vcc_lo, v216, v210
	s_wait_alu 0xfffd
	v_add_co_ci_u32_e64 v130, null, v217, v211, vcc_lo
	flat_load_b128 v[129:132], v[129:130] offset:-8
.LBB191_121:                            ;   in Loop: Header=BB191_78 Depth=2
	s_wait_alu 0xfffe
	s_or_b32 exec_lo, exec_lo, s18
	v_add_nc_u32_e32 v4, 51, v201
	s_delay_alu instid0(VALU_DEP_1)
	v_cmp_gt_i32_e64 s18, s73, v4
	s_branch .LBB191_124
.LBB191_122:                            ;   in Loop: Header=BB191_78 Depth=2
	s_mov_b32 s18, 0
                                        ; implicit-def: $vgpr131_vgpr132
                                        ; implicit-def: $vgpr119_vgpr120
                                        ; implicit-def: $vgpr127_vgpr128
	s_cbranch_execz .LBB191_124
; %bb.123:                              ;   in Loop: Header=BB191_78 Depth=2
	s_wait_loadcnt_dscnt 0x0
	v_add_co_u32 v117, vcc_lo, v224, v210
	s_wait_alu 0xfffd
	v_add_co_ci_u32_e64 v118, null, v225, v211, vcc_lo
	v_add_co_u32 v129, vcc_lo, v228, v210
	s_wait_alu 0xfffd
	v_add_co_ci_u32_e64 v130, null, v229, v211, vcc_lo
	flat_load_b128 v[125:128], v[2:3] offset:-8
	flat_load_b128 v[117:120], v[117:118] offset:-8
	flat_load_b128 v[129:132], v[129:130]
	s_wait_alu 0xfffe
	s_or_b32 s18, s18, exec_lo
.LBB191_124:                            ;   in Loop: Header=BB191_78 Depth=2
	v_mov_b32_e32 v149, 0
	v_dual_mov_b32 v150, 0 :: v_dual_mov_b32 v151, 0
	v_mov_b32_e32 v152, 0
	s_wait_alu 0xfffe
	s_and_saveexec_b32 s74, s18
	s_cbranch_execz .LBB191_126
; %bb.125:                              ;   in Loop: Header=BB191_78 Depth=2
	v_add_co_u32 v2, vcc_lo, v212, v210
	s_wait_alu 0xfffd
	v_add_co_ci_u32_e64 v3, null, v213, v211, vcc_lo
	flat_load_b128 v[149:152], v[2:3] offset:-8
.LBB191_126:                            ;   in Loop: Header=BB191_78 Depth=2
	s_wait_alu 0xfffe
	s_or_b32 exec_lo, exec_lo, s74
	ds_load_b128 v[189:192], v187
	ds_load_b128 v[153:156], v0 offset:768
	v_cmp_gt_i32_e32 vcc_lo, s73, v173
	s_or_b32 s18, s63, vcc_lo
	s_wait_alu 0xfffe
	s_and_b32 s63, s17, s18
	s_wait_loadcnt_dscnt 0x1
	v_mul_f64_e32 v[2:3], v[127:128], v[191:192]
	v_mul_f64_e32 v[193:194], v[129:130], v[191:192]
	;; [unrolled: 1-line block ×4, first 2 shown]
	s_delay_alu instid0(VALU_DEP_4)
	v_fma_f64 v[176:177], v[125:126], v[189:190], -v[2:3]
	v_mul_f64_e32 v[2:3], v[119:120], v[191:192]
	v_fma_f64 v[199:200], v[131:132], v[189:190], v[193:194]
	v_mul_f64_e32 v[193:194], v[149:150], v[191:192]
	v_fma_f64 v[178:179], v[127:128], v[189:190], v[178:179]
	v_fma_f64 v[182:183], v[119:120], v[189:190], v[182:183]
	v_fma_f64 v[180:181], v[117:118], v[189:190], -v[2:3]
	v_mul_f64_e32 v[2:3], v[131:132], v[191:192]
	v_fma_f64 v[193:194], v[151:152], v[189:190], v[193:194]
	s_delay_alu instid0(VALU_DEP_2) | instskip(SKIP_1) | instid1(VALU_DEP_1)
	v_fma_f64 v[197:198], v[129:130], v[189:190], -v[2:3]
	v_mul_f64_e32 v[2:3], v[151:152], v[191:192]
	v_fma_f64 v[191:192], v[149:150], v[189:190], -v[2:3]
	v_add_f64_e32 v[2:3], 0, v[169:170]
	v_add_f64_e32 v[169:170], 0, v[171:172]
	ds_store_b128 v204, v[176:179]
	ds_store_b128 v204, v[180:183] offset:1072
	ds_store_b128 v204, v[197:200] offset:2144
	;; [unrolled: 1-line block ×3, first 2 shown]
	v_add_f64_e32 v[2:3], v[2:3], v[165:166]
	v_add_f64_e32 v[165:166], v[169:170], v[167:168]
	s_delay_alu instid0(VALU_DEP_2) | instskip(NEXT) | instid1(VALU_DEP_2)
	v_add_f64_e32 v[2:3], v[2:3], v[161:162]
	v_add_f64_e32 v[161:162], v[165:166], v[163:164]
	s_delay_alu instid0(VALU_DEP_2) | instskip(SKIP_2) | instid1(VALU_DEP_4)
	v_add_f64_e32 v[157:158], v[2:3], v[157:158]
	v_add_f64_e32 v[2:3], 0, v[97:98]
	;; [unrolled: 1-line block ×4, first 2 shown]
	s_delay_alu instid0(VALU_DEP_3) | instskip(NEXT) | instid1(VALU_DEP_3)
	v_add_f64_e32 v[2:3], v[2:3], v[93:94]
	v_add_f64_e32 v[93:94], v[97:98], v[95:96]
	s_delay_alu instid0(VALU_DEP_2) | instskip(NEXT) | instid1(VALU_DEP_2)
	v_add_f64_e32 v[2:3], v[2:3], v[89:90]
	v_add_f64_e32 v[89:90], v[93:94], v[91:92]
	s_delay_alu instid0(VALU_DEP_2) | instskip(SKIP_2) | instid1(VALU_DEP_4)
	v_add_f64_e32 v[97:98], v[2:3], v[85:86]
	v_add_f64_e32 v[85:86], 0, v[147:148]
	;; [unrolled: 1-line block ×4, first 2 shown]
	s_delay_alu instid0(VALU_DEP_3) | instskip(NEXT) | instid1(VALU_DEP_3)
	v_add_f64_e32 v[85:86], v[85:86], v[143:144]
	v_add_f64_e32 v[2:3], v[2:3], v[141:142]
	s_delay_alu instid0(VALU_DEP_2) | instskip(NEXT) | instid1(VALU_DEP_2)
	v_add_f64_e32 v[85:86], v[85:86], v[139:140]
	v_add_f64_e32 v[2:3], v[2:3], v[137:138]
	s_delay_alu instid0(VALU_DEP_2)
	v_add_f64_e32 v[135:136], v[85:86], v[135:136]
	ds_load_b128 v[93:96], v0 offset:784
	ds_load_b128 v[89:92], v0 offset:800
	;; [unrolled: 1-line block ×3, first 2 shown]
	s_wait_dscnt 0x0
	s_barrier_signal -1
	s_barrier_wait -1
	global_inv scope:SCOPE_SE
	ds_load_b128 v[137:140], v205
	ds_load_b128 v[141:144], v205 offset:16
	v_add_f64_e32 v[133:134], v[2:3], v[133:134]
	s_wait_dscnt 0x1
	v_add_f64_e32 v[2:3], 0, v[137:138]
	v_add_f64_e32 v[137:138], 0, v[139:140]
	s_wait_dscnt 0x0
	s_delay_alu instid0(VALU_DEP_2) | instskip(NEXT) | instid1(VALU_DEP_2)
	v_add_f64_e32 v[2:3], v[2:3], v[141:142]
	v_add_f64_e32 v[145:146], v[137:138], v[143:144]
	ds_load_b128 v[137:140], v205 offset:32
	ds_load_b128 v[141:144], v205 offset:48
	s_wait_loadcnt_dscnt 0x0
	s_barrier_signal -1
	s_barrier_wait -1
	global_inv scope:SCOPE_SE
	ds_store_b128 v251, v[97:100]
	ds_store_b128 v251, v[133:136] offset:256
	ds_store_b128 v251, v[157:160] offset:512
	v_add_f64_e32 v[2:3], v[2:3], v[137:138]
	v_add_f64_e32 v[139:140], v[145:146], v[139:140]
	s_delay_alu instid0(VALU_DEP_2) | instskip(NEXT) | instid1(VALU_DEP_2)
	v_add_f64_e32 v[137:138], v[2:3], v[141:142]
	v_add_f64_e32 v[139:140], v[139:140], v[143:144]
	ds_store_b128 v251, v[137:140] offset:768
	s_wait_loadcnt_dscnt 0x0
	s_barrier_signal -1
	s_barrier_wait -1
	global_inv scope:SCOPE_SE
	s_wait_alu 0xfffe
	s_and_saveexec_b32 s18, s63
	s_cbranch_execz .LBB191_128
; %bb.127:                              ;   in Loop: Header=BB191_78 Depth=2
	ds_load_b128 v[97:100], v206
	ds_load_b128 v[133:136], v206 offset:16
	v_ashrrev_i32_e32 v185, 31, v184
	s_wait_dscnt 0x0
	v_add_f64_e32 v[2:3], v[133:134], v[97:98]
	v_add_f64_e32 v[137:138], v[135:136], v[99:100]
	ds_load_b128 v[97:100], v206 offset:32
	ds_load_b128 v[133:136], v206 offset:48
	s_wait_dscnt 0x1
	v_add_f64_e32 v[2:3], v[2:3], v[97:98]
	v_add_f64_e32 v[97:98], v[137:138], v[99:100]
	s_wait_dscnt 0x0
	s_delay_alu instid0(VALU_DEP_2) | instskip(NEXT) | instid1(VALU_DEP_2)
	v_add_f64_e32 v[2:3], v[2:3], v[133:134]
	v_add_f64_e32 v[137:138], v[97:98], v[135:136]
	ds_load_b128 v[97:100], v206 offset:64
	ds_load_b128 v[133:136], v206 offset:80
	s_wait_dscnt 0x1
	v_add_f64_e32 v[2:3], v[2:3], v[97:98]
	v_add_f64_e32 v[97:98], v[137:138], v[99:100]
	s_wait_dscnt 0x0
	s_delay_alu instid0(VALU_DEP_2) | instskip(NEXT) | instid1(VALU_DEP_2)
	;; [unrolled: 9-line block ×6, first 2 shown]
	v_add_f64_e32 v[2:3], v[2:3], v[133:134]
	v_add_f64_e32 v[137:138], v[97:98], v[135:136]
	ds_load_b128 v[97:100], v206 offset:224
	ds_load_b128 v[133:136], v207
	s_wait_dscnt 0x1
	v_add_f64_e32 v[2:3], v[2:3], v[97:98]
	v_add_f64_e32 v[99:100], v[137:138], v[99:100]
	s_wait_dscnt 0x0
	s_delay_alu instid0(VALU_DEP_2) | instskip(NEXT) | instid1(VALU_DEP_2)
	v_add_f64_e32 v[97:98], v[2:3], v[133:134]
	v_add_f64_e32 v[99:100], v[99:100], v[135:136]
	v_lshlrev_b64_e32 v[2:3], 4, v[184:185]
	s_delay_alu instid0(VALU_DEP_1) | instskip(SKIP_1) | instid1(VALU_DEP_2)
	v_add_co_u32 v2, vcc_lo, s60, v2
	s_wait_alu 0xfffd
	v_add_co_ci_u32_e64 v3, null, s61, v3, vcc_lo
	global_store_b128 v[2:3], v[97:100], off
.LBB191_128:                            ;   in Loop: Header=BB191_78 Depth=2
	s_wait_alu 0xfffe
	s_or_b32 exec_lo, exec_lo, s18
	v_mul_f64_e32 v[2:3], v[15:16], v[27:28]
	v_add_co_u32 v255, vcc_lo, v255, s50
	s_wait_alu 0xfffd
	v_add_co_ci_u32_e64 v209, null, s51, v209, vcc_lo
	v_add_co_u32 v212, vcc_lo, v212, s50
	s_wait_alu 0xfffd
	v_add_co_ci_u32_e64 v213, null, s51, v213, vcc_lo
	;; [unrolled: 3-line block ×9, first 2 shown]
	v_add_co_u32 v228, vcc_lo, v228, s50
	v_fma_f64 v[2:3], v[13:14], v[25:26], -v[2:3]
	v_mul_f64_e32 v[13:14], v[13:14], v[27:28]
	v_mul_f64_e32 v[27:28], v[43:44], v[71:72]
	s_wait_alu 0xfffd
	v_add_co_ci_u32_e64 v229, null, s51, v229, vcc_lo
	v_add_co_u32 v230, vcc_lo, v230, s50
	s_wait_alu 0xfffd
	v_add_co_ci_u32_e64 v231, null, s51, v231, vcc_lo
	v_add_co_u32 v232, vcc_lo, v232, s50
	;; [unrolled: 3-line block ×9, first 2 shown]
	v_fma_f64 v[13:14], v[15:16], v[25:26], v[13:14]
	v_mul_f64_e32 v[15:16], v[11:12], v[39:40]
	v_add_f64_e32 v[2:3], v[5:6], v[2:3]
	v_mul_f64_e32 v[25:26], v[45:46], v[59:60]
	v_fma_f64 v[27:28], v[41:42], v[69:70], -v[27:28]
	s_wait_alu 0xfffd
	v_add_co_ci_u32_e64 v247, null, s51, v247, vcc_lo
	v_add_co_u32 v248, vcc_lo, v248, s50
	v_add_nc_u32_e32 v184, 64, v184
	s_wait_alu 0xfffd
	v_add_co_ci_u32_e64 v249, null, s51, v249, vcc_lo
	s_add_co_i32 s18, s19, 1
	s_add_co_i32 s19, s19, 2
	;; [unrolled: 1-line block ×3, first 2 shown]
	s_wait_alu 0xfffe
	s_cmp_ge_u32 s19, s30
	s_wait_loadcnt 0x0
	s_wait_storecnt 0x0
	s_barrier_signal -1
	s_barrier_wait -1
	global_inv scope:SCOPE_SE
	v_add_f64_e32 v[4:5], v[7:8], v[13:14]
	v_fma_f64 v[15:16], v[9:10], v[37:38], -v[15:16]
	v_mul_f64_e32 v[9:10], v[9:10], v[39:40]
	v_fma_f64 v[25:26], v[47:48], v[57:58], v[25:26]
	v_mul_f64_e32 v[39:40], v[79:80], v[107:108]
	s_delay_alu instid0(VALU_DEP_4) | instskip(NEXT) | instid1(VALU_DEP_4)
	v_add_f64_e32 v[2:3], v[2:3], v[15:16]
	v_fma_f64 v[9:10], v[11:12], v[37:38], v[9:10]
	v_mul_f64_e32 v[11:12], v[19:20], v[35:36]
	v_mul_f64_e32 v[37:38], v[53:54], v[63:64]
	v_fma_f64 v[39:40], v[77:78], v[105:106], -v[39:40]
	s_delay_alu instid0(VALU_DEP_4) | instskip(NEXT) | instid1(VALU_DEP_4)
	v_add_f64_e32 v[4:5], v[4:5], v[9:10]
	v_fma_f64 v[11:12], v[17:18], v[33:34], -v[11:12]
	v_mul_f64_e32 v[17:18], v[17:18], v[35:36]
	v_mul_f64_e32 v[35:36], v[55:56], v[63:64]
	v_fma_f64 v[37:38], v[55:56], v[61:62], v[37:38]
	v_mul_f64_e32 v[55:56], v[127:128], v[155:156]
	v_mul_f64_e32 v[63:64], v[131:132], v[91:92]
	v_add_f64_e32 v[2:3], v[2:3], v[11:12]
	v_fma_f64 v[17:18], v[19:20], v[33:34], v[17:18]
	v_mul_f64_e32 v[19:20], v[23:24], v[31:32]
	v_mul_f64_e32 v[33:34], v[49:50], v[67:68]
	v_fma_f64 v[35:36], v[53:54], v[61:62], -v[35:36]
	v_mul_f64_e32 v[53:54], v[101:102], v[111:112]
	v_fma_f64 v[55:56], v[125:126], v[153:154], -v[55:56]
	;; [unrolled: 2-line block ×3, first 2 shown]
	v_add_f64_e32 v[4:5], v[4:5], v[17:18]
	v_fma_f64 v[19:20], v[21:22], v[29:30], -v[19:20]
	v_mul_f64_e32 v[21:22], v[21:22], v[31:32]
	v_mul_f64_e32 v[31:32], v[51:52], v[67:68]
	v_fma_f64 v[33:34], v[51:52], v[65:66], v[33:34]
	v_mul_f64_e32 v[51:52], v[103:104], v[111:112]
	v_fma_f64 v[53:54], v[103:104], v[109:110], v[53:54]
	v_fma_f64 v[61:62], v[119:120], v[93:94], v[61:62]
	v_mul_f64_e32 v[67:68], v[151:152], v[87:88]
	v_add_f64_e32 v[2:3], v[2:3], v[19:20]
	v_fma_f64 v[21:22], v[23:24], v[29:30], v[21:22]
	v_mul_f64_e32 v[23:24], v[47:48], v[59:60]
	v_mul_f64_e32 v[29:30], v[41:42], v[71:72]
	v_fma_f64 v[31:32], v[49:50], v[65:66], -v[31:32]
	v_mul_f64_e32 v[41:42], v[77:78], v[107:108]
	v_mul_f64_e32 v[47:48], v[83:84], v[115:116]
	v_mul_f64_e32 v[49:50], v[81:82], v[115:116]
	v_fma_f64 v[51:52], v[101:102], v[109:110], -v[51:52]
	v_mul_f64_e32 v[59:60], v[119:120], v[95:96]
	v_mul_f64_e32 v[65:66], v[129:130], v[91:92]
	v_fma_f64 v[67:68], v[149:150], v[85:86], -v[67:68]
	v_add_f64_e32 v[4:5], v[4:5], v[21:22]
	v_fma_f64 v[23:24], v[45:46], v[57:58], -v[23:24]
	v_fma_f64 v[29:30], v[43:44], v[69:70], v[29:30]
	v_mul_f64_e32 v[43:44], v[75:76], v[123:124]
	v_fma_f64 v[41:42], v[79:80], v[105:106], v[41:42]
	v_mul_f64_e32 v[45:46], v[73:74], v[123:124]
	v_fma_f64 v[47:48], v[81:82], v[113:114], -v[47:48]
	v_fma_f64 v[49:50], v[83:84], v[113:114], v[49:50]
	v_mul_f64_e32 v[57:58], v[125:126], v[155:156]
	v_fma_f64 v[59:60], v[117:118], v[93:94], -v[59:60]
	v_fma_f64 v[65:66], v[131:132], v[89:90], v[65:66]
	v_mul_f64_e32 v[69:70], v[149:150], v[87:88]
	v_add_f64_e32 v[4:5], v[4:5], v[25:26]
	v_add_f64_e32 v[2:3], v[2:3], v[23:24]
	v_fma_f64 v[43:44], v[73:74], v[121:122], -v[43:44]
	v_fma_f64 v[45:46], v[75:76], v[121:122], v[45:46]
	v_fma_f64 v[57:58], v[127:128], v[153:154], v[57:58]
	;; [unrolled: 1-line block ×3, first 2 shown]
	v_add_f64_e32 v[4:5], v[4:5], v[29:30]
	v_add_f64_e32 v[2:3], v[2:3], v[27:28]
	s_delay_alu instid0(VALU_DEP_2) | instskip(NEXT) | instid1(VALU_DEP_2)
	v_add_f64_e32 v[4:5], v[4:5], v[33:34]
	v_add_f64_e32 v[2:3], v[2:3], v[31:32]
	s_delay_alu instid0(VALU_DEP_2) | instskip(NEXT) | instid1(VALU_DEP_2)
	;; [unrolled: 3-line block ×10, first 2 shown]
	v_add_f64_e32 v[7:8], v[7:8], v[69:70]
	v_add_f64_e32 v[5:6], v[2:3], v[67:68]
	s_cbranch_scc1 .LBB191_130
; %bb.129:                              ;   in Loop: Header=BB191_78 Depth=2
	s_mov_b32 s19, s18
	s_wait_alu 0xfffe
	s_cmp_eq_u32 s69, s19
	s_cselect_b32 s73, s31, 0
	s_and_saveexec_b32 s18, s0
	s_cbranch_execnz .LBB191_74
	s_branch .LBB191_78
.LBB191_130:                            ;   in Loop: Header=BB191_4 Depth=1
	scratch_load_b32 v2, off, off offset:8  ; 4-byte Folded Reload
	s_wait_loadcnt 0x0
	ds_store_b128 v2, v[5:8]
	s_wait_dscnt 0x0
	s_barrier_signal -1
	s_barrier_wait -1
	global_inv scope:SCOPE_SE
	s_and_saveexec_b32 s18, s71
	s_cbranch_execz .LBB191_2
; %bb.131:                              ;   in Loop: Header=BB191_4 Depth=1
	v_lshlrev_b32_e32 v14, 4, v173
	ds_load_b128 v[2:5], v14 offset:1072
	ds_load_b128 v[6:9], v14
	s_wait_dscnt 0x0
	v_add_f64_e32 v[10:11], v[2:3], v[6:7]
	v_add_f64_e32 v[12:13], v[4:5], v[8:9]
	ds_load_b128 v[2:5], v14 offset:2144
	ds_load_b128 v[6:9], v14 offset:3216
	s_wait_dscnt 0x1
	v_add_f64_e32 v[2:3], v[10:11], v[2:3]
	v_add_f64_e32 v[4:5], v[12:13], v[4:5]
	s_wait_dscnt 0x0
	s_delay_alu instid0(VALU_DEP_2)
	v_add_f64_e32 v[2:3], v[2:3], v[6:7]
	scratch_load_b64 v[6:7], off, off offset:196 ; 8-byte Folded Reload
	v_add_f64_e32 v[4:5], v[4:5], v[8:9]
	s_wait_loadcnt 0x0
	s_wait_alu 0xfffe
	v_add_co_u32 v6, vcc_lo, s60, v6
	s_wait_alu 0xfffd
	v_add_co_ci_u32_e64 v7, null, s61, v7, vcc_lo
	global_store_b128 v[6:7], v[2:5], off
	s_branch .LBB191_2
.LBB191_132:                            ;   in Loop: Header=BB191_4 Depth=1
	scratch_load_b32 v8, off, off           ; 4-byte Folded Reload
	ds_load_b128 v[4:7], v250
	s_wait_loadcnt_dscnt 0x0
	ds_store_b128 v8, v[4:7]
	s_wait_alu 0xfffe
	s_or_b32 exec_lo, exec_lo, s18
	s_and_saveexec_b32 s18, s7
	s_cbranch_execz .LBB191_28
.LBB191_133:                            ;   in Loop: Header=BB191_4 Depth=1
	scratch_load_b32 v8, off, off           ; 4-byte Folded Reload
	ds_load_b128 v[4:7], v208
	s_wait_loadcnt 0x0
	v_add_nc_u32_e32 v8, 16, v8
	s_wait_dscnt 0x0
	ds_store_b128 v8, v[4:7]
	s_wait_alu 0xfffe
	s_or_b32 exec_lo, exec_lo, s18
	s_and_saveexec_b32 s18, s8
	s_cbranch_execz .LBB191_29
.LBB191_134:                            ;   in Loop: Header=BB191_4 Depth=1
	scratch_load_b32 v8, off, off           ; 4-byte Folded Reload
	v_add_nc_u32_e32 v4, 0x210, v208
	ds_load_b128 v[4:7], v4
	s_wait_loadcnt 0x0
	v_add_nc_u32_e32 v8, 32, v8
	s_wait_dscnt 0x0
	ds_store_b128 v8, v[4:7]
	s_wait_alu 0xfffe
	s_or_b32 exec_lo, exec_lo, s18
	s_and_saveexec_b32 s18, s9
	s_cbranch_execnz .LBB191_30
	s_branch .LBB191_31
.LBB191_135:                            ;   in Loop: Header=BB191_4 Depth=1
	ds_load_b128 v[11:14], v250
	s_wait_dscnt 0x0
	ds_store_b128 v195, v[11:14]
	s_wait_alu 0xfffe
	s_or_b32 exec_lo, exec_lo, s18
	s_and_saveexec_b32 s18, s7
	s_cbranch_execz .LBB191_49
.LBB191_136:                            ;   in Loop: Header=BB191_4 Depth=1
	ds_load_b128 v[11:14], v208
	v_add_nc_u32_e32 v2, 16, v195
	s_wait_dscnt 0x0
	ds_store_b128 v2, v[11:14]
	s_wait_alu 0xfffe
	s_or_b32 exec_lo, exec_lo, s18
	s_and_saveexec_b32 s18, s8
	s_cbranch_execz .LBB191_50
.LBB191_137:                            ;   in Loop: Header=BB191_4 Depth=1
	v_add_nc_u32_e32 v2, 0x210, v208
	ds_load_b128 v[11:14], v2
	v_add_nc_u32_e32 v2, 32, v195
	s_wait_dscnt 0x0
	ds_store_b128 v2, v[11:14]
	s_wait_alu 0xfffe
	s_or_b32 exec_lo, exec_lo, s18
	s_and_saveexec_b32 s18, s9
	s_cbranch_execnz .LBB191_51
	s_branch .LBB191_52
.LBB191_138:                            ;   in Loop: Header=BB191_4 Depth=1
	flat_load_b128 v[9:12], v[7:8]
	s_wait_loadcnt_dscnt 0x0
	ds_store_2addr_b64 v188, v[9:10], v[11:12] offset1:1
	s_or_b32 exec_lo, exec_lo, s18
	s_and_saveexec_b32 s18, s3
	s_wait_alu 0xfffe
	s_xor_b32 s18, exec_lo, s18
	s_cbranch_execz .LBB191_17
.LBB191_139:                            ;   in Loop: Header=BB191_4 Depth=1
	v_dual_mov_b32 v2, v1 :: v_dual_mov_b32 v3, v1
	v_dual_mov_b32 v4, v1 :: v_dual_add_nc_u32 v9, 0x1080, v188
	ds_store_b128 v9, v[1:4]
	s_wait_alu 0xfffe
	s_and_not1_saveexec_b32 s18, s18
	s_cbranch_execz .LBB191_18
.LBB191_140:                            ;   in Loop: Header=BB191_4 Depth=1
	s_lshl_b64 s[60:61], s[38:39], 4
	s_wait_alu 0xfffe
	v_add_co_u32 v2, vcc_lo, v7, s60
	s_wait_alu 0xfffd
	v_add_co_ci_u32_e64 v3, null, s61, v8, vcc_lo
	flat_load_b128 v[9:12], v[2:3]
	v_add_nc_u32_e32 v2, 0x1080, v188
	s_wait_loadcnt_dscnt 0x0
	ds_store_2addr_b64 v2, v[9:10], v[11:12] offset1:1
	s_or_b32 exec_lo, exec_lo, s18
	s_and_saveexec_b32 s18, s4
	s_wait_alu 0xfffe
	s_xor_b32 s18, exec_lo, s18
	s_cbranch_execz .LBB191_19
.LBB191_141:                            ;   in Loop: Header=BB191_4 Depth=1
	v_dual_mov_b32 v2, v1 :: v_dual_mov_b32 v3, v1
	v_dual_mov_b32 v4, v1 :: v_dual_add_nc_u32 v9, 0x2100, v188
	ds_store_b128 v9, v[1:4]
	s_wait_alu 0xfffe
	s_and_not1_saveexec_b32 s18, s18
	s_cbranch_execz .LBB191_20
.LBB191_142:                            ;   in Loop: Header=BB191_4 Depth=1
	v_add_co_u32 v2, vcc_lo, v7, s52
	s_wait_alu 0xfffd
	v_add_co_ci_u32_e64 v3, null, s53, v8, vcc_lo
	flat_load_b128 v[9:12], v[2:3]
	v_add_nc_u32_e32 v2, 0x2100, v188
	s_wait_loadcnt_dscnt 0x0
	ds_store_2addr_b64 v2, v[9:10], v[11:12] offset1:1
	s_wait_alu 0xfffe
	s_or_b32 exec_lo, exec_lo, s18
	s_and_saveexec_b32 s18, s5
	s_wait_alu 0xfffe
	s_xor_b32 s18, exec_lo, s18
	s_cbranch_execz .LBB191_21
.LBB191_143:                            ;   in Loop: Header=BB191_4 Depth=1
	v_dual_mov_b32 v2, v1 :: v_dual_mov_b32 v3, v1
	v_dual_mov_b32 v4, v1 :: v_dual_add_nc_u32 v9, 0x3180, v188
	ds_store_b128 v9, v[1:4]
	s_wait_alu 0xfffe
	s_and_not1_saveexec_b32 s18, s18
	s_cbranch_execnz .LBB191_22
	s_branch .LBB191_23
.LBB191_144:                            ;   in Loop: Header=BB191_4 Depth=1
	flat_load_b128 v[15:18], v[9:10]
	s_wait_loadcnt_dscnt 0x0
	ds_store_2addr_b64 v188, v[15:16], v[17:18] offset1:1
	s_or_b32 exec_lo, exec_lo, s18
	s_and_saveexec_b32 s18, s13
	s_wait_alu 0xfffe
	s_xor_b32 s18, exec_lo, s18
	s_cbranch_execz .LBB191_38
.LBB191_145:                            ;   in Loop: Header=BB191_4 Depth=1
	v_dual_mov_b32 v2, v1 :: v_dual_mov_b32 v3, v1
	v_dual_mov_b32 v4, v1 :: v_dual_add_nc_u32 v15, 0x1080, v188
	ds_store_b128 v15, v[1:4]
	s_wait_alu 0xfffe
	s_and_not1_saveexec_b32 s18, s18
	s_cbranch_execz .LBB191_39
.LBB191_146:                            ;   in Loop: Header=BB191_4 Depth=1
	s_lshl_b64 s[60:61], s[38:39], 4
	s_wait_alu 0xfffe
	v_add_co_u32 v2, vcc_lo, v9, s60
	s_wait_alu 0xfffd
	v_add_co_ci_u32_e64 v3, null, s61, v10, vcc_lo
	flat_load_b128 v[15:18], v[2:3]
	v_add_nc_u32_e32 v2, 0x1080, v188
	s_wait_loadcnt_dscnt 0x0
	ds_store_2addr_b64 v2, v[15:16], v[17:18] offset1:1
	s_or_b32 exec_lo, exec_lo, s18
	s_and_saveexec_b32 s18, s14
	s_wait_alu 0xfffe
	s_xor_b32 s18, exec_lo, s18
	s_cbranch_execz .LBB191_40
.LBB191_147:                            ;   in Loop: Header=BB191_4 Depth=1
	v_dual_mov_b32 v2, v1 :: v_dual_mov_b32 v3, v1
	v_dual_mov_b32 v4, v1 :: v_dual_add_nc_u32 v15, 0x2100, v188
	ds_store_b128 v15, v[1:4]
	s_wait_alu 0xfffe
	s_and_not1_saveexec_b32 s18, s18
	s_cbranch_execz .LBB191_41
.LBB191_148:                            ;   in Loop: Header=BB191_4 Depth=1
	v_add_co_u32 v2, vcc_lo, v9, s52
	s_wait_alu 0xfffd
	v_add_co_ci_u32_e64 v3, null, s53, v10, vcc_lo
	flat_load_b128 v[15:18], v[2:3]
	v_add_nc_u32_e32 v2, 0x2100, v188
	s_wait_loadcnt_dscnt 0x0
	ds_store_2addr_b64 v2, v[15:16], v[17:18] offset1:1
	s_wait_alu 0xfffe
	s_or_b32 exec_lo, exec_lo, s18
	s_and_saveexec_b32 s18, s15
	s_wait_alu 0xfffe
	s_xor_b32 s18, exec_lo, s18
	s_cbranch_execz .LBB191_42
.LBB191_149:                            ;   in Loop: Header=BB191_4 Depth=1
	v_dual_mov_b32 v2, v1 :: v_dual_mov_b32 v3, v1
	v_dual_mov_b32 v4, v1 :: v_dual_add_nc_u32 v15, 0x3180, v188
	ds_store_b128 v15, v[1:4]
	s_wait_alu 0xfffe
	s_and_not1_saveexec_b32 s18, s18
	s_cbranch_execnz .LBB191_43
	s_branch .LBB191_44
.LBB191_150:                            ;   in Loop: Header=BB191_4 Depth=1
	flat_load_b128 v[15:18], v[13:14]
	s_wait_loadcnt_dscnt 0x0
	ds_store_2addr_b64 v188, v[15:16], v[17:18] offset1:1
	s_or_b32 exec_lo, exec_lo, s18
	s_and_saveexec_b32 s18, s13
	s_wait_alu 0xfffe
	s_xor_b32 s18, exec_lo, s18
	s_cbranch_execz .LBB191_59
.LBB191_151:                            ;   in Loop: Header=BB191_4 Depth=1
	v_dual_mov_b32 v2, v1 :: v_dual_mov_b32 v3, v1
	v_dual_mov_b32 v4, v1 :: v_dual_add_nc_u32 v15, 0x1080, v188
	ds_store_b128 v15, v[1:4]
	s_wait_alu 0xfffe
	s_and_not1_saveexec_b32 s18, s18
	s_cbranch_execz .LBB191_60
.LBB191_152:                            ;   in Loop: Header=BB191_4 Depth=1
	s_lshl_b64 s[60:61], s[38:39], 4
	s_wait_alu 0xfffe
	v_add_co_u32 v2, vcc_lo, v13, s60
	s_wait_alu 0xfffd
	v_add_co_ci_u32_e64 v3, null, s61, v14, vcc_lo
	flat_load_b128 v[15:18], v[2:3]
	v_add_nc_u32_e32 v2, 0x1080, v188
	s_wait_loadcnt_dscnt 0x0
	ds_store_2addr_b64 v2, v[15:16], v[17:18] offset1:1
	s_or_b32 exec_lo, exec_lo, s18
	s_and_saveexec_b32 s18, s14
	s_wait_alu 0xfffe
	s_xor_b32 s18, exec_lo, s18
	s_cbranch_execz .LBB191_61
.LBB191_153:                            ;   in Loop: Header=BB191_4 Depth=1
	v_dual_mov_b32 v2, v1 :: v_dual_mov_b32 v3, v1
	v_dual_mov_b32 v4, v1 :: v_dual_add_nc_u32 v15, 0x2100, v188
	ds_store_b128 v15, v[1:4]
	s_wait_alu 0xfffe
	s_and_not1_saveexec_b32 s18, s18
	s_cbranch_execz .LBB191_62
.LBB191_154:                            ;   in Loop: Header=BB191_4 Depth=1
	v_add_co_u32 v2, vcc_lo, v13, s52
	s_wait_alu 0xfffd
	v_add_co_ci_u32_e64 v3, null, s53, v14, vcc_lo
	flat_load_b128 v[15:18], v[2:3]
	v_add_nc_u32_e32 v2, 0x2100, v188
	s_wait_loadcnt_dscnt 0x0
	ds_store_2addr_b64 v2, v[15:16], v[17:18] offset1:1
	s_wait_alu 0xfffe
	s_or_b32 exec_lo, exec_lo, s18
	s_and_saveexec_b32 s18, s15
	s_wait_alu 0xfffe
	s_xor_b32 s18, exec_lo, s18
	s_cbranch_execz .LBB191_63
.LBB191_155:                            ;   in Loop: Header=BB191_4 Depth=1
	v_dual_mov_b32 v2, v1 :: v_dual_mov_b32 v3, v1
	v_dual_mov_b32 v4, v1 :: v_dual_add_nc_u32 v15, 0x3180, v188
	ds_store_b128 v15, v[1:4]
	s_wait_alu 0xfffe
	s_and_not1_saveexec_b32 s18, s18
	s_cbranch_execnz .LBB191_64
	s_branch .LBB191_65
.LBB191_156:
	s_nop 0
	s_sendmsg sendmsg(MSG_DEALLOC_VGPRS)
	s_endpgm
	.section	.rodata,"a",@progbits
	.p2align	6, 0x0
	.amdhsa_kernel _ZL26rocblas_hemvn_kernel_upperILb0ELi64ELi4ELi33ELi32ELi16Ei19rocblas_complex_numIdEPKPKS1_PS1_EviT6_lT7_lT5_lS8_lS9_lS7_lT8_i
		.amdhsa_group_segment_fixed_size 19200
		.amdhsa_private_segment_fixed_size 208
		.amdhsa_kernarg_size 392
		.amdhsa_user_sgpr_count 2
		.amdhsa_user_sgpr_dispatch_ptr 0
		.amdhsa_user_sgpr_queue_ptr 0
		.amdhsa_user_sgpr_kernarg_segment_ptr 1
		.amdhsa_user_sgpr_dispatch_id 0
		.amdhsa_user_sgpr_private_segment_size 0
		.amdhsa_wavefront_size32 1
		.amdhsa_uses_dynamic_stack 0
		.amdhsa_enable_private_segment 1
		.amdhsa_system_sgpr_workgroup_id_x 1
		.amdhsa_system_sgpr_workgroup_id_y 0
		.amdhsa_system_sgpr_workgroup_id_z 1
		.amdhsa_system_sgpr_workgroup_info 0
		.amdhsa_system_vgpr_workitem_id 1
		.amdhsa_next_free_vgpr 256
		.amdhsa_next_free_sgpr 86
		.amdhsa_reserve_vcc 1
		.amdhsa_float_round_mode_32 0
		.amdhsa_float_round_mode_16_64 0
		.amdhsa_float_denorm_mode_32 3
		.amdhsa_float_denorm_mode_16_64 3
		.amdhsa_fp16_overflow 0
		.amdhsa_workgroup_processor_mode 1
		.amdhsa_memory_ordered 1
		.amdhsa_forward_progress 1
		.amdhsa_inst_pref_size 111
		.amdhsa_round_robin_scheduling 0
		.amdhsa_exception_fp_ieee_invalid_op 0
		.amdhsa_exception_fp_denorm_src 0
		.amdhsa_exception_fp_ieee_div_zero 0
		.amdhsa_exception_fp_ieee_overflow 0
		.amdhsa_exception_fp_ieee_underflow 0
		.amdhsa_exception_fp_ieee_inexact 0
		.amdhsa_exception_int_div_zero 0
	.end_amdhsa_kernel
	.section	.text._ZL26rocblas_hemvn_kernel_upperILb0ELi64ELi4ELi33ELi32ELi16Ei19rocblas_complex_numIdEPKPKS1_PS1_EviT6_lT7_lT5_lS8_lS9_lS7_lT8_i,"axG",@progbits,_ZL26rocblas_hemvn_kernel_upperILb0ELi64ELi4ELi33ELi32ELi16Ei19rocblas_complex_numIdEPKPKS1_PS1_EviT6_lT7_lT5_lS8_lS9_lS7_lT8_i,comdat
.Lfunc_end191:
	.size	_ZL26rocblas_hemvn_kernel_upperILb0ELi64ELi4ELi33ELi32ELi16Ei19rocblas_complex_numIdEPKPKS1_PS1_EviT6_lT7_lT5_lS8_lS9_lS7_lT8_i, .Lfunc_end191-_ZL26rocblas_hemvn_kernel_upperILb0ELi64ELi4ELi33ELi32ELi16Ei19rocblas_complex_numIdEPKPKS1_PS1_EviT6_lT7_lT5_lS8_lS9_lS7_lT8_i
                                        ; -- End function
	.set _ZL26rocblas_hemvn_kernel_upperILb0ELi64ELi4ELi33ELi32ELi16Ei19rocblas_complex_numIdEPKPKS1_PS1_EviT6_lT7_lT5_lS8_lS9_lS7_lT8_i.num_vgpr, 256
	.set _ZL26rocblas_hemvn_kernel_upperILb0ELi64ELi4ELi33ELi32ELi16Ei19rocblas_complex_numIdEPKPKS1_PS1_EviT6_lT7_lT5_lS8_lS9_lS7_lT8_i.num_agpr, 0
	.set _ZL26rocblas_hemvn_kernel_upperILb0ELi64ELi4ELi33ELi32ELi16Ei19rocblas_complex_numIdEPKPKS1_PS1_EviT6_lT7_lT5_lS8_lS9_lS7_lT8_i.numbered_sgpr, 86
	.set _ZL26rocblas_hemvn_kernel_upperILb0ELi64ELi4ELi33ELi32ELi16Ei19rocblas_complex_numIdEPKPKS1_PS1_EviT6_lT7_lT5_lS8_lS9_lS7_lT8_i.num_named_barrier, 0
	.set _ZL26rocblas_hemvn_kernel_upperILb0ELi64ELi4ELi33ELi32ELi16Ei19rocblas_complex_numIdEPKPKS1_PS1_EviT6_lT7_lT5_lS8_lS9_lS7_lT8_i.private_seg_size, 208
	.set _ZL26rocblas_hemvn_kernel_upperILb0ELi64ELi4ELi33ELi32ELi16Ei19rocblas_complex_numIdEPKPKS1_PS1_EviT6_lT7_lT5_lS8_lS9_lS7_lT8_i.uses_vcc, 1
	.set _ZL26rocblas_hemvn_kernel_upperILb0ELi64ELi4ELi33ELi32ELi16Ei19rocblas_complex_numIdEPKPKS1_PS1_EviT6_lT7_lT5_lS8_lS9_lS7_lT8_i.uses_flat_scratch, 1
	.set _ZL26rocblas_hemvn_kernel_upperILb0ELi64ELi4ELi33ELi32ELi16Ei19rocblas_complex_numIdEPKPKS1_PS1_EviT6_lT7_lT5_lS8_lS9_lS7_lT8_i.has_dyn_sized_stack, 0
	.set _ZL26rocblas_hemvn_kernel_upperILb0ELi64ELi4ELi33ELi32ELi16Ei19rocblas_complex_numIdEPKPKS1_PS1_EviT6_lT7_lT5_lS8_lS9_lS7_lT8_i.has_recursion, 0
	.set _ZL26rocblas_hemvn_kernel_upperILb0ELi64ELi4ELi33ELi32ELi16Ei19rocblas_complex_numIdEPKPKS1_PS1_EviT6_lT7_lT5_lS8_lS9_lS7_lT8_i.has_indirect_call, 0
	.section	.AMDGPU.csdata,"",@progbits
; Kernel info:
; codeLenInByte = 14148
; TotalNumSgprs: 88
; NumVgprs: 256
; ScratchSize: 208
; MemoryBound: 1
; FloatMode: 240
; IeeeMode: 1
; LDSByteSize: 19200 bytes/workgroup (compile time only)
; SGPRBlocks: 0
; VGPRBlocks: 31
; NumSGPRsForWavesPerEU: 88
; NumVGPRsForWavesPerEU: 256
; Occupancy: 5
; WaveLimiterHint : 1
; COMPUTE_PGM_RSRC2:SCRATCH_EN: 1
; COMPUTE_PGM_RSRC2:USER_SGPR: 2
; COMPUTE_PGM_RSRC2:TRAP_HANDLER: 0
; COMPUTE_PGM_RSRC2:TGID_X_EN: 1
; COMPUTE_PGM_RSRC2:TGID_Y_EN: 0
; COMPUTE_PGM_RSRC2:TGID_Z_EN: 1
; COMPUTE_PGM_RSRC2:TIDIG_COMP_CNT: 1
	.section	.text._ZL26rocblas_hemvn_kernel_lowerILb0ELi64ELi4ELi33ELi32ELi16ElPK19rocblas_complex_numIdEPKS3_PS1_EviT6_lT7_lT5_lS8_lS9_lS7_lT8_i,"axG",@progbits,_ZL26rocblas_hemvn_kernel_lowerILb0ELi64ELi4ELi33ELi32ELi16ElPK19rocblas_complex_numIdEPKS3_PS1_EviT6_lT7_lT5_lS8_lS9_lS7_lT8_i,comdat
	.globl	_ZL26rocblas_hemvn_kernel_lowerILb0ELi64ELi4ELi33ELi32ELi16ElPK19rocblas_complex_numIdEPKS3_PS1_EviT6_lT7_lT5_lS8_lS9_lS7_lT8_i ; -- Begin function _ZL26rocblas_hemvn_kernel_lowerILb0ELi64ELi4ELi33ELi32ELi16ElPK19rocblas_complex_numIdEPKS3_PS1_EviT6_lT7_lT5_lS8_lS9_lS7_lT8_i
	.p2align	8
	.type	_ZL26rocblas_hemvn_kernel_lowerILb0ELi64ELi4ELi33ELi32ELi16ElPK19rocblas_complex_numIdEPKS3_PS1_EviT6_lT7_lT5_lS8_lS9_lS7_lT8_i,@function
_ZL26rocblas_hemvn_kernel_lowerILb0ELi64ELi4ELi33ELi32ELi16ElPK19rocblas_complex_numIdEPKS3_PS1_EviT6_lT7_lT5_lS8_lS9_lS7_lT8_i: ; @_ZL26rocblas_hemvn_kernel_lowerILb0ELi64ELi4ELi33ELi32ELi16ElPK19rocblas_complex_numIdEPKS3_PS1_EviT6_lT7_lT5_lS8_lS9_lS7_lT8_i
; %bb.0:
	s_clause 0x1
	s_load_b64 s[2:3], s[0:1], 0x84
	s_load_b32 s33, s[0:1], 0x70
	s_lshr_b32 s34, ttmp7, 16
	s_wait_kmcnt 0x0
	s_lshr_b32 s4, s2, 16
	s_and_b32 s2, s2, 0xffff
	s_and_b32 s3, s3, 0xffff
	s_mul_i32 s2, s4, s2
	s_delay_alu instid0(SALU_CYCLE_1) | instskip(NEXT) | instid1(SALU_CYCLE_1)
	s_mul_i32 s2, s2, s3
	s_cmp_lg_u32 s2, 0x100
	s_cselect_b32 s2, -1, 0
	s_cmp_ge_u32 s34, s33
	s_cselect_b32 s3, -1, 0
	s_delay_alu instid0(SALU_CYCLE_1) | instskip(NEXT) | instid1(SALU_CYCLE_1)
	s_or_b32 s2, s2, s3
	s_and_b32 vcc_lo, exec_lo, s2
	s_cbranch_vccnz .LBB192_105
; %bb.1:
	s_clause 0x1
	s_load_b32 s2, s[0:1], 0x0
	s_load_b64 s[40:41], s[0:1], 0x48
	s_add_nc_u64 s[4:5], s[0:1], 0x78
	s_load_b256 s[20:27], s[0:1], 0x8
	s_load_b32 s42, s[4:5], 0x0
	v_bfe_u32 v16, v0, 10, 10
	v_dual_mov_b32 v2, 0 :: v_dual_and_b32 v153, 0x3ff, v0
	s_clause 0x3
	s_load_b64 s[64:65], s[0:1], 0x28
	s_load_b128 s[28:31], s[0:1], 0x38
	s_load_b64 s[4:5], s[0:1], 0x68
	s_load_b128 s[36:39], s[0:1], 0x58
	v_lshlrev_b32_e32 v17, 6, v16
	v_and_b32_e32 v1, 31, v0
	s_lshl_b32 s66, ttmp9, 6
	s_mov_b32 s43, 0
	v_add_nc_u32_e32 v3, s66, v153
	v_add_nc_u32_e32 v18, v17, v153
	v_lshlrev_b32_e32 v12, 4, v1
	v_lshlrev_b32_e32 v154, 4, v153
	;; [unrolled: 1-line block ×3, first 2 shown]
	v_ashrrev_i32_e32 v4, 31, v3
	v_lshrrev_b32_e32 v14, 5, v18
	s_wait_kmcnt 0x0
	s_ashr_i32 s3, s2, 31
	s_mul_i32 s6, s2, ttmp9
	s_lshr_b32 s0, s3, 26
	s_add_co_i32 s1, s42, -1
	s_add_co_i32 s0, s2, s0
	v_lshlrev_b32_e32 v20, 2, v14
	s_and_not1_b32 s0, s0, 63
	v_lshl_or_b32 v21, v1, 9, v12
	s_sub_co_i32 s0, s2, s0
	s_cmp_eq_u32 ttmp9, s1
	v_or_b32_e32 v23, 1, v20
	s_cselect_b32 s44, s0, 0
	v_lshlrev_b32_e32 v22, 6, v14
	s_cmp_eq_u32 s44, 0
	v_mad_u32_u24 v156, 0x210, v14, v12
	s_cselect_b32 s76, -1, 0
	s_cmp_lg_u32 s44, 0
	v_add_nc_u32_e32 v15, 16, v14
	s_cselect_b32 s1, -1, 0
	s_ashr_i32 s7, s6, 31
	v_mad_u32_u24 v161, 0x840, v14, v12
	v_mad_u32_u24 v163, 0x210, v23, v12
	v_or_b32_e32 v12, 3, v20
	s_lshl_b64 s[6:7], s[6:7], 4
	v_add_nc_u32_e32 v160, v21, v22
	s_add_nc_u64 s[48:49], s[4:5], s[6:7]
	v_cmp_lt_u32_e64 s7, v20, v1
	v_or_b32_e32 v21, 2, v20
	v_mul_u32_u24_e32 v20, 33, v1
	s_sub_co_i32 s16, s44, 32
	v_mul_lo_u32 v9, s40, v4
	v_mul_lo_u32 v10, s41, v3
	v_mad_co_u64_u32 v[5:6], null, s40, v3, 0
	v_mad_co_u64_u32 v[7:8], null, s64, v14, v[1:2]
	v_add_nc_u32_e32 v13, 8, v14
	v_cmp_le_i32_e64 s5, s44, v15
	v_cmp_lt_u32_e64 s10, v12, v1
	v_or_b32_e32 v12, 32, v1
	v_cmp_le_i32_e64 s15, s16, v15
	v_lshlrev_b32_e32 v15, 2, v16
	v_cmp_lt_u32_e64 s9, v21, v1
	v_lshlrev_b32_e32 v21, 4, v14
	v_lshlrev_b32_e32 v166, 4, v20
	v_cmp_le_i32_e64 s4, s44, v13
	v_cmp_gt_i32_e64 s12, s44, v12
	v_cmp_le_i32_e64 s14, s16, v13
	v_mad_co_u64_u32 v[12:13], null, s64, v15, 0
	v_add3_u32 v6, v6, v9, v10
	v_mad_co_u64_u32 v[9:10], null, s65, v14, v[8:9]
	v_add_nc_u32_e32 v19, 24, v14
	v_add_nc_u32_e32 v170, v166, v21
	v_cmp_le_i32_e32 vcc_lo, s44, v153
	s_mul_u64 s[46:47], s[42:43], s[2:3]
	v_sub_co_u32 v10, s3, 0, v1
	v_lshrrev_b32_e32 v20, 4, v18
	v_sub_co_ci_u32_e64 v11, null, 0, 0, s3
	v_cmp_le_i32_e64 s3, s44, v14
	v_cmp_le_i32_e64 s6, s44, v19
	;; [unrolled: 1-line block ×4, first 2 shown]
	v_cmp_eq_u32_e64 s17, 1, v14
	v_mul_i32_i24_e32 v19, 0xffffffd0, v14
	v_mad_u32_u24 v175, v14, 48, v170
	v_mad_co_u64_u32 v[13:14], null, s65, v15, v[13:14]
	s_and_b32 s1, s1, vcc_lo
	v_sub_co_u32 v14, vcc_lo, 0, v7
	v_dual_mov_b32 v8, v9 :: v_dual_add_nc_u32 v169, 0x4700, v22
	v_add_nc_u32_e32 v171, v166, v22
	v_and_b32_e32 v22, 15, v0
	v_sub_co_ci_u32_e64 v15, null, 0, v9, vcc_lo
	v_and_b32_e32 v0, 48, v0
	v_lshlrev_b32_e32 v9, 6, v20
	v_add_nc_u32_e32 v177, 0x4300, v17
	v_or_b32_e32 v17, 0xf0, v154
	s_ashr_i32 s67, s66, 31
	v_lshlrev_b32_e32 v0, 4, v0
	v_mad_u32_u24 v179, 0x430, v22, v9
	v_mul_i32_i24_e32 v9, 0xffffffd0, v20
	v_cmp_eq_u32_e64 s0, 0, v16
	s_wait_alu 0xfffe
	s_mul_u64 s[18:19], s[40:41], s[66:67]
	s_mul_u64 s[50:51], s[64:65], s[66:67]
	s_lshl_b64 s[58:59], s[64:65], 5
	v_lshlrev_b64_e32 v[141:142], 4, v[5:6]
	v_lshlrev_b64_e32 v[143:144], 4, v[7:8]
	;; [unrolled: 1-line block ×6, first 2 shown]
	v_add_nc_u32_e32 v155, 0x4700, v154
	s_lshl_b64 s[52:53], s[64:65], 7
	v_add_nc_u32_e32 v157, 0x1080, v156
	s_lshl_b64 s[54:55], s[64:65], 8
	v_add_nc_u32_e32 v158, 0x2100, v156
	v_add_nc_u32_e32 v159, 0x3180, v156
	v_cmp_gt_i32_e64 s2, s44, v1
	s_ashr_i32 s45, s44, 31
	v_cmp_lt_u32_e64 s8, v23, v1
	v_add_nc_u32_e32 v162, 16, v160
	v_add_nc_u32_e32 v164, 32, v160
	;; [unrolled: 1-line block ×5, first 2 shown]
	v_cmp_gt_u32_e64 s11, 32, v18
	v_add_nc_u32_e32 v172, 16, v171
	v_add_nc_u32_e32 v173, 32, v171
	;; [unrolled: 1-line block ×3, first 2 shown]
	s_xor_b32 s35, s1, -1
	s_sub_nc_u64 s[70:71], 0, s[18:19]
	v_add_nc_u32_e32 v176, 0x4300, v154
	v_mad_u32_u24 v178, 0x10c0, v16, v154
	v_cmp_gt_u32_e64 s18, 64, v18
	v_mad_u32_u24 v180, 0x430, v22, v0
	v_mad_u32_u24 v181, 0x430, v22, v17
	;; [unrolled: 1-line block ×3, first 2 shown]
	v_add_nc_u32_e32 v183, 0x4700, v21
	v_add_nc_u32_e32 v184, v169, v19
	;; [unrolled: 1-line block ×3, first 2 shown]
	s_sub_nc_u64 s[68:69], 0, s[58:59]
	s_cmp_gt_i32 ttmp9, 0
	s_sub_nc_u64 s[72:73], 0, s[50:51]
	s_mul_u64 s[56:57], s[64:65], 0x180
	s_cselect_b32 s77, -1, 0
	s_and_b32 s78, s0, s35
	s_wait_alu 0xfffe
	s_sub_nc_u64 s[60:61], 0, s[44:45]
	s_lshl_b64 s[62:63], s[64:65], 4
	s_mul_u64 s[64:65], s[64:65], 0xd0
	s_lshl_b64 s[30:31], s[30:31], 4
	s_lshl_b64 s[26:27], s[26:27], 4
	;; [unrolled: 1-line block ×6, first 2 shown]
	s_branch .LBB192_4
.LBB192_2:                              ;   in Loop: Header=BB192_4 Depth=1
	s_or_b32 exec_lo, exec_lo, s19
.LBB192_3:                              ;   in Loop: Header=BB192_4 Depth=1
	s_add_co_i32 s34, s34, 0x10000
	s_delay_alu instid0(SALU_CYCLE_1)
	s_cmp_lt_u32 s34, s33
	s_cbranch_scc0 .LBB192_105
.LBB192_4:                              ; =>This Loop Header: Depth=1
                                        ;     Child Loop BB192_75 Depth 2
	s_mov_b32 s35, s43
	s_delay_alu instid0(SALU_CYCLE_1)
	s_mul_u64 s[74:75], s[22:23], s[34:35]
	s_wait_alu 0xfffe
	s_lshl_b64 s[74:75], s[74:75], 4
	s_wait_alu 0xfffe
	s_add_nc_u64 s[74:75], s[20:21], s[74:75]
	global_load_b128 v[3:6], v2, s[74:75]
	s_wait_loadcnt 0x0
	v_cmp_neq_f64_e32 vcc_lo, 0, v[3:4]
	v_cmp_neq_f64_e64 s19, 0, v[5:6]
	s_or_b32 s19, vcc_lo, s19
	s_delay_alu instid0(SALU_CYCLE_1)
	s_and_b32 vcc_lo, exec_lo, s19
	s_mov_b32 s19, -1
	s_wait_alu 0xfffe
	s_cbranch_vccz .LBB192_6
; %bb.5:                                ;   in Loop: Header=BB192_4 Depth=1
	s_and_not1_b32 vcc_lo, exec_lo, s19
	s_wait_alu 0xfffe
	s_cbranch_vccnz .LBB192_3
	s_branch .LBB192_7
.LBB192_6:                              ;   in Loop: Header=BB192_4 Depth=1
	s_mul_u64 s[74:75], s[38:39], s[34:35]
	s_wait_alu 0xfffe
	s_lshl_b64 s[74:75], s[74:75], 4
	s_wait_alu 0xfffe
	s_add_nc_u64 s[74:75], s[36:37], s[74:75]
	global_load_b128 v[3:6], v2, s[74:75]
	s_wait_loadcnt 0x0
	v_cmp_eq_f64_e32 vcc_lo, 1.0, v[3:4]
	v_cmp_eq_f64_e64 s19, 0, v[5:6]
	s_and_b32 s19, vcc_lo, s19
	s_delay_alu instid0(SALU_CYCLE_1)
	s_and_not1_b32 vcc_lo, exec_lo, s19
	s_cbranch_execnz .LBB192_3
.LBB192_7:                              ;   in Loop: Header=BB192_4 Depth=1
	s_lshl_b64 s[74:75], s[34:35], 3
	s_wait_alu 0xfffe
	s_add_nc_u64 s[80:81], s[28:29], s[74:75]
	s_add_nc_u64 s[74:75], s[24:25], s[74:75]
	s_clause 0x1
	global_load_b64 v[0:1], v2, s[80:81]
	global_load_b64 v[5:6], v2, s[74:75]
	s_wait_loadcnt 0x1
	v_add_co_u32 v0, vcc_lo, v0, s30
	s_wait_alu 0xfffd
	v_add_co_ci_u32_e64 v1, null, s31, v1, vcc_lo
	s_delay_alu instid0(VALU_DEP_2) | instskip(SKIP_1) | instid1(VALU_DEP_2)
	v_add_co_u32 v41, vcc_lo, v0, v141
	s_wait_alu 0xfffd
	v_add_co_ci_u32_e64 v42, null, v1, v142, vcc_lo
	s_and_saveexec_b32 s19, s0
	s_cbranch_execz .LBB192_12
; %bb.8:                                ;   in Loop: Header=BB192_4 Depth=1
	s_and_saveexec_b32 s42, s1
	s_wait_alu 0xfffe
	s_xor_b32 s42, exec_lo, s42
; %bb.9:                                ;   in Loop: Header=BB192_4 Depth=1
	v_dual_mov_b32 v1, v2 :: v_dual_mov_b32 v4, v2
	v_mov_b32_e32 v3, v2
	ds_store_b128 v155, v[1:4]
; %bb.10:                               ;   in Loop: Header=BB192_4 Depth=1
	s_wait_alu 0xfffe
	s_and_not1_saveexec_b32 s42, s42
	s_cbranch_execz .LBB192_12
; %bb.11:                               ;   in Loop: Header=BB192_4 Depth=1
	flat_load_b128 v[7:10], v[41:42]
	s_wait_loadcnt_dscnt 0x0
	ds_store_2addr_b64 v155, v[7:8], v[9:10] offset1:1
.LBB192_12:                             ;   in Loop: Header=BB192_4 Depth=1
	s_or_b32 exec_lo, exec_lo, s19
	s_wait_loadcnt 0x0
	v_add_co_u32 v0, vcc_lo, v5, s26
	s_wait_alu 0xfffd
	v_add_co_ci_u32_e64 v1, null, s27, v6, vcc_lo
	s_lshl_b64 s[74:75], s[50:51], 4
	v_add_co_u32 v0, vcc_lo, v0, s66
	s_wait_alu 0xfffd
	v_add_co_ci_u32_e64 v1, null, s67, v1, vcc_lo
	s_mov_b32 s19, -1
	v_add_co_u32 v0, vcc_lo, v0, v143
	s_wait_alu 0xfffd
	v_add_co_ci_u32_e64 v1, null, v1, v144, vcc_lo
	s_wait_alu 0xfffe
	s_delay_alu instid0(VALU_DEP_2) | instskip(SKIP_1) | instid1(VALU_DEP_2)
	v_add_co_u32 v9, vcc_lo, v0, s74
	s_wait_alu 0xfffd
	v_add_co_ci_u32_e64 v10, null, s75, v1, vcc_lo
	s_and_not1_b32 vcc_lo, exec_lo, s76
	s_wait_alu 0xfffe
	s_cbranch_vccnz .LBB192_14
; %bb.13:                               ;   in Loop: Header=BB192_4 Depth=1
	flat_load_b128 v[3:6], v[9:10]
	v_add_co_u32 v0, vcc_lo, v9, s52
	s_wait_alu 0xfffd
	v_add_co_ci_u32_e64 v1, null, s53, v10, vcc_lo
	s_mov_b32 s19, 0
	s_wait_loadcnt_dscnt 0x0
	ds_store_2addr_b64 v156, v[3:4], v[5:6] offset1:1
	flat_load_b128 v[3:6], v[0:1]
	v_add_co_u32 v0, vcc_lo, v0, s52
	s_wait_alu 0xfffd
	v_add_co_ci_u32_e64 v1, null, s53, v1, vcc_lo
	s_wait_loadcnt_dscnt 0x0
	ds_store_2addr_b64 v157, v[3:4], v[5:6] offset1:1
	flat_load_b128 v[3:6], v[0:1]
	v_add_co_u32 v0, vcc_lo, v0, s52
	s_wait_alu 0xfffd
	v_add_co_ci_u32_e64 v1, null, s53, v1, vcc_lo
	s_wait_loadcnt_dscnt 0x0
	ds_store_2addr_b64 v158, v[3:4], v[5:6] offset1:1
	flat_load_b128 v[3:6], v[0:1]
	s_wait_loadcnt_dscnt 0x0
	ds_store_2addr_b64 v159, v[3:4], v[5:6] offset1:1
.LBB192_14:                             ;   in Loop: Header=BB192_4 Depth=1
	s_and_not1_b32 vcc_lo, exec_lo, s19
	s_wait_alu 0xfffe
	s_cbranch_vccnz .LBB192_26
; %bb.15:                               ;   in Loop: Header=BB192_4 Depth=1
	s_and_saveexec_b32 s19, s3
	s_delay_alu instid0(SALU_CYCLE_1)
	s_xor_b32 s19, exec_lo, s19
; %bb.16:                               ;   in Loop: Header=BB192_4 Depth=1
	v_dual_mov_b32 v1, v2 :: v_dual_mov_b32 v4, v2
	v_mov_b32_e32 v3, v2
	ds_store_b128 v156, v[1:4]
; %bb.17:                               ;   in Loop: Header=BB192_4 Depth=1
	s_or_saveexec_b32 s19, s19
	v_add_co_u32 v0, vcc_lo, v9, v145
	s_wait_alu 0xfffd
	v_add_co_ci_u32_e64 v1, null, v10, v146, vcc_lo
	s_lshl_b64 s[74:75], s[44:45], 4
	s_wait_alu 0xfffe
	v_add_co_u32 v0, vcc_lo, v0, s74
	s_wait_alu 0xfffd
	v_add_co_ci_u32_e64 v1, null, s75, v1, vcc_lo
	s_delay_alu instid0(VALU_DEP_2) | instskip(SKIP_1) | instid1(VALU_DEP_2)
	v_add_co_u32 v0, vcc_lo, v0, -16
	s_wait_alu 0xfffd
	v_add_co_ci_u32_e64 v1, null, -1, v1, vcc_lo
	s_delay_alu instid0(VALU_DEP_2) | instskip(NEXT) | instid1(VALU_DEP_2)
	v_cndmask_b32_e64 v5, v0, v9, s2
	v_cndmask_b32_e64 v6, v1, v10, s2
	s_xor_b32 exec_lo, exec_lo, s19
	s_cbranch_execnz .LBB192_87
; %bb.18:                               ;   in Loop: Header=BB192_4 Depth=1
	s_or_b32 exec_lo, exec_lo, s19
	s_and_saveexec_b32 s19, s4
	s_delay_alu instid0(SALU_CYCLE_1)
	s_xor_b32 s19, exec_lo, s19
	s_cbranch_execnz .LBB192_88
.LBB192_19:                             ;   in Loop: Header=BB192_4 Depth=1
	s_and_not1_saveexec_b32 s19, s19
	s_cbranch_execnz .LBB192_89
.LBB192_20:                             ;   in Loop: Header=BB192_4 Depth=1
	s_or_b32 exec_lo, exec_lo, s19
	s_and_saveexec_b32 s19, s5
	s_delay_alu instid0(SALU_CYCLE_1)
	s_xor_b32 s19, exec_lo, s19
	s_cbranch_execnz .LBB192_90
.LBB192_21:                             ;   in Loop: Header=BB192_4 Depth=1
	s_and_not1_saveexec_b32 s19, s19
	s_cbranch_execnz .LBB192_91
.LBB192_22:                             ;   in Loop: Header=BB192_4 Depth=1
	s_or_b32 exec_lo, exec_lo, s19
	s_and_saveexec_b32 s19, s6
	s_delay_alu instid0(SALU_CYCLE_1)
	s_xor_b32 s19, exec_lo, s19
	s_cbranch_execnz .LBB192_92
.LBB192_23:                             ;   in Loop: Header=BB192_4 Depth=1
	s_and_not1_saveexec_b32 s19, s19
	s_cbranch_execz .LBB192_25
.LBB192_24:                             ;   in Loop: Header=BB192_4 Depth=1
	v_add_co_u32 v0, vcc_lo, v5, s56
	s_wait_alu 0xfffd
	v_add_co_ci_u32_e64 v1, null, s57, v6, vcc_lo
	flat_load_b128 v[11:14], v[0:1]
	s_wait_loadcnt_dscnt 0x0
	ds_store_2addr_b64 v159, v[11:12], v[13:14] offset1:1
.LBB192_25:                             ;   in Loop: Header=BB192_4 Depth=1
	s_or_b32 exec_lo, exec_lo, s19
	v_add_co_u32 v0, vcc_lo, v5, v186
	s_wait_alu 0xfffd
	v_add_co_ci_u32_e64 v1, null, 0, v6, vcc_lo
	s_lshl_b64 s[74:75], s[60:61], 4
	s_wait_alu 0xfffe
	v_add_co_u32 v0, vcc_lo, v0, s74
	s_wait_alu 0xfffd
	v_add_co_ci_u32_e64 v1, null, s75, v1, vcc_lo
	s_delay_alu instid0(VALU_DEP_2) | instskip(SKIP_1) | instid1(VALU_DEP_2)
	v_add_co_u32 v0, vcc_lo, v0, 16
	s_wait_alu 0xfffd
	v_add_co_ci_u32_e64 v1, null, 0, v1, vcc_lo
	s_delay_alu instid0(VALU_DEP_2) | instskip(NEXT) | instid1(VALU_DEP_2)
	v_cndmask_b32_e64 v9, v0, v9, s2
	v_cndmask_b32_e64 v10, v1, v10, s2
.LBB192_26:                             ;   in Loop: Header=BB192_4 Depth=1
	s_wait_dscnt 0x0
	s_barrier_signal -1
	s_barrier_wait -1
	global_inv scope:SCOPE_SE
	s_and_saveexec_b32 s19, s7
	s_cbranch_execnz .LBB192_81
; %bb.27:                               ;   in Loop: Header=BB192_4 Depth=1
	s_or_b32 exec_lo, exec_lo, s19
	s_and_saveexec_b32 s19, s8
	s_cbranch_execnz .LBB192_82
.LBB192_28:                             ;   in Loop: Header=BB192_4 Depth=1
	s_or_b32 exec_lo, exec_lo, s19
	s_and_saveexec_b32 s19, s9
	s_cbranch_execnz .LBB192_83
.LBB192_29:                             ;   in Loop: Header=BB192_4 Depth=1
	s_or_b32 exec_lo, exec_lo, s19
	s_and_saveexec_b32 s19, s10
	s_cbranch_execz .LBB192_31
.LBB192_30:                             ;   in Loop: Header=BB192_4 Depth=1
	ds_load_b128 v[3:6], v168
	s_wait_dscnt 0x0
	ds_store_b128 v167, v[3:6]
.LBB192_31:                             ;   in Loop: Header=BB192_4 Depth=1
	s_or_b32 exec_lo, exec_lo, s19
	s_wait_loadcnt_dscnt 0x0
	s_barrier_signal -1
	s_barrier_wait -1
	global_inv scope:SCOPE_SE
	ds_load_b128 v[3:6], v161
	ds_load_b128 v[11:14], v169
	ds_load_b128 v[15:18], v169 offset:16
	ds_load_b128 v[19:22], v163
	s_wait_dscnt 0x2
	v_mul_f64_e32 v[0:1], v[13:14], v[5:6]
	v_mul_f64_e32 v[5:6], v[11:12], v[5:6]
	s_wait_dscnt 0x0
	v_mul_f64_e32 v[7:8], v[17:18], v[21:22]
	v_mul_f64_e32 v[29:30], v[15:16], v[21:22]
	s_delay_alu instid0(VALU_DEP_4) | instskip(NEXT) | instid1(VALU_DEP_4)
	v_fma_f64 v[0:1], v[11:12], v[3:4], -v[0:1]
	v_fma_f64 v[31:32], v[13:14], v[3:4], v[5:6]
	ds_load_b128 v[3:6], v165
	ds_load_b128 v[11:14], v169 offset:32
	ds_load_b128 v[21:24], v169 offset:48
	ds_load_b128 v[25:28], v168
	v_fma_f64 v[7:8], v[15:16], v[19:20], -v[7:8]
	v_fma_f64 v[15:16], v[17:18], v[19:20], v[29:30]
	s_wait_loadcnt_dscnt 0x0
	s_barrier_signal -1
	s_barrier_wait -1
	global_inv scope:SCOPE_SE
	v_mul_f64_e32 v[33:34], v[13:14], v[5:6]
	v_mul_f64_e32 v[5:6], v[11:12], v[5:6]
	;; [unrolled: 1-line block ×4, first 2 shown]
	v_add_f64_e32 v[0:1], 0, v[0:1]
	v_add_f64_e32 v[17:18], 0, v[31:32]
	v_fma_f64 v[11:12], v[11:12], v[3:4], -v[33:34]
	v_fma_f64 v[3:4], v[13:14], v[3:4], v[5:6]
	v_fma_f64 v[13:14], v[23:24], v[25:26], v[27:28]
	v_add_f64_e32 v[0:1], v[0:1], v[7:8]
	v_add_f64_e32 v[5:6], v[17:18], v[15:16]
	v_fma_f64 v[7:8], v[21:22], v[25:26], -v[19:20]
	s_delay_alu instid0(VALU_DEP_3) | instskip(NEXT) | instid1(VALU_DEP_3)
	v_add_f64_e32 v[0:1], v[0:1], v[11:12]
	v_add_f64_e32 v[3:4], v[5:6], v[3:4]
	v_mov_b32_e32 v5, 0
	v_mov_b32_e32 v6, 0
	s_delay_alu instid0(VALU_DEP_4) | instskip(NEXT) | instid1(VALU_DEP_4)
	v_add_f64_e32 v[11:12], v[0:1], v[7:8]
	v_add_f64_e32 v[13:14], v[3:4], v[13:14]
	v_mov_b32_e32 v7, 0
	v_mov_b32_e32 v8, 0
	ds_store_b128 v170, v[11:14]
	s_wait_loadcnt_dscnt 0x0
	s_barrier_signal -1
	s_barrier_wait -1
	global_inv scope:SCOPE_SE
	s_and_saveexec_b32 s19, s11
	s_cbranch_execz .LBB192_33
; %bb.32:                               ;   in Loop: Header=BB192_4 Depth=1
	ds_load_b128 v[3:6], v166
	ds_load_b128 v[11:14], v166 offset:16
	s_wait_dscnt 0x0
	v_add_f64_e32 v[0:1], v[11:12], v[3:4]
	v_add_f64_e32 v[7:8], v[13:14], v[5:6]
	ds_load_b128 v[3:6], v166 offset:32
	ds_load_b128 v[11:14], v166 offset:48
	s_wait_dscnt 0x1
	v_add_f64_e32 v[0:1], v[0:1], v[3:4]
	v_add_f64_e32 v[3:4], v[7:8], v[5:6]
	s_wait_dscnt 0x0
	s_delay_alu instid0(VALU_DEP_2) | instskip(NEXT) | instid1(VALU_DEP_2)
	v_add_f64_e32 v[0:1], v[0:1], v[11:12]
	v_add_f64_e32 v[7:8], v[3:4], v[13:14]
	ds_load_b128 v[3:6], v166 offset:64
	ds_load_b128 v[11:14], v166 offset:80
	s_wait_dscnt 0x1
	v_add_f64_e32 v[0:1], v[0:1], v[3:4]
	v_add_f64_e32 v[3:4], v[7:8], v[5:6]
	s_wait_dscnt 0x0
	s_delay_alu instid0(VALU_DEP_2) | instskip(NEXT) | instid1(VALU_DEP_2)
	;; [unrolled: 9-line block ×3, first 2 shown]
	v_add_f64_e32 v[5:6], v[0:1], v[11:12]
	v_add_f64_e32 v[7:8], v[3:4], v[13:14]
.LBB192_33:                             ;   in Loop: Header=BB192_4 Depth=1
	s_or_b32 exec_lo, exec_lo, s19
	s_lshl_b64 s[74:75], s[58:59], 4
	s_mov_b32 s19, -1
	s_wait_alu 0xfffe
	v_add_co_u32 v0, vcc_lo, v9, s74
	s_wait_alu 0xfffd
	v_add_co_ci_u32_e64 v11, null, s75, v10, vcc_lo
	s_wait_loadcnt 0x0
	s_delay_alu instid0(VALU_DEP_2) | instskip(SKIP_1) | instid1(VALU_DEP_2)
	v_add_co_u32 v9, vcc_lo, 0x200, v0
	s_wait_alu 0xfffd
	v_add_co_ci_u32_e64 v10, null, 0, v11, vcc_lo
	s_and_not1_b32 vcc_lo, exec_lo, s76
	s_barrier_signal -1
	s_barrier_wait -1
	global_inv scope:SCOPE_SE
	s_wait_alu 0xfffe
	s_cbranch_vccnz .LBB192_35
; %bb.34:                               ;   in Loop: Header=BB192_4 Depth=1
	flat_load_b128 v[12:15], v[9:10]
	v_add_co_u32 v3, vcc_lo, v0, s52
	s_wait_alu 0xfffd
	v_add_co_ci_u32_e64 v4, null, s53, v11, vcc_lo
	s_mov_b32 s19, 0
	s_wait_loadcnt_dscnt 0x0
	ds_store_2addr_b64 v156, v[12:13], v[14:15] offset1:1
	flat_load_b128 v[12:15], v[3:4] offset:512
	v_add_co_u32 v3, vcc_lo, v3, s52
	s_wait_alu 0xfffd
	v_add_co_ci_u32_e64 v4, null, s53, v4, vcc_lo
	s_wait_loadcnt_dscnt 0x0
	ds_store_2addr_b64 v157, v[12:13], v[14:15] offset1:1
	flat_load_b128 v[12:15], v[3:4] offset:512
	v_add_co_u32 v3, vcc_lo, v3, s52
	s_wait_alu 0xfffd
	v_add_co_ci_u32_e64 v4, null, s53, v4, vcc_lo
	s_wait_loadcnt_dscnt 0x0
	ds_store_2addr_b64 v158, v[12:13], v[14:15] offset1:1
	flat_load_b128 v[12:15], v[3:4] offset:512
	s_wait_loadcnt_dscnt 0x0
	ds_store_2addr_b64 v159, v[12:13], v[14:15] offset1:1
.LBB192_35:                             ;   in Loop: Header=BB192_4 Depth=1
	s_and_not1_b32 vcc_lo, exec_lo, s19
	s_wait_alu 0xfffe
	s_cbranch_vccnz .LBB192_47
; %bb.36:                               ;   in Loop: Header=BB192_4 Depth=1
	s_and_saveexec_b32 s19, s13
	s_delay_alu instid0(SALU_CYCLE_1)
	s_xor_b32 s19, exec_lo, s19
; %bb.37:                               ;   in Loop: Header=BB192_4 Depth=1
	v_dual_mov_b32 v1, v2 :: v_dual_mov_b32 v4, v2
	v_mov_b32_e32 v3, v2
	ds_store_b128 v156, v[1:4]
; %bb.38:                               ;   in Loop: Header=BB192_4 Depth=1
	s_or_saveexec_b32 s19, s19
	v_add_co_u32 v0, vcc_lo, v0, v145
	s_wait_alu 0xfffd
	v_add_co_ci_u32_e64 v1, null, v11, v146, vcc_lo
	s_lshl_b64 s[74:75], s[44:45], 4
	s_wait_alu 0xfffe
	v_add_co_u32 v0, vcc_lo, v0, s74
	s_wait_alu 0xfffd
	v_add_co_ci_u32_e64 v1, null, s75, v1, vcc_lo
	s_delay_alu instid0(VALU_DEP_2) | instskip(SKIP_1) | instid1(VALU_DEP_2)
	v_add_co_u32 v0, vcc_lo, v0, -16
	s_wait_alu 0xfffd
	v_add_co_ci_u32_e64 v1, null, -1, v1, vcc_lo
	s_delay_alu instid0(VALU_DEP_2) | instskip(NEXT) | instid1(VALU_DEP_2)
	v_cndmask_b32_e64 v11, v0, v9, s12
	v_cndmask_b32_e64 v12, v1, v10, s12
	s_xor_b32 exec_lo, exec_lo, s19
	s_cbranch_execnz .LBB192_93
; %bb.39:                               ;   in Loop: Header=BB192_4 Depth=1
	s_or_b32 exec_lo, exec_lo, s19
	s_and_saveexec_b32 s19, s14
	s_delay_alu instid0(SALU_CYCLE_1)
	s_xor_b32 s19, exec_lo, s19
	s_cbranch_execnz .LBB192_94
.LBB192_40:                             ;   in Loop: Header=BB192_4 Depth=1
	s_and_not1_saveexec_b32 s19, s19
	s_cbranch_execnz .LBB192_95
.LBB192_41:                             ;   in Loop: Header=BB192_4 Depth=1
	s_or_b32 exec_lo, exec_lo, s19
	s_and_saveexec_b32 s19, s15
	s_delay_alu instid0(SALU_CYCLE_1)
	s_xor_b32 s19, exec_lo, s19
	s_cbranch_execnz .LBB192_96
.LBB192_42:                             ;   in Loop: Header=BB192_4 Depth=1
	s_and_not1_saveexec_b32 s19, s19
	s_cbranch_execnz .LBB192_97
.LBB192_43:                             ;   in Loop: Header=BB192_4 Depth=1
	s_or_b32 exec_lo, exec_lo, s19
	s_and_saveexec_b32 s19, s16
	s_delay_alu instid0(SALU_CYCLE_1)
	s_xor_b32 s19, exec_lo, s19
	s_cbranch_execnz .LBB192_98
.LBB192_44:                             ;   in Loop: Header=BB192_4 Depth=1
	s_and_not1_saveexec_b32 s19, s19
	s_cbranch_execz .LBB192_46
.LBB192_45:                             ;   in Loop: Header=BB192_4 Depth=1
	v_add_co_u32 v0, vcc_lo, v11, s56
	s_wait_alu 0xfffd
	v_add_co_ci_u32_e64 v1, null, s57, v12, vcc_lo
	flat_load_b128 v[13:16], v[0:1]
	s_wait_loadcnt_dscnt 0x0
	ds_store_2addr_b64 v159, v[13:14], v[15:16] offset1:1
.LBB192_46:                             ;   in Loop: Header=BB192_4 Depth=1
	s_or_b32 exec_lo, exec_lo, s19
	v_add_co_u32 v0, vcc_lo, v11, v186
	s_wait_alu 0xfffd
	v_add_co_ci_u32_e64 v1, null, 0, v12, vcc_lo
	s_lshl_b64 s[74:75], s[60:61], 4
	s_wait_alu 0xfffe
	v_add_co_u32 v0, vcc_lo, v0, s74
	s_wait_alu 0xfffd
	v_add_co_ci_u32_e64 v1, null, s75, v1, vcc_lo
	s_delay_alu instid0(VALU_DEP_2) | instskip(SKIP_1) | instid1(VALU_DEP_2)
	v_add_co_u32 v0, vcc_lo, 0x210, v0
	s_wait_alu 0xfffd
	v_add_co_ci_u32_e64 v1, null, 0, v1, vcc_lo
	s_delay_alu instid0(VALU_DEP_2) | instskip(NEXT) | instid1(VALU_DEP_2)
	v_cndmask_b32_e64 v9, v0, v9, s12
	v_cndmask_b32_e64 v10, v1, v10, s12
.LBB192_47:                             ;   in Loop: Header=BB192_4 Depth=1
	s_wait_loadcnt_dscnt 0x0
	s_barrier_signal -1
	s_barrier_wait -1
	global_inv scope:SCOPE_SE
	s_and_saveexec_b32 s19, s7
	s_cbranch_execnz .LBB192_84
; %bb.48:                               ;   in Loop: Header=BB192_4 Depth=1
	s_or_b32 exec_lo, exec_lo, s19
	s_and_saveexec_b32 s19, s8
	s_cbranch_execnz .LBB192_85
.LBB192_49:                             ;   in Loop: Header=BB192_4 Depth=1
	s_or_b32 exec_lo, exec_lo, s19
	s_and_saveexec_b32 s19, s9
	s_cbranch_execnz .LBB192_86
.LBB192_50:                             ;   in Loop: Header=BB192_4 Depth=1
	s_or_b32 exec_lo, exec_lo, s19
	s_and_saveexec_b32 s19, s10
	s_cbranch_execz .LBB192_52
.LBB192_51:                             ;   in Loop: Header=BB192_4 Depth=1
	ds_load_b128 v[11:14], v168
	s_wait_dscnt 0x0
	ds_store_b128 v174, v[11:14]
.LBB192_52:                             ;   in Loop: Header=BB192_4 Depth=1
	s_or_b32 exec_lo, exec_lo, s19
	s_wait_loadcnt_dscnt 0x0
	s_barrier_signal -1
	s_barrier_wait -1
	global_inv scope:SCOPE_SE
	ds_load_b128 v[11:14], v161
	ds_load_b128 v[15:18], v169 offset:512
	ds_load_b128 v[19:22], v169 offset:528
	ds_load_b128 v[23:26], v163
	s_wait_dscnt 0x2
	v_mul_f64_e32 v[0:1], v[17:18], v[13:14]
	v_mul_f64_e32 v[3:4], v[15:16], v[13:14]
	s_wait_dscnt 0x0
	v_mul_f64_e32 v[33:34], v[21:22], v[25:26]
	v_mul_f64_e32 v[35:36], v[19:20], v[25:26]
	s_delay_alu instid0(VALU_DEP_4) | instskip(NEXT) | instid1(VALU_DEP_4)
	v_fma_f64 v[0:1], v[15:16], v[11:12], -v[0:1]
	v_fma_f64 v[3:4], v[17:18], v[11:12], v[3:4]
	ds_load_b128 v[11:14], v165
	ds_load_b128 v[15:18], v169 offset:544
	ds_load_b128 v[25:28], v169 offset:560
	ds_load_b128 v[29:32], v168
	v_fma_f64 v[19:20], v[19:20], v[23:24], -v[33:34]
	v_fma_f64 v[21:22], v[21:22], v[23:24], v[35:36]
	s_wait_loadcnt_dscnt 0x0
	s_barrier_signal -1
	s_barrier_wait -1
	global_inv scope:SCOPE_SE
	v_mul_f64_e32 v[37:38], v[17:18], v[13:14]
	v_mul_f64_e32 v[13:14], v[15:16], v[13:14]
	;; [unrolled: 1-line block ×4, first 2 shown]
	v_add_f64_e32 v[0:1], 0, v[0:1]
	v_add_f64_e32 v[3:4], 0, v[3:4]
	v_fma_f64 v[15:16], v[15:16], v[11:12], -v[37:38]
	v_fma_f64 v[11:12], v[17:18], v[11:12], v[13:14]
	v_fma_f64 v[13:14], v[25:26], v[29:30], -v[23:24]
	v_fma_f64 v[17:18], v[27:28], v[29:30], v[31:32]
	v_add_f64_e32 v[0:1], v[0:1], v[19:20]
	v_add_f64_e32 v[3:4], v[3:4], v[21:22]
	s_delay_alu instid0(VALU_DEP_2) | instskip(NEXT) | instid1(VALU_DEP_2)
	v_add_f64_e32 v[0:1], v[0:1], v[15:16]
	v_add_f64_e32 v[3:4], v[3:4], v[11:12]
	s_delay_alu instid0(VALU_DEP_2) | instskip(NEXT) | instid1(VALU_DEP_2)
	v_add_f64_e32 v[11:12], v[0:1], v[13:14]
	v_add_f64_e32 v[13:14], v[3:4], v[17:18]
	ds_store_b128 v170, v[11:14]
	s_wait_loadcnt_dscnt 0x0
	s_barrier_signal -1
	s_barrier_wait -1
	global_inv scope:SCOPE_SE
	s_and_saveexec_b32 s19, s17
	s_cbranch_execz .LBB192_54
; %bb.53:                               ;   in Loop: Header=BB192_4 Depth=1
	ds_load_b128 v[3:6], v166
	ds_load_b128 v[11:14], v166 offset:16
	s_wait_dscnt 0x0
	v_add_f64_e32 v[0:1], v[11:12], v[3:4]
	v_add_f64_e32 v[7:8], v[13:14], v[5:6]
	ds_load_b128 v[3:6], v166 offset:32
	ds_load_b128 v[11:14], v166 offset:48
	s_wait_dscnt 0x1
	v_add_f64_e32 v[0:1], v[0:1], v[3:4]
	v_add_f64_e32 v[3:4], v[7:8], v[5:6]
	s_wait_dscnt 0x0
	s_delay_alu instid0(VALU_DEP_2) | instskip(NEXT) | instid1(VALU_DEP_2)
	v_add_f64_e32 v[0:1], v[0:1], v[11:12]
	v_add_f64_e32 v[7:8], v[3:4], v[13:14]
	ds_load_b128 v[3:6], v166 offset:64
	ds_load_b128 v[11:14], v166 offset:80
	s_wait_dscnt 0x1
	v_add_f64_e32 v[0:1], v[0:1], v[3:4]
	v_add_f64_e32 v[3:4], v[7:8], v[5:6]
	s_wait_dscnt 0x0
	s_delay_alu instid0(VALU_DEP_2) | instskip(NEXT) | instid1(VALU_DEP_2)
	;; [unrolled: 9-line block ×3, first 2 shown]
	v_add_f64_e32 v[5:6], v[0:1], v[11:12]
	v_add_f64_e32 v[7:8], v[3:4], v[13:14]
.LBB192_54:                             ;   in Loop: Header=BB192_4 Depth=1
	s_or_b32 exec_lo, exec_lo, s19
	v_add_co_u32 v43, vcc_lo, v9, s68
	s_wait_alu 0xfffd
	v_add_co_ci_u32_e64 v44, null, s69, v10, vcc_lo
	s_and_not1_b32 vcc_lo, exec_lo, s76
	s_mov_b32 s19, -1
	s_wait_loadcnt 0x0
	s_barrier_signal -1
	s_barrier_wait -1
	global_inv scope:SCOPE_SE
	s_wait_alu 0xfffe
	s_cbranch_vccnz .LBB192_56
; %bb.55:                               ;   in Loop: Header=BB192_4 Depth=1
	flat_load_b128 v[9:12], v[43:44]
	v_add_co_u32 v0, vcc_lo, v43, s52
	s_wait_alu 0xfffd
	v_add_co_ci_u32_e64 v1, null, s53, v44, vcc_lo
	s_mov_b32 s19, 0
	s_wait_loadcnt_dscnt 0x0
	ds_store_2addr_b64 v156, v[9:10], v[11:12] offset1:1
	flat_load_b128 v[9:12], v[0:1]
	v_add_co_u32 v0, vcc_lo, v0, s52
	s_wait_alu 0xfffd
	v_add_co_ci_u32_e64 v1, null, s53, v1, vcc_lo
	s_wait_loadcnt_dscnt 0x0
	ds_store_2addr_b64 v157, v[9:10], v[11:12] offset1:1
	flat_load_b128 v[9:12], v[0:1]
	v_add_co_u32 v0, vcc_lo, v0, s52
	s_wait_alu 0xfffd
	v_add_co_ci_u32_e64 v1, null, s53, v1, vcc_lo
	s_wait_loadcnt_dscnt 0x0
	ds_store_2addr_b64 v158, v[9:10], v[11:12] offset1:1
	flat_load_b128 v[9:12], v[0:1]
	s_wait_loadcnt_dscnt 0x0
	ds_store_2addr_b64 v159, v[9:10], v[11:12] offset1:1
.LBB192_56:                             ;   in Loop: Header=BB192_4 Depth=1
	s_and_not1_b32 vcc_lo, exec_lo, s19
	s_wait_alu 0xfffe
	s_cbranch_vccnz .LBB192_68
; %bb.57:                               ;   in Loop: Header=BB192_4 Depth=1
	s_and_saveexec_b32 s19, s3
	s_delay_alu instid0(SALU_CYCLE_1)
	s_xor_b32 s19, exec_lo, s19
; %bb.58:                               ;   in Loop: Header=BB192_4 Depth=1
	v_dual_mov_b32 v1, v2 :: v_dual_mov_b32 v4, v2
	v_mov_b32_e32 v3, v2
	ds_store_b128 v156, v[1:4]
; %bb.59:                               ;   in Loop: Header=BB192_4 Depth=1
	s_or_saveexec_b32 s19, s19
	v_add_co_u32 v0, vcc_lo, v43, v145
	s_wait_alu 0xfffd
	v_add_co_ci_u32_e64 v1, null, v44, v146, vcc_lo
	s_lshl_b64 s[74:75], s[44:45], 4
	s_wait_alu 0xfffe
	v_add_co_u32 v0, vcc_lo, v0, s74
	s_wait_alu 0xfffd
	v_add_co_ci_u32_e64 v1, null, s75, v1, vcc_lo
	s_delay_alu instid0(VALU_DEP_2) | instskip(SKIP_1) | instid1(VALU_DEP_2)
	v_add_co_u32 v0, vcc_lo, 0xfffffdf0, v0
	s_wait_alu 0xfffd
	v_add_co_ci_u32_e64 v1, null, -1, v1, vcc_lo
	s_delay_alu instid0(VALU_DEP_2) | instskip(NEXT) | instid1(VALU_DEP_2)
	v_cndmask_b32_e64 v9, v0, v43, s12
	v_cndmask_b32_e64 v10, v1, v44, s12
	s_xor_b32 exec_lo, exec_lo, s19
	s_cbranch_execnz .LBB192_99
; %bb.60:                               ;   in Loop: Header=BB192_4 Depth=1
	s_or_b32 exec_lo, exec_lo, s19
	s_and_saveexec_b32 s19, s4
	s_delay_alu instid0(SALU_CYCLE_1)
	s_xor_b32 s19, exec_lo, s19
	s_cbranch_execnz .LBB192_100
.LBB192_61:                             ;   in Loop: Header=BB192_4 Depth=1
	s_and_not1_saveexec_b32 s19, s19
	s_cbranch_execnz .LBB192_101
.LBB192_62:                             ;   in Loop: Header=BB192_4 Depth=1
	s_or_b32 exec_lo, exec_lo, s19
	s_and_saveexec_b32 s19, s5
	s_delay_alu instid0(SALU_CYCLE_1)
	s_xor_b32 s19, exec_lo, s19
	s_cbranch_execnz .LBB192_102
.LBB192_63:                             ;   in Loop: Header=BB192_4 Depth=1
	s_and_not1_saveexec_b32 s19, s19
	s_cbranch_execnz .LBB192_103
.LBB192_64:                             ;   in Loop: Header=BB192_4 Depth=1
	s_or_b32 exec_lo, exec_lo, s19
	s_and_saveexec_b32 s19, s6
	s_delay_alu instid0(SALU_CYCLE_1)
	s_xor_b32 s19, exec_lo, s19
	s_cbranch_execnz .LBB192_104
.LBB192_65:                             ;   in Loop: Header=BB192_4 Depth=1
	s_and_not1_saveexec_b32 s19, s19
	s_cbranch_execz .LBB192_67
.LBB192_66:                             ;   in Loop: Header=BB192_4 Depth=1
	v_add_co_u32 v0, vcc_lo, v9, s56
	s_wait_alu 0xfffd
	v_add_co_ci_u32_e64 v1, null, s57, v10, vcc_lo
	flat_load_b128 v[11:14], v[0:1]
	s_wait_loadcnt_dscnt 0x0
	ds_store_2addr_b64 v159, v[11:12], v[13:14] offset1:1
.LBB192_67:                             ;   in Loop: Header=BB192_4 Depth=1
	s_or_b32 exec_lo, exec_lo, s19
	v_add_co_u32 v0, vcc_lo, v9, v186
	s_wait_alu 0xfffd
	v_add_co_ci_u32_e64 v1, null, 0, v10, vcc_lo
	s_lshl_b64 s[74:75], s[60:61], 4
	s_wait_alu 0xfffe
	v_add_co_u32 v0, vcc_lo, v0, s74
	s_wait_alu 0xfffd
	v_add_co_ci_u32_e64 v1, null, s75, v1, vcc_lo
	s_delay_alu instid0(VALU_DEP_2) | instskip(SKIP_1) | instid1(VALU_DEP_2)
	v_add_co_u32 v0, vcc_lo, 0x210, v0
	s_wait_alu 0xfffd
	v_add_co_ci_u32_e64 v1, null, 0, v1, vcc_lo
	s_delay_alu instid0(VALU_DEP_2) | instskip(NEXT) | instid1(VALU_DEP_2)
	v_cndmask_b32_e64 v43, v0, v43, s12
	v_cndmask_b32_e64 v44, v1, v44, s12
.LBB192_68:                             ;   in Loop: Header=BB192_4 Depth=1
	s_wait_loadcnt_dscnt 0x0
	s_barrier_signal -1
	s_barrier_wait -1
	global_inv scope:SCOPE_SE
	ds_load_b128 v[9:12], v184
	ds_load_b128 v[13:16], v156
	;; [unrolled: 1-line block ×3, first 2 shown]
	ds_load_b128 v[21:24], v183 offset:384
	ds_load_b128 v[25:28], v183 offset:128
	;; [unrolled: 1-line block ×3, first 2 shown]
	s_wait_dscnt 0x4
	v_mul_f64_e32 v[0:1], v[11:12], v[15:16]
	v_mul_f64_e32 v[3:4], v[9:10], v[15:16]
	s_wait_dscnt 0x1
	v_mul_f64_e32 v[33:34], v[27:28], v[19:20]
	v_mul_f64_e32 v[19:20], v[25:26], v[19:20]
	s_delay_alu instid0(VALU_DEP_4) | instskip(NEXT) | instid1(VALU_DEP_4)
	v_fma_f64 v[0:1], v[9:10], v[13:14], -v[0:1]
	v_fma_f64 v[3:4], v[11:12], v[13:14], v[3:4]
	ds_load_b128 v[9:12], v158
	ds_load_b128 v[13:16], v159
	v_fma_f64 v[25:26], v[25:26], v[17:18], -v[33:34]
	v_fma_f64 v[17:18], v[27:28], v[17:18], v[19:20]
	s_wait_dscnt 0x1
	v_mul_f64_e32 v[35:36], v[31:32], v[11:12]
	v_mul_f64_e32 v[11:12], v[29:30], v[11:12]
	s_wait_dscnt 0x0
	v_mul_f64_e32 v[19:20], v[23:24], v[15:16]
	v_mul_f64_e32 v[15:16], v[21:22], v[15:16]
	v_add_f64_e32 v[0:1], 0, v[0:1]
	v_add_f64_e32 v[3:4], 0, v[3:4]
	v_fma_f64 v[27:28], v[29:30], v[9:10], -v[35:36]
	v_fma_f64 v[9:10], v[31:32], v[9:10], v[11:12]
	v_fma_f64 v[11:12], v[21:22], v[13:14], -v[19:20]
	v_fma_f64 v[13:14], v[23:24], v[13:14], v[15:16]
	v_add_f64_e32 v[0:1], v[0:1], v[25:26]
	v_add_f64_e32 v[3:4], v[3:4], v[17:18]
	s_delay_alu instid0(VALU_DEP_2) | instskip(NEXT) | instid1(VALU_DEP_2)
	v_add_f64_e32 v[0:1], v[0:1], v[27:28]
	v_add_f64_e32 v[3:4], v[3:4], v[9:10]
	s_delay_alu instid0(VALU_DEP_2) | instskip(NEXT) | instid1(VALU_DEP_2)
	v_add_f64_e32 v[45:46], v[0:1], v[11:12]
	v_add_f64_e32 v[47:48], v[3:4], v[13:14]
	ds_load_b128 v[33:36], v175
	ds_load_b128 v[25:28], v175 offset:16
	ds_load_b128 v[13:16], v175 offset:32
	;; [unrolled: 1-line block ×7, first 2 shown]
	s_wait_loadcnt_dscnt 0x0
	s_barrier_signal -1
	s_barrier_wait -1
	global_inv scope:SCOPE_SE
	ds_store_b128 v170, v[45:48]
	s_wait_loadcnt_dscnt 0x0
	s_barrier_signal -1
	s_barrier_wait -1
	global_inv scope:SCOPE_SE
	s_and_saveexec_b32 s19, s17
	s_cbranch_execz .LBB192_70
; %bb.69:                               ;   in Loop: Header=BB192_4 Depth=1
	ds_load_b128 v[45:48], v166
	ds_load_b128 v[49:52], v166 offset:16
	s_wait_dscnt 0x1
	v_add_f64_e32 v[0:1], v[5:6], v[45:46]
	v_add_f64_e32 v[3:4], v[7:8], v[47:48]
	s_wait_dscnt 0x0
	s_delay_alu instid0(VALU_DEP_2) | instskip(NEXT) | instid1(VALU_DEP_2)
	v_add_f64_e32 v[0:1], v[0:1], v[49:50]
	v_add_f64_e32 v[7:8], v[3:4], v[51:52]
	ds_load_b128 v[3:6], v166 offset:32
	ds_load_b128 v[45:48], v166 offset:48
	s_wait_dscnt 0x1
	v_add_f64_e32 v[0:1], v[0:1], v[3:4]
	v_add_f64_e32 v[3:4], v[7:8], v[5:6]
	s_wait_dscnt 0x0
	s_delay_alu instid0(VALU_DEP_2) | instskip(NEXT) | instid1(VALU_DEP_2)
	v_add_f64_e32 v[0:1], v[0:1], v[45:46]
	v_add_f64_e32 v[7:8], v[3:4], v[47:48]
	ds_load_b128 v[3:6], v166 offset:64
	;; [unrolled: 9-line block ×3, first 2 shown]
	ds_load_b128 v[45:48], v166 offset:112
	s_wait_dscnt 0x1
	v_add_f64_e32 v[0:1], v[0:1], v[3:4]
	v_add_f64_e32 v[3:4], v[7:8], v[5:6]
	s_wait_dscnt 0x0
	s_delay_alu instid0(VALU_DEP_2) | instskip(NEXT) | instid1(VALU_DEP_2)
	v_add_f64_e32 v[5:6], v[0:1], v[45:46]
	v_add_f64_e32 v[7:8], v[3:4], v[47:48]
.LBB192_70:                             ;   in Loop: Header=BB192_4 Depth=1
	s_or_b32 exec_lo, exec_lo, s19
	v_mul_f64_e32 v[0:1], v[35:36], v[39:40]
	v_mul_f64_e32 v[3:4], v[33:34], v[39:40]
	v_mul_f64_e32 v[39:40], v[27:28], v[31:32]
	v_mul_f64_e32 v[31:32], v[25:26], v[31:32]
	s_wait_loadcnt 0x0
	s_barrier_signal -1
	s_barrier_wait -1
	global_inv scope:SCOPE_SE
	v_fma_f64 v[0:1], v[33:34], v[37:38], -v[0:1]
	v_fma_f64 v[3:4], v[35:36], v[37:38], v[3:4]
	v_mul_f64_e32 v[33:34], v[15:16], v[23:24]
	v_mul_f64_e32 v[23:24], v[13:14], v[23:24]
	v_fma_f64 v[25:26], v[25:26], v[29:30], -v[39:40]
	v_fma_f64 v[27:28], v[27:28], v[29:30], v[31:32]
	v_mul_f64_e32 v[29:30], v[11:12], v[19:20]
	v_mul_f64_e32 v[19:20], v[9:10], v[19:20]
	v_add_f64_e32 v[0:1], 0, v[0:1]
	v_add_f64_e32 v[3:4], 0, v[3:4]
	v_fma_f64 v[13:14], v[13:14], v[21:22], -v[33:34]
	v_fma_f64 v[15:16], v[15:16], v[21:22], v[23:24]
	v_fma_f64 v[9:10], v[9:10], v[17:18], -v[29:30]
	v_fma_f64 v[11:12], v[11:12], v[17:18], v[19:20]
	v_add_f64_e32 v[0:1], v[0:1], v[25:26]
	v_add_f64_e32 v[3:4], v[3:4], v[27:28]
	s_delay_alu instid0(VALU_DEP_2) | instskip(NEXT) | instid1(VALU_DEP_2)
	v_add_f64_e32 v[0:1], v[0:1], v[13:14]
	v_add_f64_e32 v[3:4], v[3:4], v[15:16]
	s_delay_alu instid0(VALU_DEP_2) | instskip(NEXT) | instid1(VALU_DEP_2)
	v_add_f64_e32 v[9:10], v[0:1], v[9:10]
	v_add_f64_e32 v[11:12], v[3:4], v[11:12]
	ds_store_b128 v170, v[9:12]
	s_wait_loadcnt_dscnt 0x0
	s_barrier_signal -1
	s_barrier_wait -1
	global_inv scope:SCOPE_SE
	s_and_saveexec_b32 s19, s11
	s_cbranch_execz .LBB192_72
; %bb.71:                               ;   in Loop: Header=BB192_4 Depth=1
	ds_load_b128 v[9:12], v166
	ds_load_b128 v[13:16], v166 offset:16
	s_wait_dscnt 0x1
	v_add_f64_e32 v[0:1], v[5:6], v[9:10]
	v_add_f64_e32 v[3:4], v[7:8], v[11:12]
	s_wait_dscnt 0x0
	s_delay_alu instid0(VALU_DEP_2) | instskip(NEXT) | instid1(VALU_DEP_2)
	v_add_f64_e32 v[0:1], v[0:1], v[13:14]
	v_add_f64_e32 v[11:12], v[3:4], v[15:16]
	ds_load_b128 v[3:6], v166 offset:32
	ds_load_b128 v[7:10], v166 offset:48
	s_wait_dscnt 0x1
	v_add_f64_e32 v[0:1], v[0:1], v[3:4]
	v_add_f64_e32 v[3:4], v[11:12], v[5:6]
	s_wait_dscnt 0x0
	s_delay_alu instid0(VALU_DEP_2) | instskip(NEXT) | instid1(VALU_DEP_2)
	v_add_f64_e32 v[0:1], v[0:1], v[7:8]
	v_add_f64_e32 v[11:12], v[3:4], v[9:10]
	ds_load_b128 v[3:6], v166 offset:64
	;; [unrolled: 9-line block ×3, first 2 shown]
	ds_load_b128 v[7:10], v166 offset:112
	s_wait_dscnt 0x1
	v_add_f64_e32 v[0:1], v[0:1], v[3:4]
	v_add_f64_e32 v[3:4], v[11:12], v[5:6]
	s_wait_dscnt 0x0
	s_delay_alu instid0(VALU_DEP_2) | instskip(NEXT) | instid1(VALU_DEP_2)
	v_add_f64_e32 v[5:6], v[0:1], v[7:8]
	v_add_f64_e32 v[7:8], v[3:4], v[9:10]
.LBB192_72:                             ;   in Loop: Header=BB192_4 Depth=1
	s_or_b32 exec_lo, exec_lo, s19
	s_mul_u64 s[74:75], s[46:47], s[34:35]
	s_and_not1_b32 vcc_lo, exec_lo, s77
	s_wait_alu 0xfffe
	s_lshl_b64 s[74:75], s[74:75], 4
	s_wait_loadcnt 0x0
	s_wait_alu 0xfffe
	s_add_nc_u64 s[74:75], s[48:49], s[74:75]
	s_barrier_signal -1
	s_barrier_wait -1
	global_inv scope:SCOPE_SE
	s_cbranch_vccnz .LBB192_79
; %bb.73:                               ;   in Loop: Header=BB192_4 Depth=1
	v_add_co_u32 v0, vcc_lo, v43, s72
	s_wait_alu 0xfffd
	v_add_co_ci_u32_e64 v1, null, s73, v44, vcc_lo
	v_lshlrev_b32_e32 v3, 4, v153
	s_delay_alu instid0(VALU_DEP_3) | instskip(SKIP_1) | instid1(VALU_DEP_3)
	v_add_co_u32 v0, vcc_lo, v0, v147
	s_wait_alu 0xfffd
	v_add_co_ci_u32_e64 v1, null, v1, v148, vcc_lo
	s_lshl_b64 s[80:81], s[44:45], 4
	v_add_co_u32 v0, vcc_lo, v0, v149
	s_wait_alu 0xfffd
	v_add_co_ci_u32_e64 v1, null, v1, v150, vcc_lo
	s_mov_b32 s19, ttmp9
	s_wait_alu 0xfffe
	v_add_co_u32 v4, vcc_lo, v0, s80
	s_wait_alu 0xfffd
	v_add_co_ci_u32_e64 v9, null, s81, v1, vcc_lo
	v_add_co_u32 v0, vcc_lo, v0, v3
	s_wait_alu 0xfffd
	v_add_co_ci_u32_e64 v1, null, 0, v1, vcc_lo
	v_add_co_u32 v3, vcc_lo, 0xfffffdf0, v4
	s_wait_alu 0xfffd
	v_add_co_ci_u32_e64 v4, null, -1, v9, vcc_lo
	v_add_co_u32 v0, vcc_lo, 0xfffffe00, v0
	s_wait_alu 0xfffd
	v_add_co_ci_u32_e64 v1, null, -1, v1, vcc_lo
	v_add_co_u32 v187, vcc_lo, v41, s70
	s_wait_alu 0xfffd
	v_add_co_ci_u32_e64 v188, null, s71, v42, vcc_lo
	s_delay_alu instid0(VALU_DEP_3)
	v_cndmask_b32_e64 v1, v1, v4, s1
	v_cndmask_b32_e64 v0, v0, v3, s1
	s_mov_b32 s42, 0
	s_branch .LBB192_75
.LBB192_74:                             ;   in Loop: Header=BB192_75 Depth=2
	s_or_b32 exec_lo, exec_lo, s35
	v_mul_f64_e32 v[0:1], v[19:20], v[27:28]
	v_mul_f64_e32 v[27:28], v[17:18], v[27:28]
	;; [unrolled: 1-line block ×4, first 2 shown]
	s_add_co_i32 s19, s19, -1
	s_wait_alu 0xfffe
	s_add_co_i32 s42, s42, 64
	s_cmp_eq_u32 s19, 0
	s_wait_loadcnt 0x0
	s_wait_storecnt 0x0
	s_barrier_signal -1
	s_barrier_wait -1
	global_inv scope:SCOPE_SE
	v_fma_f64 v[0:1], v[17:18], v[25:26], -v[0:1]
	v_fma_f64 v[17:18], v[19:20], v[25:26], v[27:28]
	v_mul_f64_e32 v[19:20], v[15:16], v[39:40]
	v_mul_f64_e32 v[25:26], v[13:14], v[39:40]
	v_fma_f64 v[21:22], v[21:22], v[41:42], -v[113:114]
	v_fma_f64 v[23:24], v[23:24], v[41:42], v[43:44]
	v_add_f64_e32 v[0:1], v[5:6], v[0:1]
	v_add_f64_e32 v[5:6], v[7:8], v[17:18]
	v_mul_f64_e32 v[7:8], v[11:12], v[35:36]
	v_mul_f64_e32 v[17:18], v[9:10], v[35:36]
	v_fma_f64 v[13:14], v[13:14], v[37:38], -v[19:20]
	v_fma_f64 v[15:16], v[15:16], v[37:38], v[25:26]
	v_mul_f64_e32 v[19:20], v[31:32], v[59:60]
	v_add_f64_e32 v[0:1], v[0:1], v[21:22]
	v_add_f64_e32 v[5:6], v[5:6], v[23:24]
	v_mul_f64_e32 v[21:22], v[29:30], v[59:60]
	v_fma_f64 v[7:8], v[9:10], v[33:34], -v[7:8]
	v_fma_f64 v[9:10], v[11:12], v[33:34], v[17:18]
	v_mul_f64_e32 v[11:12], v[55:56], v[75:76]
	v_add_f64_e32 v[0:1], v[0:1], v[13:14]
	v_add_f64_e32 v[5:6], v[5:6], v[15:16]
	v_mul_f64_e32 v[13:14], v[53:54], v[75:76]
	v_fma_f64 v[15:16], v[29:30], v[57:58], -v[19:20]
	v_fma_f64 v[17:18], v[31:32], v[57:58], v[21:22]
	v_fma_f64 v[11:12], v[53:54], v[73:74], -v[11:12]
	v_add_f64_e32 v[0:1], v[0:1], v[7:8]
	v_add_f64_e32 v[5:6], v[5:6], v[9:10]
	v_mul_f64_e32 v[7:8], v[51:52], v[71:72]
	v_mul_f64_e32 v[9:10], v[49:50], v[71:72]
	v_fma_f64 v[13:14], v[55:56], v[73:74], v[13:14]
	v_add_f64_e32 v[0:1], v[0:1], v[15:16]
	v_add_f64_e32 v[5:6], v[5:6], v[17:18]
	v_mul_f64_e32 v[15:16], v[47:48], v[67:68]
	v_mul_f64_e32 v[17:18], v[45:46], v[67:68]
	v_fma_f64 v[7:8], v[49:50], v[69:70], -v[7:8]
	v_fma_f64 v[9:10], v[51:52], v[69:70], v[9:10]
	v_add_f64_e32 v[0:1], v[0:1], v[11:12]
	v_add_f64_e32 v[5:6], v[5:6], v[13:14]
	v_mul_f64_e32 v[11:12], v[63:64], v[83:84]
	v_mul_f64_e32 v[13:14], v[61:62], v[83:84]
	v_fma_f64 v[15:16], v[45:46], v[65:66], -v[15:16]
	;; [unrolled: 6-line block ×9, first 2 shown]
	v_fma_f64 v[13:14], v[123:124], v[133:134], v[13:14]
	v_add_f64_e32 v[0:1], v[0:1], v[15:16]
	v_add_f64_e32 v[5:6], v[5:6], v[17:18]
	v_fma_f64 v[7:8], v[125:126], v[129:130], -v[7:8]
	v_fma_f64 v[9:10], v[127:128], v[129:130], v[9:10]
	s_delay_alu instid0(VALU_DEP_4) | instskip(NEXT) | instid1(VALU_DEP_4)
	v_add_f64_e32 v[0:1], v[0:1], v[11:12]
	v_add_f64_e32 v[11:12], v[5:6], v[13:14]
	s_delay_alu instid0(VALU_DEP_2) | instskip(NEXT) | instid1(VALU_DEP_2)
	v_add_f64_e32 v[5:6], v[0:1], v[7:8]
	v_add_f64_e32 v[7:8], v[11:12], v[9:10]
	v_add_co_u32 v0, vcc_lo, v3, s64
	s_wait_alu 0xfffd
	v_add_co_ci_u32_e64 v1, null, s65, v4, vcc_lo
	s_cbranch_scc1 .LBB192_79
.LBB192_75:                             ;   Parent Loop BB192_4 Depth=1
                                        ; =>  This Inner Loop Header: Depth=2
	s_and_saveexec_b32 s35, s0
	s_cbranch_execz .LBB192_77
; %bb.76:                               ;   in Loop: Header=BB192_75 Depth=2
	s_wait_alu 0xfffe
	s_mul_u64 s[80:81], s[40:41], s[42:43]
	s_wait_alu 0xfffe
	s_lshl_b64 s[80:81], s[80:81], 4
	s_wait_alu 0xfffe
	v_add_co_u32 v3, vcc_lo, v187, s80
	s_wait_alu 0xfffd
	v_add_co_ci_u32_e64 v4, null, s81, v188, vcc_lo
	flat_load_b128 v[9:12], v[3:4]
	s_wait_loadcnt_dscnt 0x0
	ds_store_2addr_b64 v176, v[9:10], v[11:12] offset1:1
.LBB192_77:                             ;   in Loop: Header=BB192_75 Depth=2
	s_or_b32 exec_lo, exec_lo, s35
	v_add_co_u32 v3, vcc_lo, v0, s62
	s_wait_alu 0xfffd
	v_add_co_ci_u32_e64 v4, null, s63, v1, vcc_lo
	s_wait_loadcnt_dscnt 0x0
	s_delay_alu instid0(VALU_DEP_2) | instskip(SKIP_1) | instid1(VALU_DEP_2)
	v_add_co_u32 v9, vcc_lo, v3, s62
	s_wait_alu 0xfffd
	v_add_co_ci_u32_e64 v10, null, s63, v4, vcc_lo
	s_barrier_signal -1
	s_barrier_wait -1
	global_inv scope:SCOPE_SE
	flat_load_b128 v[17:20], v[0:1]
	v_add_co_u32 v0, vcc_lo, v9, s62
	s_wait_alu 0xfffd
	v_add_co_ci_u32_e64 v1, null, s63, v10, vcc_lo
	s_clause 0x2
	flat_load_b128 v[21:24], v[3:4]
	flat_load_b128 v[13:16], v[9:10]
	;; [unrolled: 1-line block ×3, first 2 shown]
	ds_load_b128 v[29:32], v155
	ds_load_b128 v[25:28], v177
	v_add_co_u32 v0, vcc_lo, v0, s64
	s_wait_alu 0xfffd
	v_add_co_ci_u32_e64 v1, null, s65, v1, vcc_lo
	s_wait_loadcnt_dscnt 0x301
	v_mul_f64_e32 v[3:4], v[19:20], v[31:32]
	v_mul_f64_e32 v[33:34], v[17:18], v[31:32]
	s_wait_loadcnt 0x2
	v_mul_f64_e32 v[35:36], v[23:24], v[31:32]
	v_mul_f64_e32 v[37:38], v[21:22], v[31:32]
	s_wait_loadcnt 0x1
	;; [unrolled: 3-line block ×3, first 2 shown]
	v_mul_f64_e32 v[43:44], v[11:12], v[31:32]
	v_mul_f64_e32 v[31:32], v[9:10], v[31:32]
	v_fma_f64 v[45:46], v[17:18], v[29:30], -v[3:4]
	v_fma_f64 v[47:48], v[19:20], v[29:30], v[33:34]
	v_add_co_u32 v3, vcc_lo, v0, s62
	v_fma_f64 v[49:50], v[21:22], v[29:30], -v[35:36]
	v_fma_f64 v[51:52], v[23:24], v[29:30], v[37:38]
	v_fma_f64 v[53:54], v[13:14], v[29:30], -v[39:40]
	v_fma_f64 v[55:56], v[15:16], v[29:30], v[41:42]
	;; [unrolled: 2-line block ×3, first 2 shown]
	s_wait_alu 0xfffd
	v_add_co_ci_u32_e64 v4, null, s63, v1, vcc_lo
	v_add_co_u32 v61, vcc_lo, v3, s62
	ds_load_b128 v[41:44], v177 offset:16
	ds_load_b128 v[37:40], v177 offset:32
	s_wait_alu 0xfffd
	v_add_co_ci_u32_e64 v62, null, s63, v4, vcc_lo
	ds_load_b128 v[33:36], v177 offset:48
	ds_store_b128 v178, v[45:48]
	ds_store_b128 v178, v[49:52] offset:1072
	ds_store_b128 v178, v[53:56] offset:2144
	;; [unrolled: 1-line block ×3, first 2 shown]
	s_wait_dscnt 0x0
	s_barrier_signal -1
	s_barrier_wait -1
	global_inv scope:SCOPE_SE
	ds_load_b128 v[81:84], v179
	ds_load_b128 v[85:88], v179 offset:16
	ds_load_b128 v[89:92], v179 offset:32
	;; [unrolled: 1-line block ×3, first 2 shown]
	s_wait_loadcnt_dscnt 0x0
	s_barrier_signal -1
	s_barrier_wait -1
	global_inv scope:SCOPE_SE
	flat_load_b128 v[29:32], v[0:1]
	v_add_co_u32 v0, vcc_lo, v61, s62
	s_wait_alu 0xfffd
	v_add_co_ci_u32_e64 v1, null, s63, v62, vcc_lo
	s_clause 0x2
	flat_load_b128 v[53:56], v[3:4]
	flat_load_b128 v[49:52], v[61:62]
	;; [unrolled: 1-line block ×3, first 2 shown]
	ds_load_b128 v[61:64], v155
	ds_load_b128 v[57:60], v177 offset:256
	v_add_co_u32 v0, vcc_lo, v0, s64
	s_wait_alu 0xfffd
	v_add_co_ci_u32_e64 v1, null, s65, v1, vcc_lo
	s_wait_loadcnt_dscnt 0x301
	v_mul_f64_e32 v[3:4], v[31:32], v[63:64]
	v_mul_f64_e32 v[65:66], v[29:30], v[63:64]
	s_wait_loadcnt 0x2
	v_mul_f64_e32 v[67:68], v[55:56], v[63:64]
	v_mul_f64_e32 v[69:70], v[53:54], v[63:64]
	s_wait_loadcnt 0x1
	;; [unrolled: 3-line block ×3, first 2 shown]
	v_mul_f64_e32 v[75:76], v[47:48], v[63:64]
	v_mul_f64_e32 v[63:64], v[45:46], v[63:64]
	v_fma_f64 v[77:78], v[29:30], v[61:62], -v[3:4]
	v_fma_f64 v[79:80], v[31:32], v[61:62], v[65:66]
	v_add_f64_e32 v[3:4], 0, v[81:82]
	v_add_f64_e32 v[81:82], 0, v[83:84]
	v_fma_f64 v[97:98], v[53:54], v[61:62], -v[67:68]
	v_fma_f64 v[99:100], v[55:56], v[61:62], v[69:70]
	v_fma_f64 v[101:102], v[49:50], v[61:62], -v[71:72]
	v_fma_f64 v[103:104], v[51:52], v[61:62], v[73:74]
	;; [unrolled: 2-line block ×3, first 2 shown]
	ds_load_b128 v[73:76], v177 offset:272
	ds_load_b128 v[69:72], v177 offset:288
	;; [unrolled: 1-line block ×3, first 2 shown]
	ds_store_b128 v178, v[77:80]
	ds_store_b128 v178, v[97:100] offset:1072
	ds_store_b128 v178, v[101:104] offset:2144
	;; [unrolled: 1-line block ×3, first 2 shown]
	s_wait_dscnt 0x0
	s_barrier_signal -1
	s_barrier_wait -1
	global_inv scope:SCOPE_SE
	ds_load_b128 v[97:100], v179
	ds_load_b128 v[101:104], v179 offset:16
	ds_load_b128 v[105:108], v179 offset:32
	;; [unrolled: 1-line block ×3, first 2 shown]
	s_wait_loadcnt_dscnt 0x0
	s_barrier_signal -1
	s_barrier_wait -1
	global_inv scope:SCOPE_SE
	flat_load_b128 v[61:64], v[0:1]
	v_add_co_u32 v0, vcc_lo, v0, s62
	s_wait_alu 0xfffd
	v_add_co_ci_u32_e64 v1, null, s63, v1, vcc_lo
	v_add_f64_e32 v[81:82], v[81:82], v[87:88]
	ds_load_b128 v[117:120], v155
	v_add_f64_e32 v[3:4], v[3:4], v[85:86]
	flat_load_b128 v[77:80], v[0:1]
	v_add_co_u32 v0, vcc_lo, v0, s62
	s_wait_alu 0xfffd
	v_add_co_ci_u32_e64 v1, null, s63, v1, vcc_lo
	v_add_f64_e32 v[81:82], v[81:82], v[91:92]
	v_add_f64_e32 v[3:4], v[3:4], v[89:90]
	s_delay_alu instid0(VALU_DEP_2)
	v_add_f64_e32 v[115:116], v[81:82], v[95:96]
	ds_load_b128 v[81:84], v177 offset:512
	v_add_f64_e32 v[113:114], v[3:4], v[93:94]
	s_wait_loadcnt_dscnt 0x102
	v_mul_f64_e32 v[85:86], v[61:62], v[119:120]
	v_mul_f64_e32 v[3:4], v[63:64], v[119:120]
	s_wait_loadcnt_dscnt 0x1
	v_mul_f64_e32 v[87:88], v[79:80], v[119:120]
	s_delay_alu instid0(VALU_DEP_3) | instskip(NEXT) | instid1(VALU_DEP_3)
	v_fma_f64 v[95:96], v[63:64], v[117:118], v[85:86]
	v_fma_f64 v[93:94], v[61:62], v[117:118], -v[3:4]
	v_mul_f64_e32 v[3:4], v[77:78], v[119:120]
	s_delay_alu instid0(VALU_DEP_4)
	v_fma_f64 v[121:122], v[77:78], v[117:118], -v[87:88]
	flat_load_b128 v[85:88], v[0:1]
	ds_store_b128 v178, v[93:96]
	v_fma_f64 v[123:124], v[79:80], v[117:118], v[3:4]
	v_add_co_u32 v3, vcc_lo, v0, s62
	s_wait_alu 0xfffd
	v_add_co_ci_u32_e64 v4, null, s63, v1, vcc_lo
	s_wait_loadcnt_dscnt 0x1
	v_mul_f64_e32 v[89:90], v[85:86], v[119:120]
	v_mul_f64_e32 v[0:1], v[87:88], v[119:120]
	s_delay_alu instid0(VALU_DEP_2)
	v_fma_f64 v[127:128], v[87:88], v[117:118], v[89:90]
	flat_load_b128 v[89:92], v[3:4]
	v_fma_f64 v[125:126], v[85:86], v[117:118], -v[0:1]
	ds_store_b128 v178, v[121:124] offset:1072
	ds_store_b128 v178, v[125:128] offset:2144
	s_wait_loadcnt_dscnt 0x2
	v_mul_f64_e32 v[0:1], v[91:92], v[119:120]
	v_mul_f64_e32 v[119:120], v[89:90], v[119:120]
	s_delay_alu instid0(VALU_DEP_2) | instskip(SKIP_2) | instid1(VALU_DEP_4)
	v_fma_f64 v[129:130], v[89:90], v[117:118], -v[0:1]
	v_add_f64_e32 v[0:1], 0, v[97:98]
	v_add_f64_e32 v[97:98], 0, v[99:100]
	v_fma_f64 v[131:132], v[91:92], v[117:118], v[119:120]
	s_delay_alu instid0(VALU_DEP_3) | instskip(NEXT) | instid1(VALU_DEP_3)
	v_add_f64_e32 v[0:1], v[0:1], v[101:102]
	v_add_f64_e32 v[97:98], v[97:98], v[103:104]
	s_delay_alu instid0(VALU_DEP_2) | instskip(NEXT) | instid1(VALU_DEP_2)
	v_add_f64_e32 v[0:1], v[0:1], v[105:106]
	v_add_f64_e32 v[97:98], v[97:98], v[107:108]
	s_delay_alu instid0(VALU_DEP_2) | instskip(SKIP_3) | instid1(VALU_DEP_4)
	v_add_f64_e32 v[189:190], v[0:1], v[109:110]
	v_add_co_u32 v0, vcc_lo, v3, s64
	s_wait_alu 0xfffd
	v_add_co_ci_u32_e64 v1, null, s65, v4, vcc_lo
	v_add_f64_e32 v[191:192], v[97:98], v[111:112]
	ds_load_b128 v[109:112], v177 offset:528
	ds_load_b128 v[105:108], v177 offset:544
	ds_store_b128 v178, v[129:132] offset:3216
	ds_load_b128 v[101:104], v177 offset:560
	s_wait_dscnt 0x0
	s_barrier_signal -1
	s_barrier_wait -1
	global_inv scope:SCOPE_SE
	ds_load_b128 v[129:132], v179
	ds_load_b128 v[133:136], v179 offset:16
	ds_load_b128 v[137:140], v179 offset:32
	;; [unrolled: 1-line block ×3, first 2 shown]
	s_wait_loadcnt_dscnt 0x0
	s_barrier_signal -1
	s_barrier_wait -1
	global_inv scope:SCOPE_SE
	flat_load_b128 v[93:96], v[0:1]
	ds_load_b128 v[197:200], v155
	ds_load_b128 v[97:100], v177 offset:768
	v_add_co_u32 v3, vcc_lo, v0, s62
	s_wait_alu 0xfffd
	v_add_co_ci_u32_e64 v4, null, s63, v1, vcc_lo
	s_wait_loadcnt_dscnt 0x1
	v_mul_f64_e32 v[117:118], v[93:94], v[199:200]
	v_mul_f64_e32 v[0:1], v[95:96], v[199:200]
	s_delay_alu instid0(VALU_DEP_2)
	v_fma_f64 v[203:204], v[95:96], v[197:198], v[117:118]
	flat_load_b128 v[117:120], v[3:4]
	v_fma_f64 v[201:202], v[93:94], v[197:198], -v[0:1]
	v_add_co_u32 v0, vcc_lo, v3, s62
	s_wait_alu 0xfffd
	v_add_co_ci_u32_e64 v1, null, s63, v4, vcc_lo
	s_wait_loadcnt_dscnt 0x0
	v_mul_f64_e32 v[121:122], v[117:118], v[199:200]
	v_mul_f64_e32 v[3:4], v[119:120], v[199:200]
	s_delay_alu instid0(VALU_DEP_2)
	v_fma_f64 v[207:208], v[119:120], v[197:198], v[121:122]
	flat_load_b128 v[121:124], v[0:1]
	v_fma_f64 v[205:206], v[117:118], v[197:198], -v[3:4]
	;; [unrolled: 10-line block ×3, first 2 shown]
	s_wait_loadcnt_dscnt 0x0
	v_mul_f64_e32 v[0:1], v[127:128], v[199:200]
	v_mul_f64_e32 v[199:200], v[125:126], v[199:200]
	s_delay_alu instid0(VALU_DEP_2) | instskip(SKIP_2) | instid1(VALU_DEP_4)
	v_fma_f64 v[213:214], v[125:126], v[197:198], -v[0:1]
	v_add_f64_e32 v[0:1], 0, v[129:130]
	v_add_f64_e32 v[129:130], 0, v[131:132]
	v_fma_f64 v[215:216], v[127:128], v[197:198], v[199:200]
	ds_store_b128 v178, v[201:204]
	ds_store_b128 v178, v[205:208] offset:1072
	ds_store_b128 v178, v[209:212] offset:2144
	;; [unrolled: 1-line block ×3, first 2 shown]
	v_add_f64_e32 v[0:1], v[0:1], v[133:134]
	v_add_f64_e32 v[129:130], v[129:130], v[135:136]
	s_delay_alu instid0(VALU_DEP_2) | instskip(NEXT) | instid1(VALU_DEP_2)
	v_add_f64_e32 v[0:1], v[0:1], v[137:138]
	v_add_f64_e32 v[129:130], v[129:130], v[139:140]
	s_delay_alu instid0(VALU_DEP_2) | instskip(NEXT) | instid1(VALU_DEP_2)
	v_add_f64_e32 v[193:194], v[0:1], v[193:194]
	v_add_f64_e32 v[195:196], v[129:130], v[195:196]
	ds_load_b128 v[137:140], v177 offset:784
	ds_load_b128 v[133:136], v177 offset:800
	ds_load_b128 v[129:132], v177 offset:816
	s_wait_dscnt 0x0
	s_barrier_signal -1
	s_barrier_wait -1
	global_inv scope:SCOPE_SE
	ds_load_b128 v[197:200], v179
	ds_load_b128 v[201:204], v179 offset:16
	s_wait_dscnt 0x1
	v_add_f64_e32 v[0:1], 0, v[197:198]
	v_add_f64_e32 v[197:198], 0, v[199:200]
	s_wait_dscnt 0x0
	s_delay_alu instid0(VALU_DEP_2) | instskip(NEXT) | instid1(VALU_DEP_2)
	v_add_f64_e32 v[0:1], v[0:1], v[201:202]
	v_add_f64_e32 v[205:206], v[197:198], v[203:204]
	ds_load_b128 v[197:200], v179 offset:32
	ds_load_b128 v[201:204], v179 offset:48
	s_wait_loadcnt_dscnt 0x0
	s_barrier_signal -1
	s_barrier_wait -1
	global_inv scope:SCOPE_SE
	v_add_f64_e32 v[0:1], v[0:1], v[197:198]
	v_add_f64_e32 v[199:200], v[205:206], v[199:200]
	s_delay_alu instid0(VALU_DEP_2) | instskip(NEXT) | instid1(VALU_DEP_2)
	v_add_f64_e32 v[197:198], v[0:1], v[201:202]
	v_add_f64_e32 v[199:200], v[199:200], v[203:204]
	ds_store_b128 v185, v[113:116]
	ds_store_b128 v185, v[189:192] offset:256
	ds_store_b128 v185, v[193:196] offset:512
	;; [unrolled: 1-line block ×3, first 2 shown]
	s_wait_loadcnt_dscnt 0x0
	s_barrier_signal -1
	s_barrier_wait -1
	global_inv scope:SCOPE_SE
	s_and_saveexec_b32 s35, s18
	s_cbranch_execz .LBB192_74
; %bb.78:                               ;   in Loop: Header=BB192_75 Depth=2
	ds_load_b128 v[113:116], v180
	ds_load_b128 v[189:192], v180 offset:16
	s_wait_dscnt 0x0
	v_add_f64_e32 v[0:1], v[189:190], v[113:114]
	v_add_f64_e32 v[193:194], v[191:192], v[115:116]
	ds_load_b128 v[113:116], v180 offset:32
	ds_load_b128 v[189:192], v180 offset:48
	s_wait_dscnt 0x1
	v_add_f64_e32 v[0:1], v[0:1], v[113:114]
	v_add_f64_e32 v[113:114], v[193:194], v[115:116]
	s_wait_dscnt 0x0
	s_delay_alu instid0(VALU_DEP_2) | instskip(NEXT) | instid1(VALU_DEP_2)
	v_add_f64_e32 v[0:1], v[0:1], v[189:190]
	v_add_f64_e32 v[193:194], v[113:114], v[191:192]
	ds_load_b128 v[113:116], v180 offset:64
	ds_load_b128 v[189:192], v180 offset:80
	s_wait_dscnt 0x1
	v_add_f64_e32 v[0:1], v[0:1], v[113:114]
	v_add_f64_e32 v[113:114], v[193:194], v[115:116]
	s_wait_dscnt 0x0
	s_delay_alu instid0(VALU_DEP_2) | instskip(NEXT) | instid1(VALU_DEP_2)
	;; [unrolled: 9-line block ×6, first 2 shown]
	v_add_f64_e32 v[0:1], v[0:1], v[189:190]
	v_add_f64_e32 v[193:194], v[113:114], v[191:192]
	ds_load_b128 v[113:116], v180 offset:224
	ds_load_b128 v[189:192], v181
	s_wait_dscnt 0x1
	v_add_f64_e32 v[0:1], v[0:1], v[113:114]
	v_add_f64_e32 v[115:116], v[193:194], v[115:116]
	s_wait_dscnt 0x0
	s_delay_alu instid0(VALU_DEP_2) | instskip(NEXT) | instid1(VALU_DEP_2)
	v_add_f64_e32 v[113:114], v[0:1], v[189:190]
	v_add_f64_e32 v[115:116], v[115:116], v[191:192]
	s_wait_alu 0xfffe
	v_add_nc_u32_e32 v1, s42, v153
	s_delay_alu instid0(VALU_DEP_1) | instskip(NEXT) | instid1(VALU_DEP_1)
	v_lshlrev_b64_e32 v[0:1], 4, v[1:2]
	v_add_co_u32 v0, vcc_lo, s74, v0
	s_wait_alu 0xfffd
	s_delay_alu instid0(VALU_DEP_2)
	v_add_co_ci_u32_e64 v1, null, s75, v1, vcc_lo
	global_store_b128 v[0:1], v[113:116], off
	s_branch .LBB192_74
.LBB192_79:                             ;   in Loop: Header=BB192_4 Depth=1
	ds_store_b128 v182, v[5:8]
	s_wait_loadcnt_dscnt 0x0
	s_barrier_signal -1
	s_barrier_wait -1
	global_inv scope:SCOPE_SE
	s_and_saveexec_b32 s19, s78
	s_cbranch_execz .LBB192_2
; %bb.80:                               ;   in Loop: Header=BB192_4 Depth=1
	ds_load_b128 v[3:6], v154 offset:1072
	ds_load_b128 v[7:10], v154
	s_wait_dscnt 0x0
	v_add_f64_e32 v[0:1], v[3:4], v[7:8]
	v_add_f64_e32 v[11:12], v[5:6], v[9:10]
	ds_load_b128 v[3:6], v154 offset:2144
	ds_load_b128 v[7:10], v154 offset:3216
	s_wait_dscnt 0x1
	v_add_f64_e32 v[0:1], v[0:1], v[3:4]
	v_add_f64_e32 v[5:6], v[11:12], v[5:6]
	s_wait_dscnt 0x0
	s_delay_alu instid0(VALU_DEP_2) | instskip(NEXT) | instid1(VALU_DEP_2)
	v_add_f64_e32 v[3:4], v[0:1], v[7:8]
	v_add_f64_e32 v[5:6], v[5:6], v[9:10]
	s_wait_alu 0xfffe
	v_add_co_u32 v0, vcc_lo, s74, v151
	s_wait_alu 0xfffd
	v_add_co_ci_u32_e64 v1, null, s75, v152, vcc_lo
	global_store_b128 v[0:1], v[3:6], off
	s_branch .LBB192_2
.LBB192_81:                             ;   in Loop: Header=BB192_4 Depth=1
	ds_load_b128 v[3:6], v161
	s_wait_dscnt 0x0
	ds_store_b128 v160, v[3:6]
	s_or_b32 exec_lo, exec_lo, s19
	s_and_saveexec_b32 s19, s8
	s_cbranch_execz .LBB192_28
.LBB192_82:                             ;   in Loop: Header=BB192_4 Depth=1
	ds_load_b128 v[3:6], v163
	s_wait_dscnt 0x0
	ds_store_b128 v162, v[3:6]
	s_or_b32 exec_lo, exec_lo, s19
	s_and_saveexec_b32 s19, s9
	s_cbranch_execz .LBB192_29
.LBB192_83:                             ;   in Loop: Header=BB192_4 Depth=1
	ds_load_b128 v[3:6], v165
	s_wait_dscnt 0x0
	ds_store_b128 v164, v[3:6]
	s_or_b32 exec_lo, exec_lo, s19
	s_and_saveexec_b32 s19, s10
	s_cbranch_execnz .LBB192_30
	s_branch .LBB192_31
.LBB192_84:                             ;   in Loop: Header=BB192_4 Depth=1
	ds_load_b128 v[11:14], v161
	s_wait_dscnt 0x0
	ds_store_b128 v171, v[11:14]
	s_or_b32 exec_lo, exec_lo, s19
	s_and_saveexec_b32 s19, s8
	s_cbranch_execz .LBB192_49
.LBB192_85:                             ;   in Loop: Header=BB192_4 Depth=1
	ds_load_b128 v[11:14], v163
	s_wait_dscnt 0x0
	ds_store_b128 v172, v[11:14]
	s_or_b32 exec_lo, exec_lo, s19
	s_and_saveexec_b32 s19, s9
	s_cbranch_execz .LBB192_50
.LBB192_86:                             ;   in Loop: Header=BB192_4 Depth=1
	ds_load_b128 v[11:14], v165
	s_wait_dscnt 0x0
	ds_store_b128 v173, v[11:14]
	s_or_b32 exec_lo, exec_lo, s19
	s_and_saveexec_b32 s19, s10
	s_cbranch_execnz .LBB192_51
	s_branch .LBB192_52
.LBB192_87:                             ;   in Loop: Header=BB192_4 Depth=1
	flat_load_b128 v[11:14], v[5:6]
	s_wait_loadcnt_dscnt 0x0
	ds_store_2addr_b64 v156, v[11:12], v[13:14] offset1:1
	s_or_b32 exec_lo, exec_lo, s19
	s_and_saveexec_b32 s19, s4
	s_delay_alu instid0(SALU_CYCLE_1)
	s_xor_b32 s19, exec_lo, s19
	s_cbranch_execz .LBB192_19
.LBB192_88:                             ;   in Loop: Header=BB192_4 Depth=1
	v_dual_mov_b32 v1, v2 :: v_dual_mov_b32 v4, v2
	v_mov_b32_e32 v3, v2
	ds_store_b128 v157, v[1:4]
	s_and_not1_saveexec_b32 s19, s19
	s_cbranch_execz .LBB192_20
.LBB192_89:                             ;   in Loop: Header=BB192_4 Depth=1
	v_add_co_u32 v0, vcc_lo, v5, s52
	s_wait_alu 0xfffd
	v_add_co_ci_u32_e64 v1, null, s53, v6, vcc_lo
	flat_load_b128 v[11:14], v[0:1]
	s_wait_loadcnt_dscnt 0x0
	ds_store_2addr_b64 v157, v[11:12], v[13:14] offset1:1
	s_or_b32 exec_lo, exec_lo, s19
	s_and_saveexec_b32 s19, s5
	s_delay_alu instid0(SALU_CYCLE_1)
	s_xor_b32 s19, exec_lo, s19
	s_cbranch_execz .LBB192_21
.LBB192_90:                             ;   in Loop: Header=BB192_4 Depth=1
	v_dual_mov_b32 v1, v2 :: v_dual_mov_b32 v4, v2
	v_mov_b32_e32 v3, v2
	ds_store_b128 v158, v[1:4]
	s_and_not1_saveexec_b32 s19, s19
	s_cbranch_execz .LBB192_22
.LBB192_91:                             ;   in Loop: Header=BB192_4 Depth=1
	v_add_co_u32 v0, vcc_lo, v5, s54
	s_wait_alu 0xfffd
	v_add_co_ci_u32_e64 v1, null, s55, v6, vcc_lo
	flat_load_b128 v[11:14], v[0:1]
	s_wait_loadcnt_dscnt 0x0
	ds_store_2addr_b64 v158, v[11:12], v[13:14] offset1:1
	s_or_b32 exec_lo, exec_lo, s19
	s_and_saveexec_b32 s19, s6
	s_delay_alu instid0(SALU_CYCLE_1)
	s_xor_b32 s19, exec_lo, s19
	s_cbranch_execz .LBB192_23
.LBB192_92:                             ;   in Loop: Header=BB192_4 Depth=1
	v_dual_mov_b32 v1, v2 :: v_dual_mov_b32 v4, v2
	v_mov_b32_e32 v3, v2
	ds_store_b128 v159, v[1:4]
	s_and_not1_saveexec_b32 s19, s19
	s_cbranch_execnz .LBB192_24
	s_branch .LBB192_25
.LBB192_93:                             ;   in Loop: Header=BB192_4 Depth=1
	flat_load_b128 v[13:16], v[11:12]
	s_wait_loadcnt_dscnt 0x0
	ds_store_2addr_b64 v156, v[13:14], v[15:16] offset1:1
	s_or_b32 exec_lo, exec_lo, s19
	s_and_saveexec_b32 s19, s14
	s_delay_alu instid0(SALU_CYCLE_1)
	s_xor_b32 s19, exec_lo, s19
	s_cbranch_execz .LBB192_40
.LBB192_94:                             ;   in Loop: Header=BB192_4 Depth=1
	v_dual_mov_b32 v1, v2 :: v_dual_mov_b32 v4, v2
	v_mov_b32_e32 v3, v2
	ds_store_b128 v157, v[1:4]
	s_and_not1_saveexec_b32 s19, s19
	s_cbranch_execz .LBB192_41
.LBB192_95:                             ;   in Loop: Header=BB192_4 Depth=1
	v_add_co_u32 v0, vcc_lo, v11, s52
	s_wait_alu 0xfffd
	v_add_co_ci_u32_e64 v1, null, s53, v12, vcc_lo
	flat_load_b128 v[13:16], v[0:1]
	s_wait_loadcnt_dscnt 0x0
	ds_store_2addr_b64 v157, v[13:14], v[15:16] offset1:1
	s_or_b32 exec_lo, exec_lo, s19
	s_and_saveexec_b32 s19, s15
	s_delay_alu instid0(SALU_CYCLE_1)
	s_xor_b32 s19, exec_lo, s19
	s_cbranch_execz .LBB192_42
.LBB192_96:                             ;   in Loop: Header=BB192_4 Depth=1
	v_dual_mov_b32 v1, v2 :: v_dual_mov_b32 v4, v2
	v_mov_b32_e32 v3, v2
	ds_store_b128 v158, v[1:4]
	s_and_not1_saveexec_b32 s19, s19
	s_cbranch_execz .LBB192_43
.LBB192_97:                             ;   in Loop: Header=BB192_4 Depth=1
	v_add_co_u32 v0, vcc_lo, v11, s54
	s_wait_alu 0xfffd
	v_add_co_ci_u32_e64 v1, null, s55, v12, vcc_lo
	flat_load_b128 v[13:16], v[0:1]
	s_wait_loadcnt_dscnt 0x0
	ds_store_2addr_b64 v158, v[13:14], v[15:16] offset1:1
	s_or_b32 exec_lo, exec_lo, s19
	s_and_saveexec_b32 s19, s16
	s_delay_alu instid0(SALU_CYCLE_1)
	s_xor_b32 s19, exec_lo, s19
	s_cbranch_execz .LBB192_44
.LBB192_98:                             ;   in Loop: Header=BB192_4 Depth=1
	v_dual_mov_b32 v1, v2 :: v_dual_mov_b32 v4, v2
	v_mov_b32_e32 v3, v2
	ds_store_b128 v159, v[1:4]
	s_and_not1_saveexec_b32 s19, s19
	s_cbranch_execnz .LBB192_45
	s_branch .LBB192_46
.LBB192_99:                             ;   in Loop: Header=BB192_4 Depth=1
	flat_load_b128 v[11:14], v[9:10]
	s_wait_loadcnt_dscnt 0x0
	ds_store_2addr_b64 v156, v[11:12], v[13:14] offset1:1
	s_or_b32 exec_lo, exec_lo, s19
	s_and_saveexec_b32 s19, s4
	s_delay_alu instid0(SALU_CYCLE_1)
	s_xor_b32 s19, exec_lo, s19
	s_cbranch_execz .LBB192_61
.LBB192_100:                            ;   in Loop: Header=BB192_4 Depth=1
	v_dual_mov_b32 v1, v2 :: v_dual_mov_b32 v4, v2
	v_mov_b32_e32 v3, v2
	ds_store_b128 v157, v[1:4]
	s_and_not1_saveexec_b32 s19, s19
	s_cbranch_execz .LBB192_62
.LBB192_101:                            ;   in Loop: Header=BB192_4 Depth=1
	v_add_co_u32 v0, vcc_lo, v9, s52
	s_wait_alu 0xfffd
	v_add_co_ci_u32_e64 v1, null, s53, v10, vcc_lo
	flat_load_b128 v[11:14], v[0:1]
	s_wait_loadcnt_dscnt 0x0
	ds_store_2addr_b64 v157, v[11:12], v[13:14] offset1:1
	s_or_b32 exec_lo, exec_lo, s19
	s_and_saveexec_b32 s19, s5
	s_delay_alu instid0(SALU_CYCLE_1)
	s_xor_b32 s19, exec_lo, s19
	s_cbranch_execz .LBB192_63
.LBB192_102:                            ;   in Loop: Header=BB192_4 Depth=1
	v_dual_mov_b32 v1, v2 :: v_dual_mov_b32 v4, v2
	v_mov_b32_e32 v3, v2
	ds_store_b128 v158, v[1:4]
	s_and_not1_saveexec_b32 s19, s19
	s_cbranch_execz .LBB192_64
.LBB192_103:                            ;   in Loop: Header=BB192_4 Depth=1
	v_add_co_u32 v0, vcc_lo, v9, s54
	s_wait_alu 0xfffd
	v_add_co_ci_u32_e64 v1, null, s55, v10, vcc_lo
	flat_load_b128 v[11:14], v[0:1]
	s_wait_loadcnt_dscnt 0x0
	ds_store_2addr_b64 v158, v[11:12], v[13:14] offset1:1
	s_or_b32 exec_lo, exec_lo, s19
	s_and_saveexec_b32 s19, s6
	s_delay_alu instid0(SALU_CYCLE_1)
	s_xor_b32 s19, exec_lo, s19
	s_cbranch_execz .LBB192_65
.LBB192_104:                            ;   in Loop: Header=BB192_4 Depth=1
	v_dual_mov_b32 v1, v2 :: v_dual_mov_b32 v4, v2
	v_mov_b32_e32 v3, v2
	ds_store_b128 v159, v[1:4]
	s_and_not1_saveexec_b32 s19, s19
	s_cbranch_execnz .LBB192_66
	s_branch .LBB192_67
.LBB192_105:
	s_nop 0
	s_sendmsg sendmsg(MSG_DEALLOC_VGPRS)
	s_endpgm
	.section	.rodata,"a",@progbits
	.p2align	6, 0x0
	.amdhsa_kernel _ZL26rocblas_hemvn_kernel_lowerILb0ELi64ELi4ELi33ELi32ELi16ElPK19rocblas_complex_numIdEPKS3_PS1_EviT6_lT7_lT5_lS8_lS9_lS7_lT8_i
		.amdhsa_group_segment_fixed_size 19200
		.amdhsa_private_segment_fixed_size 0
		.amdhsa_kernarg_size 376
		.amdhsa_user_sgpr_count 2
		.amdhsa_user_sgpr_dispatch_ptr 0
		.amdhsa_user_sgpr_queue_ptr 0
		.amdhsa_user_sgpr_kernarg_segment_ptr 1
		.amdhsa_user_sgpr_dispatch_id 0
		.amdhsa_user_sgpr_private_segment_size 0
		.amdhsa_wavefront_size32 1
		.amdhsa_uses_dynamic_stack 0
		.amdhsa_enable_private_segment 0
		.amdhsa_system_sgpr_workgroup_id_x 1
		.amdhsa_system_sgpr_workgroup_id_y 0
		.amdhsa_system_sgpr_workgroup_id_z 1
		.amdhsa_system_sgpr_workgroup_info 0
		.amdhsa_system_vgpr_workitem_id 1
		.amdhsa_next_free_vgpr 217
		.amdhsa_next_free_sgpr 82
		.amdhsa_reserve_vcc 1
		.amdhsa_float_round_mode_32 0
		.amdhsa_float_round_mode_16_64 0
		.amdhsa_float_denorm_mode_32 3
		.amdhsa_float_denorm_mode_16_64 3
		.amdhsa_fp16_overflow 0
		.amdhsa_workgroup_processor_mode 1
		.amdhsa_memory_ordered 1
		.amdhsa_forward_progress 1
		.amdhsa_inst_pref_size 76
		.amdhsa_round_robin_scheduling 0
		.amdhsa_exception_fp_ieee_invalid_op 0
		.amdhsa_exception_fp_denorm_src 0
		.amdhsa_exception_fp_ieee_div_zero 0
		.amdhsa_exception_fp_ieee_overflow 0
		.amdhsa_exception_fp_ieee_underflow 0
		.amdhsa_exception_fp_ieee_inexact 0
		.amdhsa_exception_int_div_zero 0
	.end_amdhsa_kernel
	.section	.text._ZL26rocblas_hemvn_kernel_lowerILb0ELi64ELi4ELi33ELi32ELi16ElPK19rocblas_complex_numIdEPKS3_PS1_EviT6_lT7_lT5_lS8_lS9_lS7_lT8_i,"axG",@progbits,_ZL26rocblas_hemvn_kernel_lowerILb0ELi64ELi4ELi33ELi32ELi16ElPK19rocblas_complex_numIdEPKS3_PS1_EviT6_lT7_lT5_lS8_lS9_lS7_lT8_i,comdat
.Lfunc_end192:
	.size	_ZL26rocblas_hemvn_kernel_lowerILb0ELi64ELi4ELi33ELi32ELi16ElPK19rocblas_complex_numIdEPKS3_PS1_EviT6_lT7_lT5_lS8_lS9_lS7_lT8_i, .Lfunc_end192-_ZL26rocblas_hemvn_kernel_lowerILb0ELi64ELi4ELi33ELi32ELi16ElPK19rocblas_complex_numIdEPKS3_PS1_EviT6_lT7_lT5_lS8_lS9_lS7_lT8_i
                                        ; -- End function
	.set _ZL26rocblas_hemvn_kernel_lowerILb0ELi64ELi4ELi33ELi32ELi16ElPK19rocblas_complex_numIdEPKS3_PS1_EviT6_lT7_lT5_lS8_lS9_lS7_lT8_i.num_vgpr, 217
	.set _ZL26rocblas_hemvn_kernel_lowerILb0ELi64ELi4ELi33ELi32ELi16ElPK19rocblas_complex_numIdEPKS3_PS1_EviT6_lT7_lT5_lS8_lS9_lS7_lT8_i.num_agpr, 0
	.set _ZL26rocblas_hemvn_kernel_lowerILb0ELi64ELi4ELi33ELi32ELi16ElPK19rocblas_complex_numIdEPKS3_PS1_EviT6_lT7_lT5_lS8_lS9_lS7_lT8_i.numbered_sgpr, 82
	.set _ZL26rocblas_hemvn_kernel_lowerILb0ELi64ELi4ELi33ELi32ELi16ElPK19rocblas_complex_numIdEPKS3_PS1_EviT6_lT7_lT5_lS8_lS9_lS7_lT8_i.num_named_barrier, 0
	.set _ZL26rocblas_hemvn_kernel_lowerILb0ELi64ELi4ELi33ELi32ELi16ElPK19rocblas_complex_numIdEPKS3_PS1_EviT6_lT7_lT5_lS8_lS9_lS7_lT8_i.private_seg_size, 0
	.set _ZL26rocblas_hemvn_kernel_lowerILb0ELi64ELi4ELi33ELi32ELi16ElPK19rocblas_complex_numIdEPKS3_PS1_EviT6_lT7_lT5_lS8_lS9_lS7_lT8_i.uses_vcc, 1
	.set _ZL26rocblas_hemvn_kernel_lowerILb0ELi64ELi4ELi33ELi32ELi16ElPK19rocblas_complex_numIdEPKS3_PS1_EviT6_lT7_lT5_lS8_lS9_lS7_lT8_i.uses_flat_scratch, 1
	.set _ZL26rocblas_hemvn_kernel_lowerILb0ELi64ELi4ELi33ELi32ELi16ElPK19rocblas_complex_numIdEPKS3_PS1_EviT6_lT7_lT5_lS8_lS9_lS7_lT8_i.has_dyn_sized_stack, 0
	.set _ZL26rocblas_hemvn_kernel_lowerILb0ELi64ELi4ELi33ELi32ELi16ElPK19rocblas_complex_numIdEPKS3_PS1_EviT6_lT7_lT5_lS8_lS9_lS7_lT8_i.has_recursion, 0
	.set _ZL26rocblas_hemvn_kernel_lowerILb0ELi64ELi4ELi33ELi32ELi16ElPK19rocblas_complex_numIdEPKS3_PS1_EviT6_lT7_lT5_lS8_lS9_lS7_lT8_i.has_indirect_call, 0
	.section	.AMDGPU.csdata,"",@progbits
; Kernel info:
; codeLenInByte = 9652
; TotalNumSgprs: 84
; NumVgprs: 217
; ScratchSize: 0
; MemoryBound: 0
; FloatMode: 240
; IeeeMode: 1
; LDSByteSize: 19200 bytes/workgroup (compile time only)
; SGPRBlocks: 0
; VGPRBlocks: 27
; NumSGPRsForWavesPerEU: 84
; NumVGPRsForWavesPerEU: 217
; Occupancy: 6
; WaveLimiterHint : 0
; COMPUTE_PGM_RSRC2:SCRATCH_EN: 0
; COMPUTE_PGM_RSRC2:USER_SGPR: 2
; COMPUTE_PGM_RSRC2:TRAP_HANDLER: 0
; COMPUTE_PGM_RSRC2:TGID_X_EN: 1
; COMPUTE_PGM_RSRC2:TGID_Y_EN: 0
; COMPUTE_PGM_RSRC2:TGID_Z_EN: 1
; COMPUTE_PGM_RSRC2:TIDIG_COMP_CNT: 1
	.section	.text._ZL26rocblas_hemvn_kernel_lowerILb0ELi64ELi4ELi33ELi32ELi16EiPK19rocblas_complex_numIdEPKS3_PS1_EviT6_lT7_lT5_lS8_lS9_lS7_lT8_i,"axG",@progbits,_ZL26rocblas_hemvn_kernel_lowerILb0ELi64ELi4ELi33ELi32ELi16EiPK19rocblas_complex_numIdEPKS3_PS1_EviT6_lT7_lT5_lS8_lS9_lS7_lT8_i,comdat
	.globl	_ZL26rocblas_hemvn_kernel_lowerILb0ELi64ELi4ELi33ELi32ELi16EiPK19rocblas_complex_numIdEPKS3_PS1_EviT6_lT7_lT5_lS8_lS9_lS7_lT8_i ; -- Begin function _ZL26rocblas_hemvn_kernel_lowerILb0ELi64ELi4ELi33ELi32ELi16EiPK19rocblas_complex_numIdEPKS3_PS1_EviT6_lT7_lT5_lS8_lS9_lS7_lT8_i
	.p2align	8
	.type	_ZL26rocblas_hemvn_kernel_lowerILb0ELi64ELi4ELi33ELi32ELi16EiPK19rocblas_complex_numIdEPKS3_PS1_EviT6_lT7_lT5_lS8_lS9_lS7_lT8_i,@function
_ZL26rocblas_hemvn_kernel_lowerILb0ELi64ELi4ELi33ELi32ELi16EiPK19rocblas_complex_numIdEPKS3_PS1_EviT6_lT7_lT5_lS8_lS9_lS7_lT8_i: ; @_ZL26rocblas_hemvn_kernel_lowerILb0ELi64ELi4ELi33ELi32ELi16EiPK19rocblas_complex_numIdEPKS3_PS1_EviT6_lT7_lT5_lS8_lS9_lS7_lT8_i
; %bb.0:
	s_clause 0x1
	s_load_b64 s[2:3], s[0:1], 0x84
	s_load_b32 s33, s[0:1], 0x70
	s_lshr_b32 s34, ttmp7, 16
	s_wait_kmcnt 0x0
	s_lshr_b32 s4, s2, 16
	s_and_b32 s2, s2, 0xffff
	s_and_b32 s3, s3, 0xffff
	s_mul_i32 s2, s4, s2
	s_delay_alu instid0(SALU_CYCLE_1) | instskip(NEXT) | instid1(SALU_CYCLE_1)
	s_mul_i32 s2, s2, s3
	s_cmp_lg_u32 s2, 0x100
	s_cselect_b32 s2, -1, 0
	s_cmp_ge_u32 s34, s33
	s_cselect_b32 s3, -1, 0
	s_delay_alu instid0(SALU_CYCLE_1) | instskip(NEXT) | instid1(SALU_CYCLE_1)
	s_or_b32 s2, s2, s3
	s_and_b32 vcc_lo, exec_lo, s2
	s_cbranch_vccnz .LBB193_105
; %bb.1:
	s_load_b32 s2, s[0:1], 0x0
	v_bfe_u32 v4, v0, 10, 10
	v_dual_mov_b32 v1, 0 :: v_dual_and_b32 v154, 0x3ff, v0
	s_add_nc_u64 s[4:5], s[0:1], 0x78
	s_clause 0x1
	s_load_b256 s[20:27], s[0:1], 0x8
	s_load_b32 s58, s[0:1], 0x28
	s_load_b32 s4, s[4:5], 0x0
	s_clause 0x3
	s_load_b128 s[28:31], s[0:1], 0x38
	s_load_b32 s18, s[0:1], 0x48
	s_load_b64 s[6:7], s[0:1], 0x68
	s_load_b128 s[36:39], s[0:1], 0x58
	v_lshlrev_b32_e32 v17, 6, v4
	v_and_b32_e32 v2, 31, v0
	s_lshl_b32 s60, ttmp9, 6
	s_mov_b32 s35, 0
	v_add_nc_u32_e32 v3, s60, v154
	v_add_nc_u32_e32 v18, v17, v154
	v_lshlrev_b32_e32 v12, 4, v2
	s_mov_b32 s5, s35
	v_lshlrev_b32_e32 v155, 4, v154
	v_and_b32_e32 v22, 15, v0
	v_lshrrev_b32_e32 v11, 5, v18
	v_lshl_or_b32 v19, v2, 9, v12
	v_and_b32_e32 v0, 48, v0
	v_cmp_eq_u32_e64 s0, 0, v4
	s_wait_kmcnt 0x0
	s_ashr_i32 s3, s2, 31
	v_lshlrev_b32_e32 v16, 2, v11
	s_lshr_b32 s1, s3, 26
	s_add_co_i32 s8, s4, -1
	s_add_co_i32 s1, s2, s1
	s_ashr_i32 s59, s58, 31
	s_and_not1_b32 s1, s1, 63
	v_lshlrev_b32_e32 v20, 6, v11
	s_sub_co_i32 s1, s2, s1
	s_cmp_eq_u32 ttmp9, s8
	v_or_b32_e32 v21, 1, v16
	s_cselect_b32 s40, s1, 0
	v_mad_u32_u24 v157, 0x210, v11, v12
	s_cmp_eq_u32 s40, 0
	v_add_nc_u32_e32 v161, v19, v20
	v_mad_u32_u24 v162, 0x840, v11, v12
	v_or_b32_e32 v19, 2, v16
	v_mad_u32_u24 v163, 0x210, v21, v12
	v_mul_u32_u24_e32 v12, 33, v2
	s_cselect_b32 s76, -1, 0
	s_cmp_lg_u32 s40, 0
	s_mul_i32 s8, s2, ttmp9
	s_cselect_b32 s1, -1, 0
	s_ashr_i32 s9, s8, 31
	s_mul_u64 s[42:43], s[4:5], s[2:3]
	s_lshl_b64 s[2:3], s[8:9], 4
	v_cmp_lt_u32_e64 s9, v19, v2
	v_lshlrev_b32_e32 v19, 4, v11
	v_lshlrev_b32_e32 v165, 4, v12
	s_add_nc_u64 s[44:45], s[6:7], s[2:3]
	v_sub_co_u32 v9, s3, 0, v2
	s_sub_co_i32 s16, s40, 32
	v_add_nc_u32_e32 v168, v165, v19
	v_mad_co_u64_u32 v[7:8], null, s58, v11, v[2:3]
	v_sub_co_ci_u32_e64 v10, null, 0, 0, s3
	v_cmp_le_i32_e64 s3, s40, v11
	v_add_nc_u32_e32 v13, 8, v11
	v_add_nc_u32_e32 v14, 16, v11
	;; [unrolled: 1-line block ×5, first 2 shown]
	v_cmp_le_i32_e64 s13, s16, v11
	v_cmp_eq_u32_e64 s17, 1, v11
	v_mul_i32_i24_e32 v20, 0xffffffd0, v11
	v_mad_u32_u24 v173, v11, 48, v168
	v_mul_lo_u32 v11, v4, s58
	v_cmp_lt_u32_e64 s8, v21, v2
	v_lshrrev_b32_e32 v21, 4, v18
	v_mul_lo_u32 v5, s18, v3
	v_cmp_le_i32_e32 vcc_lo, s40, v154
	s_mul_i32 s52, s18, s60
	v_ashrrev_i32_e32 v8, 31, v7
	v_cmp_lt_u32_e64 s7, v16, v2
	v_or_b32_e32 v16, 3, v16
	v_or_b32_e32 v12, 32, v2
	v_lshl_add_u32 v11, v11, 2, v154
	s_ashr_i32 s53, s52, 31
	v_lshlrev_b32_e32 v23, 6, v21
	s_and_b32 s1, s1, vcc_lo
	v_cmp_le_i32_e64 s4, s40, v13
	v_cmp_le_i32_e64 s6, s40, v15
	;; [unrolled: 1-line block ×5, first 2 shown]
	s_sub_nc_u64 s[68:69], 0, s[52:53]
	v_sub_co_u32 v13, vcc_lo, 0, v7
	v_sub_co_u32 v15, s52, 0, v154
	v_ashrrev_i32_e32 v6, 31, v5
	v_cmp_le_i32_e64 s5, s40, v14
	v_cmp_lt_u32_e64 s10, v16, v2
	v_cmp_gt_i32_e64 s12, s40, v12
	v_sub_co_ci_u32_e64 v14, null, 0, v8, vcc_lo
	v_ashrrev_i32_e32 v12, 31, v11
	v_sub_co_ci_u32_e64 v16, null, 0, 0, s52
	v_mad_u32_u24 v176, 0x10c0, v4, v155
	v_mad_u32_u24 v180, 0x430, v4, v155
	v_ashrrev_i32_e32 v4, 31, v3
	s_mul_i32 s62, s58, s60
	s_lshl_b32 s46, s58, 3
	s_lshl_b32 s48, s58, 4
	s_mul_i32 s50, s58, 24
	s_lshl_b32 s64, s58, 5
	v_add_nc_u32_e32 v175, 0x4300, v17
	v_lshlrev_b32_e32 v0, 4, v0
	v_or_b32_e32 v17, 0xf0, v155
	v_mad_u32_u24 v177, 0x430, v22, v23
	v_mul_i32_i24_e32 v21, 0xffffffd0, v21
	s_ashr_i32 s61, s60, 31
	s_ashr_i32 s63, s62, 31
	;; [unrolled: 1-line block ×7, first 2 shown]
	s_xor_b32 s19, s1, -1
	s_cmp_gt_i32 ttmp9, 0
	v_lshlrev_b64_e32 v[140:141], 4, v[5:6]
	v_lshlrev_b64_e32 v[142:143], 4, v[7:8]
	;; [unrolled: 1-line block ×7, first 2 shown]
	v_add_nc_u32_e32 v156, 0x4700, v155
	v_add_nc_u32_e32 v158, 0x1080, v157
	;; [unrolled: 1-line block ×4, first 2 shown]
	v_cmp_gt_i32_e64 s2, s40, v2
	v_add_nc_u32_e32 v164, 0x210, v163
	v_add_nc_u32_e32 v166, 0x420, v163
	v_cmp_gt_u32_e64 s11, 32, v18
	v_add_nc_u32_e32 v170, 16, v169
	v_add_nc_u32_e32 v171, 32, v169
	;; [unrolled: 1-line block ×3, first 2 shown]
	s_cselect_b32 s77, -1, 0
	s_lshl_b32 s78, s18, 6
	v_add_nc_u32_e32 v174, 0x4300, v155
	v_cmp_gt_u32_e64 s18, 64, v18
	v_mad_u32_u24 v178, 0x430, v22, v0
	v_mad_u32_u24 v179, 0x430, v22, v17
	v_add_nc_u32_e32 v181, 0x4700, v19
	v_add_nc_u32_e32 v182, v167, v20
	;; [unrolled: 1-line block ×3, first 2 shown]
	v_lshlrev_b32_e32 v184, 4, v2
	s_sub_nc_u64 s[66:67], 0, s[64:65]
	s_sub_nc_u64 s[70:71], 0, s[62:63]
	s_wait_alu 0xfffe
	s_and_b32 s79, s0, s19
	s_lshl_b64 s[52:53], s[58:59], 7
	s_sub_nc_u64 s[54:55], 0, s[40:41]
	s_lshl_b64 s[56:57], s[58:59], 4
	s_mul_u64 s[58:59], s[58:59], 0xd0
	s_lshl_b64 s[30:31], s[30:31], 4
	s_lshl_b64 s[26:27], s[26:27], 4
	;; [unrolled: 1-line block ×8, first 2 shown]
	s_branch .LBB193_4
.LBB193_2:                              ;   in Loop: Header=BB193_4 Depth=1
	s_wait_alu 0xfffe
	s_or_b32 exec_lo, exec_lo, s19
.LBB193_3:                              ;   in Loop: Header=BB193_4 Depth=1
	s_add_co_i32 s34, s34, 0x10000
	s_delay_alu instid0(SALU_CYCLE_1)
	s_cmp_lt_u32 s34, s33
	s_cbranch_scc0 .LBB193_105
.LBB193_4:                              ; =>This Loop Header: Depth=1
                                        ;     Child Loop BB193_75 Depth 2
	s_mul_u64 s[72:73], s[22:23], s[34:35]
	s_wait_alu 0xfffe
	s_lshl_b64 s[72:73], s[72:73], 4
	s_wait_alu 0xfffe
	s_add_nc_u64 s[72:73], s[20:21], s[72:73]
	global_load_b128 v[2:5], v1, s[72:73]
	s_wait_loadcnt 0x0
	v_cmp_neq_f64_e32 vcc_lo, 0, v[2:3]
	v_cmp_neq_f64_e64 s19, 0, v[4:5]
	s_or_b32 s19, vcc_lo, s19
	s_wait_alu 0xfffe
	s_and_b32 vcc_lo, exec_lo, s19
	s_mov_b32 s19, -1
	s_wait_alu 0xfffe
	s_cbranch_vccz .LBB193_6
; %bb.5:                                ;   in Loop: Header=BB193_4 Depth=1
	s_and_not1_b32 vcc_lo, exec_lo, s19
	s_wait_alu 0xfffe
	s_cbranch_vccnz .LBB193_3
	s_branch .LBB193_7
.LBB193_6:                              ;   in Loop: Header=BB193_4 Depth=1
	s_mul_u64 s[72:73], s[38:39], s[34:35]
	s_wait_alu 0xfffe
	s_lshl_b64 s[72:73], s[72:73], 4
	s_wait_alu 0xfffe
	s_add_nc_u64 s[72:73], s[36:37], s[72:73]
	global_load_b128 v[2:5], v1, s[72:73]
	s_wait_loadcnt 0x0
	v_cmp_eq_f64_e32 vcc_lo, 1.0, v[2:3]
	v_cmp_eq_f64_e64 s19, 0, v[4:5]
	s_and_b32 s19, vcc_lo, s19
	s_wait_alu 0xfffe
	s_and_not1_b32 vcc_lo, exec_lo, s19
	s_cbranch_execnz .LBB193_3
.LBB193_7:                              ;   in Loop: Header=BB193_4 Depth=1
	s_lshl_b64 s[72:73], s[34:35], 3
	s_wait_alu 0xfffe
	s_add_nc_u64 s[74:75], s[28:29], s[72:73]
	s_add_nc_u64 s[72:73], s[24:25], s[72:73]
	s_clause 0x1
	global_load_b64 v[2:3], v1, s[74:75]
	global_load_b64 v[4:5], v1, s[72:73]
	s_wait_loadcnt 0x1
	v_add_co_u32 v0, vcc_lo, v2, s30
	s_wait_alu 0xfffd
	v_add_co_ci_u32_e64 v2, null, s31, v3, vcc_lo
	s_delay_alu instid0(VALU_DEP_2) | instskip(SKIP_1) | instid1(VALU_DEP_2)
	v_add_co_u32 v40, vcc_lo, v0, v140
	s_wait_alu 0xfffd
	v_add_co_ci_u32_e64 v41, null, v2, v141, vcc_lo
	s_and_saveexec_b32 s19, s0
	s_cbranch_execz .LBB193_12
; %bb.8:                                ;   in Loop: Header=BB193_4 Depth=1
	s_and_saveexec_b32 s72, s1
	s_wait_alu 0xfffe
	s_xor_b32 s72, exec_lo, s72
; %bb.9:                                ;   in Loop: Header=BB193_4 Depth=1
	v_dual_mov_b32 v0, v1 :: v_dual_mov_b32 v3, v1
	v_mov_b32_e32 v2, v1
	ds_store_b128 v156, v[0:3]
; %bb.10:                               ;   in Loop: Header=BB193_4 Depth=1
	s_wait_alu 0xfffe
	s_and_not1_saveexec_b32 s72, s72
	s_cbranch_execz .LBB193_12
; %bb.11:                               ;   in Loop: Header=BB193_4 Depth=1
	flat_load_b128 v[6:9], v[40:41]
	s_wait_loadcnt_dscnt 0x0
	ds_store_2addr_b64 v156, v[6:7], v[8:9] offset1:1
.LBB193_12:                             ;   in Loop: Header=BB193_4 Depth=1
	s_wait_alu 0xfffe
	s_or_b32 exec_lo, exec_lo, s19
	s_wait_loadcnt 0x0
	v_add_co_u32 v0, vcc_lo, v4, s26
	s_wait_alu 0xfffd
	v_add_co_ci_u32_e64 v2, null, s27, v5, vcc_lo
	s_mov_b32 s19, -1
	v_add_co_u32 v0, vcc_lo, v0, s60
	s_wait_alu 0xfffd
	v_add_co_ci_u32_e64 v2, null, s61, v2, vcc_lo
	s_delay_alu instid0(VALU_DEP_2) | instskip(SKIP_1) | instid1(VALU_DEP_2)
	v_add_co_u32 v0, vcc_lo, v0, v142
	s_wait_alu 0xfffd
	v_add_co_ci_u32_e64 v2, null, v2, v143, vcc_lo
	s_delay_alu instid0(VALU_DEP_2) | instskip(SKIP_1) | instid1(VALU_DEP_2)
	v_add_co_u32 v8, vcc_lo, v0, s62
	s_wait_alu 0xfffd
	v_add_co_ci_u32_e64 v9, null, s63, v2, vcc_lo
	s_and_not1_b32 vcc_lo, exec_lo, s76
	s_wait_alu 0xfffe
	s_cbranch_vccnz .LBB193_14
; %bb.13:                               ;   in Loop: Header=BB193_4 Depth=1
	flat_load_b128 v[2:5], v[8:9]
	s_lshl_b64 s[72:73], s[46:47], 4
	s_mov_b32 s19, 0
	s_wait_alu 0xfffe
	v_add_co_u32 v6, vcc_lo, v8, s72
	s_wait_alu 0xfffd
	v_add_co_ci_u32_e64 v7, null, s73, v9, vcc_lo
	s_wait_loadcnt_dscnt 0x0
	ds_store_2addr_b64 v157, v[2:3], v[4:5] offset1:1
	flat_load_b128 v[2:5], v[6:7]
	v_add_co_u32 v6, vcc_lo, v6, s52
	s_wait_alu 0xfffd
	v_add_co_ci_u32_e64 v7, null, s53, v7, vcc_lo
	s_wait_loadcnt_dscnt 0x0
	ds_store_2addr_b64 v158, v[2:3], v[4:5] offset1:1
	flat_load_b128 v[2:5], v[6:7]
	;; [unrolled: 6-line block ×3, first 2 shown]
	s_wait_loadcnt_dscnt 0x0
	ds_store_2addr_b64 v160, v[2:3], v[4:5] offset1:1
.LBB193_14:                             ;   in Loop: Header=BB193_4 Depth=1
	s_wait_alu 0xfffe
	s_and_not1_b32 vcc_lo, exec_lo, s19
	s_wait_alu 0xfffe
	s_cbranch_vccnz .LBB193_26
; %bb.15:                               ;   in Loop: Header=BB193_4 Depth=1
	s_and_saveexec_b32 s19, s3
	s_wait_alu 0xfffe
	s_xor_b32 s19, exec_lo, s19
; %bb.16:                               ;   in Loop: Header=BB193_4 Depth=1
	v_dual_mov_b32 v0, v1 :: v_dual_mov_b32 v3, v1
	v_mov_b32_e32 v2, v1
	ds_store_b128 v157, v[0:3]
; %bb.17:                               ;   in Loop: Header=BB193_4 Depth=1
	s_wait_alu 0xfffe
	s_or_saveexec_b32 s19, s19
	v_add_co_u32 v0, vcc_lo, v8, v144
	s_wait_alu 0xfffd
	v_add_co_ci_u32_e64 v2, null, v9, v145, vcc_lo
	s_lshl_b64 s[72:73], s[40:41], 4
	s_wait_alu 0xfffe
	v_add_co_u32 v0, vcc_lo, v0, s72
	s_wait_alu 0xfffd
	v_add_co_ci_u32_e64 v2, null, s73, v2, vcc_lo
	s_delay_alu instid0(VALU_DEP_2) | instskip(SKIP_1) | instid1(VALU_DEP_2)
	v_add_co_u32 v0, vcc_lo, v0, -16
	s_wait_alu 0xfffd
	v_add_co_ci_u32_e64 v2, null, -1, v2, vcc_lo
	s_delay_alu instid0(VALU_DEP_2) | instskip(NEXT) | instid1(VALU_DEP_2)
	v_cndmask_b32_e64 v4, v0, v8, s2
	v_cndmask_b32_e64 v5, v2, v9, s2
	s_xor_b32 exec_lo, exec_lo, s19
	s_cbranch_execnz .LBB193_87
; %bb.18:                               ;   in Loop: Header=BB193_4 Depth=1
	s_or_b32 exec_lo, exec_lo, s19
	s_and_saveexec_b32 s19, s4
	s_wait_alu 0xfffe
	s_xor_b32 s19, exec_lo, s19
	s_cbranch_execnz .LBB193_88
.LBB193_19:                             ;   in Loop: Header=BB193_4 Depth=1
	s_wait_alu 0xfffe
	s_and_not1_saveexec_b32 s19, s19
	s_cbranch_execnz .LBB193_89
.LBB193_20:                             ;   in Loop: Header=BB193_4 Depth=1
	s_wait_alu 0xfffe
	s_or_b32 exec_lo, exec_lo, s19
	s_and_saveexec_b32 s19, s5
	s_wait_alu 0xfffe
	s_xor_b32 s19, exec_lo, s19
	s_cbranch_execnz .LBB193_90
.LBB193_21:                             ;   in Loop: Header=BB193_4 Depth=1
	s_wait_alu 0xfffe
	s_and_not1_saveexec_b32 s19, s19
	s_cbranch_execnz .LBB193_91
.LBB193_22:                             ;   in Loop: Header=BB193_4 Depth=1
	s_wait_alu 0xfffe
	s_or_b32 exec_lo, exec_lo, s19
	s_and_saveexec_b32 s19, s6
	s_wait_alu 0xfffe
	s_xor_b32 s19, exec_lo, s19
	s_cbranch_execnz .LBB193_92
.LBB193_23:                             ;   in Loop: Header=BB193_4 Depth=1
	s_wait_alu 0xfffe
	s_and_not1_saveexec_b32 s19, s19
	s_cbranch_execz .LBB193_25
.LBB193_24:                             ;   in Loop: Header=BB193_4 Depth=1
	s_lshl_b64 s[72:73], s[50:51], 4
	s_wait_alu 0xfffe
	v_add_co_u32 v2, vcc_lo, v4, s72
	s_wait_alu 0xfffd
	v_add_co_ci_u32_e64 v3, null, s73, v5, vcc_lo
	flat_load_b128 v[10:13], v[2:3]
	s_wait_loadcnt_dscnt 0x0
	ds_store_2addr_b64 v160, v[10:11], v[12:13] offset1:1
.LBB193_25:                             ;   in Loop: Header=BB193_4 Depth=1
	s_wait_alu 0xfffe
	s_or_b32 exec_lo, exec_lo, s19
	v_add_co_u32 v0, vcc_lo, v4, v184
	s_wait_alu 0xfffd
	v_add_co_ci_u32_e64 v2, null, 0, v5, vcc_lo
	s_lshl_b64 s[72:73], s[54:55], 4
	s_wait_alu 0xfffe
	v_add_co_u32 v0, vcc_lo, v0, s72
	s_wait_alu 0xfffd
	v_add_co_ci_u32_e64 v2, null, s73, v2, vcc_lo
	s_delay_alu instid0(VALU_DEP_2) | instskip(SKIP_1) | instid1(VALU_DEP_2)
	v_add_co_u32 v0, vcc_lo, v0, 16
	s_wait_alu 0xfffd
	v_add_co_ci_u32_e64 v2, null, 0, v2, vcc_lo
	s_delay_alu instid0(VALU_DEP_2) | instskip(NEXT) | instid1(VALU_DEP_2)
	v_cndmask_b32_e64 v8, v0, v8, s2
	v_cndmask_b32_e64 v9, v2, v9, s2
.LBB193_26:                             ;   in Loop: Header=BB193_4 Depth=1
	s_wait_dscnt 0x0
	s_barrier_signal -1
	s_barrier_wait -1
	global_inv scope:SCOPE_SE
	s_and_saveexec_b32 s19, s7
	s_cbranch_execnz .LBB193_81
; %bb.27:                               ;   in Loop: Header=BB193_4 Depth=1
	s_wait_alu 0xfffe
	s_or_b32 exec_lo, exec_lo, s19
	s_and_saveexec_b32 s19, s8
	s_cbranch_execnz .LBB193_82
.LBB193_28:                             ;   in Loop: Header=BB193_4 Depth=1
	s_wait_alu 0xfffe
	s_or_b32 exec_lo, exec_lo, s19
	s_and_saveexec_b32 s19, s9
	s_cbranch_execnz .LBB193_83
.LBB193_29:                             ;   in Loop: Header=BB193_4 Depth=1
	s_wait_alu 0xfffe
	s_or_b32 exec_lo, exec_lo, s19
	s_and_saveexec_b32 s19, s10
	s_cbranch_execz .LBB193_31
.LBB193_30:                             ;   in Loop: Header=BB193_4 Depth=1
	ds_load_b128 v[2:5], v166
	v_add_nc_u32_e32 v0, 48, v161
	s_wait_dscnt 0x0
	ds_store_b128 v0, v[2:5]
.LBB193_31:                             ;   in Loop: Header=BB193_4 Depth=1
	s_wait_alu 0xfffe
	s_or_b32 exec_lo, exec_lo, s19
	s_wait_loadcnt_dscnt 0x0
	s_barrier_signal -1
	s_barrier_wait -1
	global_inv scope:SCOPE_SE
	ds_load_b128 v[2:5], v162
	ds_load_b128 v[10:13], v167
	ds_load_b128 v[14:17], v167 offset:16
	ds_load_b128 v[18:21], v163
	s_wait_dscnt 0x2
	v_mul_f64_e32 v[6:7], v[12:13], v[4:5]
	v_mul_f64_e32 v[4:5], v[10:11], v[4:5]
	s_wait_dscnt 0x0
	v_mul_f64_e32 v[28:29], v[16:17], v[20:21]
	v_mul_f64_e32 v[30:31], v[14:15], v[20:21]
	s_delay_alu instid0(VALU_DEP_4) | instskip(NEXT) | instid1(VALU_DEP_4)
	v_fma_f64 v[6:7], v[10:11], v[2:3], -v[6:7]
	v_fma_f64 v[32:33], v[12:13], v[2:3], v[4:5]
	ds_load_b128 v[2:5], v164
	ds_load_b128 v[10:13], v167 offset:32
	ds_load_b128 v[20:23], v167 offset:48
	ds_load_b128 v[24:27], v166
	v_fma_f64 v[14:15], v[14:15], v[18:19], -v[28:29]
	v_fma_f64 v[16:17], v[16:17], v[18:19], v[30:31]
	s_wait_loadcnt_dscnt 0x0
	s_barrier_signal -1
	s_barrier_wait -1
	global_inv scope:SCOPE_SE
	v_mul_f64_e32 v[34:35], v[12:13], v[4:5]
	v_mul_f64_e32 v[4:5], v[10:11], v[4:5]
	;; [unrolled: 1-line block ×4, first 2 shown]
	v_add_f64_e32 v[6:7], 0, v[6:7]
	v_add_f64_e32 v[18:19], 0, v[32:33]
	v_fma_f64 v[10:11], v[10:11], v[2:3], -v[34:35]
	v_fma_f64 v[2:3], v[12:13], v[2:3], v[4:5]
	v_fma_f64 v[12:13], v[20:21], v[24:25], -v[28:29]
	v_add_f64_e32 v[4:5], v[6:7], v[14:15]
	v_add_f64_e32 v[6:7], v[18:19], v[16:17]
	v_fma_f64 v[14:15], v[22:23], v[24:25], v[26:27]
	s_delay_alu instid0(VALU_DEP_3) | instskip(NEXT) | instid1(VALU_DEP_3)
	v_add_f64_e32 v[4:5], v[4:5], v[10:11]
	v_add_f64_e32 v[2:3], v[6:7], v[2:3]
	v_mov_b32_e32 v6, 0
	v_mov_b32_e32 v7, 0
	s_delay_alu instid0(VALU_DEP_4) | instskip(NEXT) | instid1(VALU_DEP_4)
	v_add_f64_e32 v[10:11], v[4:5], v[12:13]
	v_add_f64_e32 v[12:13], v[2:3], v[14:15]
	v_mov_b32_e32 v4, 0
	v_mov_b32_e32 v5, 0
	ds_store_b128 v168, v[10:13]
	s_wait_loadcnt_dscnt 0x0
	s_barrier_signal -1
	s_barrier_wait -1
	global_inv scope:SCOPE_SE
	s_and_saveexec_b32 s19, s11
	s_cbranch_execz .LBB193_33
; %bb.32:                               ;   in Loop: Header=BB193_4 Depth=1
	ds_load_b128 v[2:5], v165
	ds_load_b128 v[10:13], v165 offset:16
	s_wait_dscnt 0x0
	v_add_f64_e32 v[6:7], v[10:11], v[2:3]
	v_add_f64_e32 v[14:15], v[12:13], v[4:5]
	ds_load_b128 v[2:5], v165 offset:32
	ds_load_b128 v[10:13], v165 offset:48
	s_wait_dscnt 0x1
	v_add_f64_e32 v[2:3], v[6:7], v[2:3]
	v_add_f64_e32 v[4:5], v[14:15], v[4:5]
	s_wait_dscnt 0x0
	s_delay_alu instid0(VALU_DEP_2) | instskip(NEXT) | instid1(VALU_DEP_2)
	v_add_f64_e32 v[6:7], v[2:3], v[10:11]
	v_add_f64_e32 v[14:15], v[4:5], v[12:13]
	ds_load_b128 v[2:5], v165 offset:64
	ds_load_b128 v[10:13], v165 offset:80
	s_wait_dscnt 0x1
	v_add_f64_e32 v[2:3], v[6:7], v[2:3]
	v_add_f64_e32 v[4:5], v[14:15], v[4:5]
	s_wait_dscnt 0x0
	s_delay_alu instid0(VALU_DEP_2) | instskip(NEXT) | instid1(VALU_DEP_2)
	;; [unrolled: 9-line block ×3, first 2 shown]
	v_add_f64_e32 v[4:5], v[2:3], v[10:11]
	v_add_f64_e32 v[6:7], v[6:7], v[12:13]
.LBB193_33:                             ;   in Loop: Header=BB193_4 Depth=1
	s_wait_alu 0xfffe
	s_or_b32 exec_lo, exec_lo, s19
	v_add_co_u32 v10, vcc_lo, v8, s64
	s_wait_alu 0xfffd
	v_add_co_ci_u32_e64 v11, null, s65, v9, vcc_lo
	s_mov_b32 s19, -1
	v_add_co_u32 v8, vcc_lo, 0x200, v10
	s_wait_alu 0xfffd
	v_add_co_ci_u32_e64 v9, null, 0, v11, vcc_lo
	s_and_not1_b32 vcc_lo, exec_lo, s76
	s_wait_loadcnt 0x0
	s_barrier_signal -1
	s_barrier_wait -1
	global_inv scope:SCOPE_SE
	s_wait_alu 0xfffe
	s_cbranch_vccnz .LBB193_35
; %bb.34:                               ;   in Loop: Header=BB193_4 Depth=1
	flat_load_b128 v[12:15], v[8:9]
	s_lshl_b64 s[72:73], s[46:47], 4
	s_mov_b32 s19, 0
	s_wait_alu 0xfffe
	v_add_co_u32 v2, vcc_lo, v10, s72
	s_wait_alu 0xfffd
	v_add_co_ci_u32_e64 v3, null, s73, v11, vcc_lo
	s_wait_loadcnt_dscnt 0x0
	ds_store_2addr_b64 v157, v[12:13], v[14:15] offset1:1
	flat_load_b128 v[12:15], v[2:3] offset:512
	v_add_co_u32 v2, vcc_lo, v2, s52
	s_wait_alu 0xfffd
	v_add_co_ci_u32_e64 v3, null, s53, v3, vcc_lo
	s_wait_loadcnt_dscnt 0x0
	ds_store_2addr_b64 v158, v[12:13], v[14:15] offset1:1
	flat_load_b128 v[12:15], v[2:3] offset:512
	;; [unrolled: 6-line block ×3, first 2 shown]
	s_wait_loadcnt_dscnt 0x0
	ds_store_2addr_b64 v160, v[12:13], v[14:15] offset1:1
.LBB193_35:                             ;   in Loop: Header=BB193_4 Depth=1
	s_and_not1_b32 vcc_lo, exec_lo, s19
	s_wait_alu 0xfffe
	s_cbranch_vccnz .LBB193_47
; %bb.36:                               ;   in Loop: Header=BB193_4 Depth=1
	s_and_saveexec_b32 s19, s13
	s_wait_alu 0xfffe
	s_xor_b32 s19, exec_lo, s19
; %bb.37:                               ;   in Loop: Header=BB193_4 Depth=1
	v_dual_mov_b32 v0, v1 :: v_dual_mov_b32 v3, v1
	v_mov_b32_e32 v2, v1
	ds_store_b128 v157, v[0:3]
; %bb.38:                               ;   in Loop: Header=BB193_4 Depth=1
	s_wait_alu 0xfffe
	s_or_saveexec_b32 s19, s19
	v_add_co_u32 v0, vcc_lo, v10, v144
	s_wait_alu 0xfffd
	v_add_co_ci_u32_e64 v2, null, v11, v145, vcc_lo
	s_lshl_b64 s[72:73], s[40:41], 4
	s_wait_alu 0xfffe
	v_add_co_u32 v0, vcc_lo, v0, s72
	s_wait_alu 0xfffd
	v_add_co_ci_u32_e64 v2, null, s73, v2, vcc_lo
	s_delay_alu instid0(VALU_DEP_2) | instskip(SKIP_1) | instid1(VALU_DEP_2)
	v_add_co_u32 v0, vcc_lo, v0, -16
	s_wait_alu 0xfffd
	v_add_co_ci_u32_e64 v2, null, -1, v2, vcc_lo
	s_delay_alu instid0(VALU_DEP_2) | instskip(NEXT) | instid1(VALU_DEP_2)
	v_cndmask_b32_e64 v10, v0, v8, s12
	v_cndmask_b32_e64 v11, v2, v9, s12
	s_xor_b32 exec_lo, exec_lo, s19
	s_cbranch_execnz .LBB193_93
; %bb.39:                               ;   in Loop: Header=BB193_4 Depth=1
	s_or_b32 exec_lo, exec_lo, s19
	s_and_saveexec_b32 s19, s14
	s_wait_alu 0xfffe
	s_xor_b32 s19, exec_lo, s19
	s_cbranch_execnz .LBB193_94
.LBB193_40:                             ;   in Loop: Header=BB193_4 Depth=1
	s_wait_alu 0xfffe
	s_and_not1_saveexec_b32 s19, s19
	s_cbranch_execnz .LBB193_95
.LBB193_41:                             ;   in Loop: Header=BB193_4 Depth=1
	s_wait_alu 0xfffe
	s_or_b32 exec_lo, exec_lo, s19
	s_and_saveexec_b32 s19, s15
	s_wait_alu 0xfffe
	s_xor_b32 s19, exec_lo, s19
	s_cbranch_execnz .LBB193_96
.LBB193_42:                             ;   in Loop: Header=BB193_4 Depth=1
	s_wait_alu 0xfffe
	s_and_not1_saveexec_b32 s19, s19
	s_cbranch_execnz .LBB193_97
.LBB193_43:                             ;   in Loop: Header=BB193_4 Depth=1
	s_wait_alu 0xfffe
	s_or_b32 exec_lo, exec_lo, s19
	s_and_saveexec_b32 s19, s16
	s_wait_alu 0xfffe
	s_xor_b32 s19, exec_lo, s19
	s_cbranch_execnz .LBB193_98
.LBB193_44:                             ;   in Loop: Header=BB193_4 Depth=1
	s_wait_alu 0xfffe
	s_and_not1_saveexec_b32 s19, s19
	s_cbranch_execz .LBB193_46
.LBB193_45:                             ;   in Loop: Header=BB193_4 Depth=1
	s_lshl_b64 s[72:73], s[50:51], 4
	s_wait_alu 0xfffe
	v_add_co_u32 v2, vcc_lo, v10, s72
	s_wait_alu 0xfffd
	v_add_co_ci_u32_e64 v3, null, s73, v11, vcc_lo
	flat_load_b128 v[12:15], v[2:3]
	s_wait_loadcnt_dscnt 0x0
	ds_store_2addr_b64 v160, v[12:13], v[14:15] offset1:1
.LBB193_46:                             ;   in Loop: Header=BB193_4 Depth=1
	s_wait_alu 0xfffe
	s_or_b32 exec_lo, exec_lo, s19
	v_add_co_u32 v0, vcc_lo, v10, v184
	s_wait_alu 0xfffd
	v_add_co_ci_u32_e64 v2, null, 0, v11, vcc_lo
	s_lshl_b64 s[72:73], s[54:55], 4
	s_wait_alu 0xfffe
	v_add_co_u32 v0, vcc_lo, v0, s72
	s_wait_alu 0xfffd
	v_add_co_ci_u32_e64 v2, null, s73, v2, vcc_lo
	s_delay_alu instid0(VALU_DEP_2) | instskip(SKIP_1) | instid1(VALU_DEP_2)
	v_add_co_u32 v0, vcc_lo, 0x210, v0
	s_wait_alu 0xfffd
	v_add_co_ci_u32_e64 v2, null, 0, v2, vcc_lo
	s_delay_alu instid0(VALU_DEP_2) | instskip(NEXT) | instid1(VALU_DEP_2)
	v_cndmask_b32_e64 v8, v0, v8, s12
	v_cndmask_b32_e64 v9, v2, v9, s12
.LBB193_47:                             ;   in Loop: Header=BB193_4 Depth=1
	s_wait_loadcnt_dscnt 0x0
	s_barrier_signal -1
	s_barrier_wait -1
	global_inv scope:SCOPE_SE
	s_and_saveexec_b32 s19, s7
	s_cbranch_execnz .LBB193_84
; %bb.48:                               ;   in Loop: Header=BB193_4 Depth=1
	s_wait_alu 0xfffe
	s_or_b32 exec_lo, exec_lo, s19
	s_and_saveexec_b32 s19, s8
	s_cbranch_execnz .LBB193_85
.LBB193_49:                             ;   in Loop: Header=BB193_4 Depth=1
	s_wait_alu 0xfffe
	s_or_b32 exec_lo, exec_lo, s19
	s_and_saveexec_b32 s19, s9
	s_cbranch_execnz .LBB193_86
.LBB193_50:                             ;   in Loop: Header=BB193_4 Depth=1
	s_wait_alu 0xfffe
	s_or_b32 exec_lo, exec_lo, s19
	s_and_saveexec_b32 s19, s10
	s_cbranch_execz .LBB193_52
.LBB193_51:                             ;   in Loop: Header=BB193_4 Depth=1
	ds_load_b128 v[10:13], v166
	s_wait_dscnt 0x0
	ds_store_b128 v172, v[10:13]
.LBB193_52:                             ;   in Loop: Header=BB193_4 Depth=1
	s_wait_alu 0xfffe
	s_or_b32 exec_lo, exec_lo, s19
	s_wait_loadcnt_dscnt 0x0
	s_barrier_signal -1
	s_barrier_wait -1
	global_inv scope:SCOPE_SE
	ds_load_b128 v[10:13], v162
	ds_load_b128 v[14:17], v167 offset:512
	ds_load_b128 v[18:21], v167 offset:528
	ds_load_b128 v[22:25], v163
	s_wait_dscnt 0x2
	v_mul_f64_e32 v[2:3], v[16:17], v[12:13]
	v_mul_f64_e32 v[12:13], v[14:15], v[12:13]
	s_wait_dscnt 0x0
	v_mul_f64_e32 v[32:33], v[20:21], v[24:25]
	v_mul_f64_e32 v[34:35], v[18:19], v[24:25]
	s_delay_alu instid0(VALU_DEP_4) | instskip(NEXT) | instid1(VALU_DEP_4)
	v_fma_f64 v[2:3], v[14:15], v[10:11], -v[2:3]
	v_fma_f64 v[36:37], v[16:17], v[10:11], v[12:13]
	ds_load_b128 v[10:13], v164
	ds_load_b128 v[14:17], v167 offset:544
	ds_load_b128 v[24:27], v167 offset:560
	ds_load_b128 v[28:31], v166
	v_fma_f64 v[18:19], v[18:19], v[22:23], -v[32:33]
	v_fma_f64 v[20:21], v[20:21], v[22:23], v[34:35]
	s_wait_loadcnt_dscnt 0x0
	s_barrier_signal -1
	s_barrier_wait -1
	global_inv scope:SCOPE_SE
	v_mul_f64_e32 v[38:39], v[16:17], v[12:13]
	v_mul_f64_e32 v[12:13], v[14:15], v[12:13]
	;; [unrolled: 1-line block ×4, first 2 shown]
	v_add_f64_e32 v[2:3], 0, v[2:3]
	v_add_f64_e32 v[22:23], 0, v[36:37]
	v_fma_f64 v[14:15], v[14:15], v[10:11], -v[38:39]
	v_fma_f64 v[10:11], v[16:17], v[10:11], v[12:13]
	v_fma_f64 v[16:17], v[24:25], v[28:29], -v[32:33]
	v_add_f64_e32 v[2:3], v[2:3], v[18:19]
	v_add_f64_e32 v[12:13], v[22:23], v[20:21]
	v_fma_f64 v[18:19], v[26:27], v[28:29], v[30:31]
	s_delay_alu instid0(VALU_DEP_3) | instskip(NEXT) | instid1(VALU_DEP_3)
	v_add_f64_e32 v[2:3], v[2:3], v[14:15]
	v_add_f64_e32 v[12:13], v[12:13], v[10:11]
	s_delay_alu instid0(VALU_DEP_2) | instskip(NEXT) | instid1(VALU_DEP_2)
	v_add_f64_e32 v[10:11], v[2:3], v[16:17]
	v_add_f64_e32 v[12:13], v[12:13], v[18:19]
	ds_store_b128 v168, v[10:13]
	s_wait_loadcnt_dscnt 0x0
	s_barrier_signal -1
	s_barrier_wait -1
	global_inv scope:SCOPE_SE
	s_and_saveexec_b32 s19, s17
	s_cbranch_execz .LBB193_54
; %bb.53:                               ;   in Loop: Header=BB193_4 Depth=1
	ds_load_b128 v[2:5], v165
	ds_load_b128 v[10:13], v165 offset:16
	s_wait_dscnt 0x0
	v_add_f64_e32 v[6:7], v[10:11], v[2:3]
	v_add_f64_e32 v[14:15], v[12:13], v[4:5]
	ds_load_b128 v[2:5], v165 offset:32
	ds_load_b128 v[10:13], v165 offset:48
	s_wait_dscnt 0x1
	v_add_f64_e32 v[2:3], v[6:7], v[2:3]
	v_add_f64_e32 v[4:5], v[14:15], v[4:5]
	s_wait_dscnt 0x0
	s_delay_alu instid0(VALU_DEP_2) | instskip(NEXT) | instid1(VALU_DEP_2)
	v_add_f64_e32 v[6:7], v[2:3], v[10:11]
	v_add_f64_e32 v[14:15], v[4:5], v[12:13]
	ds_load_b128 v[2:5], v165 offset:64
	ds_load_b128 v[10:13], v165 offset:80
	s_wait_dscnt 0x1
	v_add_f64_e32 v[2:3], v[6:7], v[2:3]
	v_add_f64_e32 v[4:5], v[14:15], v[4:5]
	s_wait_dscnt 0x0
	s_delay_alu instid0(VALU_DEP_2) | instskip(NEXT) | instid1(VALU_DEP_2)
	;; [unrolled: 9-line block ×3, first 2 shown]
	v_add_f64_e32 v[4:5], v[2:3], v[10:11]
	v_add_f64_e32 v[6:7], v[6:7], v[12:13]
.LBB193_54:                             ;   in Loop: Header=BB193_4 Depth=1
	s_wait_alu 0xfffe
	s_or_b32 exec_lo, exec_lo, s19
	v_add_co_u32 v42, vcc_lo, v8, s66
	s_wait_alu 0xfffd
	v_add_co_ci_u32_e64 v43, null, s67, v9, vcc_lo
	s_and_not1_b32 vcc_lo, exec_lo, s76
	s_mov_b32 s19, -1
	s_wait_loadcnt 0x0
	s_barrier_signal -1
	s_barrier_wait -1
	global_inv scope:SCOPE_SE
	s_wait_alu 0xfffe
	s_cbranch_vccnz .LBB193_56
; %bb.55:                               ;   in Loop: Header=BB193_4 Depth=1
	flat_load_b128 v[8:11], v[42:43]
	s_lshl_b64 s[72:73], s[46:47], 4
	s_mov_b32 s19, 0
	s_wait_alu 0xfffe
	v_add_co_u32 v2, vcc_lo, v42, s72
	s_wait_alu 0xfffd
	v_add_co_ci_u32_e64 v3, null, s73, v43, vcc_lo
	s_wait_loadcnt_dscnt 0x0
	ds_store_2addr_b64 v157, v[8:9], v[10:11] offset1:1
	flat_load_b128 v[8:11], v[2:3]
	v_add_co_u32 v2, vcc_lo, v2, s52
	s_wait_alu 0xfffd
	v_add_co_ci_u32_e64 v3, null, s53, v3, vcc_lo
	s_wait_loadcnt_dscnt 0x0
	ds_store_2addr_b64 v158, v[8:9], v[10:11] offset1:1
	flat_load_b128 v[8:11], v[2:3]
	;; [unrolled: 6-line block ×3, first 2 shown]
	s_wait_loadcnt_dscnt 0x0
	ds_store_2addr_b64 v160, v[8:9], v[10:11] offset1:1
.LBB193_56:                             ;   in Loop: Header=BB193_4 Depth=1
	s_and_not1_b32 vcc_lo, exec_lo, s19
	s_wait_alu 0xfffe
	s_cbranch_vccnz .LBB193_68
; %bb.57:                               ;   in Loop: Header=BB193_4 Depth=1
	s_and_saveexec_b32 s19, s3
	s_wait_alu 0xfffe
	s_xor_b32 s19, exec_lo, s19
; %bb.58:                               ;   in Loop: Header=BB193_4 Depth=1
	v_dual_mov_b32 v0, v1 :: v_dual_mov_b32 v3, v1
	v_mov_b32_e32 v2, v1
	ds_store_b128 v157, v[0:3]
; %bb.59:                               ;   in Loop: Header=BB193_4 Depth=1
	s_wait_alu 0xfffe
	s_or_saveexec_b32 s19, s19
	v_add_co_u32 v0, vcc_lo, v42, v144
	s_wait_alu 0xfffd
	v_add_co_ci_u32_e64 v2, null, v43, v145, vcc_lo
	s_lshl_b64 s[72:73], s[40:41], 4
	s_wait_alu 0xfffe
	v_add_co_u32 v0, vcc_lo, v0, s72
	s_wait_alu 0xfffd
	v_add_co_ci_u32_e64 v2, null, s73, v2, vcc_lo
	s_delay_alu instid0(VALU_DEP_2) | instskip(SKIP_1) | instid1(VALU_DEP_2)
	v_add_co_u32 v0, vcc_lo, 0xfffffdf0, v0
	s_wait_alu 0xfffd
	v_add_co_ci_u32_e64 v2, null, -1, v2, vcc_lo
	s_delay_alu instid0(VALU_DEP_2) | instskip(NEXT) | instid1(VALU_DEP_2)
	v_cndmask_b32_e64 v8, v0, v42, s12
	v_cndmask_b32_e64 v9, v2, v43, s12
	s_xor_b32 exec_lo, exec_lo, s19
	s_cbranch_execnz .LBB193_99
; %bb.60:                               ;   in Loop: Header=BB193_4 Depth=1
	s_or_b32 exec_lo, exec_lo, s19
	s_and_saveexec_b32 s19, s4
	s_wait_alu 0xfffe
	s_xor_b32 s19, exec_lo, s19
	s_cbranch_execnz .LBB193_100
.LBB193_61:                             ;   in Loop: Header=BB193_4 Depth=1
	s_wait_alu 0xfffe
	s_and_not1_saveexec_b32 s19, s19
	s_cbranch_execnz .LBB193_101
.LBB193_62:                             ;   in Loop: Header=BB193_4 Depth=1
	s_wait_alu 0xfffe
	s_or_b32 exec_lo, exec_lo, s19
	s_and_saveexec_b32 s19, s5
	s_wait_alu 0xfffe
	s_xor_b32 s19, exec_lo, s19
	s_cbranch_execnz .LBB193_102
.LBB193_63:                             ;   in Loop: Header=BB193_4 Depth=1
	s_wait_alu 0xfffe
	s_and_not1_saveexec_b32 s19, s19
	s_cbranch_execnz .LBB193_103
.LBB193_64:                             ;   in Loop: Header=BB193_4 Depth=1
	s_wait_alu 0xfffe
	s_or_b32 exec_lo, exec_lo, s19
	s_and_saveexec_b32 s19, s6
	s_wait_alu 0xfffe
	s_xor_b32 s19, exec_lo, s19
	s_cbranch_execnz .LBB193_104
.LBB193_65:                             ;   in Loop: Header=BB193_4 Depth=1
	s_wait_alu 0xfffe
	s_and_not1_saveexec_b32 s19, s19
	s_cbranch_execz .LBB193_67
.LBB193_66:                             ;   in Loop: Header=BB193_4 Depth=1
	s_lshl_b64 s[72:73], s[50:51], 4
	s_wait_alu 0xfffe
	v_add_co_u32 v2, vcc_lo, v8, s72
	s_wait_alu 0xfffd
	v_add_co_ci_u32_e64 v3, null, s73, v9, vcc_lo
	flat_load_b128 v[10:13], v[2:3]
	s_wait_loadcnt_dscnt 0x0
	ds_store_2addr_b64 v160, v[10:11], v[12:13] offset1:1
.LBB193_67:                             ;   in Loop: Header=BB193_4 Depth=1
	s_wait_alu 0xfffe
	s_or_b32 exec_lo, exec_lo, s19
	v_add_co_u32 v0, vcc_lo, v8, v184
	s_wait_alu 0xfffd
	v_add_co_ci_u32_e64 v2, null, 0, v9, vcc_lo
	s_lshl_b64 s[72:73], s[54:55], 4
	s_wait_alu 0xfffe
	v_add_co_u32 v0, vcc_lo, v0, s72
	s_wait_alu 0xfffd
	v_add_co_ci_u32_e64 v2, null, s73, v2, vcc_lo
	s_delay_alu instid0(VALU_DEP_2) | instskip(SKIP_1) | instid1(VALU_DEP_2)
	v_add_co_u32 v0, vcc_lo, 0x210, v0
	s_wait_alu 0xfffd
	v_add_co_ci_u32_e64 v2, null, 0, v2, vcc_lo
	s_delay_alu instid0(VALU_DEP_2) | instskip(NEXT) | instid1(VALU_DEP_2)
	v_cndmask_b32_e64 v42, v0, v42, s12
	v_cndmask_b32_e64 v43, v2, v43, s12
.LBB193_68:                             ;   in Loop: Header=BB193_4 Depth=1
	s_wait_loadcnt_dscnt 0x0
	s_barrier_signal -1
	s_barrier_wait -1
	global_inv scope:SCOPE_SE
	ds_load_b128 v[8:11], v182
	ds_load_b128 v[12:15], v157
	;; [unrolled: 1-line block ×3, first 2 shown]
	ds_load_b128 v[20:23], v181 offset:384
	ds_load_b128 v[24:27], v181 offset:128
	;; [unrolled: 1-line block ×3, first 2 shown]
	s_wait_dscnt 0x4
	v_mul_f64_e32 v[2:3], v[10:11], v[14:15]
	v_mul_f64_e32 v[14:15], v[8:9], v[14:15]
	s_wait_dscnt 0x1
	v_mul_f64_e32 v[32:33], v[26:27], v[18:19]
	v_mul_f64_e32 v[18:19], v[24:25], v[18:19]
	s_delay_alu instid0(VALU_DEP_4) | instskip(NEXT) | instid1(VALU_DEP_4)
	v_fma_f64 v[2:3], v[8:9], v[12:13], -v[2:3]
	v_fma_f64 v[34:35], v[10:11], v[12:13], v[14:15]
	ds_load_b128 v[8:11], v159
	ds_load_b128 v[12:15], v160
	v_fma_f64 v[24:25], v[24:25], v[16:17], -v[32:33]
	v_fma_f64 v[16:17], v[26:27], v[16:17], v[18:19]
	s_wait_dscnt 0x1
	v_mul_f64_e32 v[36:37], v[30:31], v[10:11]
	v_mul_f64_e32 v[10:11], v[28:29], v[10:11]
	s_wait_dscnt 0x0
	v_mul_f64_e32 v[26:27], v[22:23], v[14:15]
	v_mul_f64_e32 v[14:15], v[20:21], v[14:15]
	v_add_f64_e32 v[2:3], 0, v[2:3]
	v_add_f64_e32 v[18:19], 0, v[34:35]
	v_fma_f64 v[28:29], v[28:29], v[8:9], -v[36:37]
	v_fma_f64 v[8:9], v[30:31], v[8:9], v[10:11]
	s_delay_alu instid0(VALU_DEP_4) | instskip(NEXT) | instid1(VALU_DEP_4)
	v_add_f64_e32 v[2:3], v[2:3], v[24:25]
	v_add_f64_e32 v[10:11], v[18:19], v[16:17]
	v_fma_f64 v[16:17], v[20:21], v[12:13], -v[26:27]
	v_fma_f64 v[12:13], v[22:23], v[12:13], v[14:15]
	s_delay_alu instid0(VALU_DEP_4) | instskip(NEXT) | instid1(VALU_DEP_4)
	v_add_f64_e32 v[2:3], v[2:3], v[28:29]
	v_add_f64_e32 v[8:9], v[10:11], v[8:9]
	s_delay_alu instid0(VALU_DEP_2) | instskip(NEXT) | instid1(VALU_DEP_2)
	v_add_f64_e32 v[44:45], v[2:3], v[16:17]
	v_add_f64_e32 v[46:47], v[8:9], v[12:13]
	ds_load_b128 v[32:35], v173
	ds_load_b128 v[24:27], v173 offset:16
	ds_load_b128 v[12:15], v173 offset:32
	;; [unrolled: 1-line block ×7, first 2 shown]
	s_wait_loadcnt_dscnt 0x0
	s_barrier_signal -1
	s_barrier_wait -1
	global_inv scope:SCOPE_SE
	ds_store_b128 v168, v[44:47]
	s_wait_loadcnt_dscnt 0x0
	s_barrier_signal -1
	s_barrier_wait -1
	global_inv scope:SCOPE_SE
	s_and_saveexec_b32 s19, s17
	s_cbranch_execz .LBB193_70
; %bb.69:                               ;   in Loop: Header=BB193_4 Depth=1
	ds_load_b128 v[44:47], v165
	ds_load_b128 v[48:51], v165 offset:16
	s_wait_dscnt 0x1
	v_add_f64_e32 v[2:3], v[4:5], v[44:45]
	v_add_f64_e32 v[4:5], v[6:7], v[46:47]
	s_wait_dscnt 0x0
	s_delay_alu instid0(VALU_DEP_2) | instskip(NEXT) | instid1(VALU_DEP_2)
	v_add_f64_e32 v[6:7], v[2:3], v[48:49]
	v_add_f64_e32 v[48:49], v[4:5], v[50:51]
	ds_load_b128 v[2:5], v165 offset:32
	ds_load_b128 v[44:47], v165 offset:48
	s_wait_dscnt 0x1
	v_add_f64_e32 v[2:3], v[6:7], v[2:3]
	v_add_f64_e32 v[4:5], v[48:49], v[4:5]
	s_wait_dscnt 0x0
	s_delay_alu instid0(VALU_DEP_2) | instskip(NEXT) | instid1(VALU_DEP_2)
	v_add_f64_e32 v[6:7], v[2:3], v[44:45]
	v_add_f64_e32 v[48:49], v[4:5], v[46:47]
	ds_load_b128 v[2:5], v165 offset:64
	;; [unrolled: 9-line block ×3, first 2 shown]
	ds_load_b128 v[44:47], v165 offset:112
	s_wait_dscnt 0x1
	v_add_f64_e32 v[2:3], v[6:7], v[2:3]
	v_add_f64_e32 v[6:7], v[48:49], v[4:5]
	s_wait_dscnt 0x0
	s_delay_alu instid0(VALU_DEP_2) | instskip(NEXT) | instid1(VALU_DEP_2)
	v_add_f64_e32 v[4:5], v[2:3], v[44:45]
	v_add_f64_e32 v[6:7], v[6:7], v[46:47]
.LBB193_70:                             ;   in Loop: Header=BB193_4 Depth=1
	s_wait_alu 0xfffe
	s_or_b32 exec_lo, exec_lo, s19
	v_mul_f64_e32 v[2:3], v[34:35], v[38:39]
	v_mul_f64_e32 v[38:39], v[32:33], v[38:39]
	;; [unrolled: 1-line block ×4, first 2 shown]
	s_wait_loadcnt 0x0
	s_barrier_signal -1
	s_barrier_wait -1
	global_inv scope:SCOPE_SE
	v_fma_f64 v[2:3], v[32:33], v[36:37], -v[2:3]
	v_fma_f64 v[32:33], v[34:35], v[36:37], v[38:39]
	v_mul_f64_e32 v[34:35], v[14:15], v[22:23]
	v_mul_f64_e32 v[22:23], v[12:13], v[22:23]
	v_fma_f64 v[24:25], v[24:25], v[28:29], -v[44:45]
	v_fma_f64 v[26:27], v[26:27], v[28:29], v[30:31]
	v_mul_f64_e32 v[30:31], v[10:11], v[18:19]
	v_mul_f64_e32 v[18:19], v[8:9], v[18:19]
	v_add_f64_e32 v[2:3], 0, v[2:3]
	v_add_f64_e32 v[28:29], 0, v[32:33]
	v_fma_f64 v[12:13], v[12:13], v[20:21], -v[34:35]
	v_fma_f64 v[14:15], v[14:15], v[20:21], v[22:23]
	v_fma_f64 v[8:9], v[8:9], v[16:17], -v[30:31]
	v_fma_f64 v[10:11], v[10:11], v[16:17], v[18:19]
	v_add_f64_e32 v[2:3], v[2:3], v[24:25]
	v_add_f64_e32 v[20:21], v[28:29], v[26:27]
	s_delay_alu instid0(VALU_DEP_2) | instskip(NEXT) | instid1(VALU_DEP_2)
	v_add_f64_e32 v[2:3], v[2:3], v[12:13]
	v_add_f64_e32 v[12:13], v[20:21], v[14:15]
	s_delay_alu instid0(VALU_DEP_2) | instskip(NEXT) | instid1(VALU_DEP_2)
	v_add_f64_e32 v[8:9], v[2:3], v[8:9]
	v_add_f64_e32 v[10:11], v[12:13], v[10:11]
	ds_store_b128 v168, v[8:11]
	s_wait_loadcnt_dscnt 0x0
	s_barrier_signal -1
	s_barrier_wait -1
	global_inv scope:SCOPE_SE
	s_and_saveexec_b32 s19, s11
	s_cbranch_execz .LBB193_72
; %bb.71:                               ;   in Loop: Header=BB193_4 Depth=1
	ds_load_b128 v[8:11], v165
	ds_load_b128 v[12:15], v165 offset:16
	s_wait_dscnt 0x1
	v_add_f64_e32 v[2:3], v[4:5], v[8:9]
	v_add_f64_e32 v[4:5], v[6:7], v[10:11]
	s_wait_dscnt 0x0
	s_delay_alu instid0(VALU_DEP_2) | instskip(NEXT) | instid1(VALU_DEP_2)
	v_add_f64_e32 v[10:11], v[2:3], v[12:13]
	v_add_f64_e32 v[12:13], v[4:5], v[14:15]
	ds_load_b128 v[2:5], v165 offset:32
	ds_load_b128 v[6:9], v165 offset:48
	s_wait_dscnt 0x1
	v_add_f64_e32 v[2:3], v[10:11], v[2:3]
	v_add_f64_e32 v[4:5], v[12:13], v[4:5]
	s_wait_dscnt 0x0
	s_delay_alu instid0(VALU_DEP_2) | instskip(NEXT) | instid1(VALU_DEP_2)
	v_add_f64_e32 v[10:11], v[2:3], v[6:7]
	v_add_f64_e32 v[12:13], v[4:5], v[8:9]
	ds_load_b128 v[2:5], v165 offset:64
	;; [unrolled: 9-line block ×3, first 2 shown]
	ds_load_b128 v[6:9], v165 offset:112
	s_wait_dscnt 0x1
	v_add_f64_e32 v[2:3], v[10:11], v[2:3]
	v_add_f64_e32 v[10:11], v[12:13], v[4:5]
	s_wait_dscnt 0x0
	s_delay_alu instid0(VALU_DEP_2) | instskip(NEXT) | instid1(VALU_DEP_2)
	v_add_f64_e32 v[4:5], v[2:3], v[6:7]
	v_add_f64_e32 v[6:7], v[10:11], v[8:9]
.LBB193_72:                             ;   in Loop: Header=BB193_4 Depth=1
	s_wait_alu 0xfffe
	s_or_b32 exec_lo, exec_lo, s19
	s_mul_u64 s[72:73], s[42:43], s[34:35]
	s_and_not1_b32 vcc_lo, exec_lo, s77
	s_wait_alu 0xfffe
	s_lshl_b64 s[72:73], s[72:73], 4
	s_wait_loadcnt 0x0
	s_wait_alu 0xfffe
	s_add_nc_u64 s[72:73], s[44:45], s[72:73]
	s_barrier_signal -1
	s_barrier_wait -1
	global_inv scope:SCOPE_SE
	s_cbranch_vccnz .LBB193_79
; %bb.73:                               ;   in Loop: Header=BB193_4 Depth=1
	v_add_co_u32 v0, vcc_lo, v42, s70
	s_wait_alu 0xfffd
	v_add_co_ci_u32_e64 v2, null, s71, v43, vcc_lo
	s_lshl_b64 s[74:75], s[40:41], 4
	v_add_co_u32 v0, vcc_lo, v0, v146
	s_wait_alu 0xfffd
	v_add_co_ci_u32_e64 v2, null, v2, v147, vcc_lo
	s_mov_b32 s19, ttmp9
	v_add_co_u32 v0, vcc_lo, v0, v148
	s_wait_alu 0xfffd
	v_add_co_ci_u32_e64 v2, null, v2, v149, vcc_lo
	s_delay_alu instid0(VALU_DEP_2) | instskip(SKIP_1) | instid1(VALU_DEP_2)
	v_add_co_u32 v3, vcc_lo, v0, v150
	s_wait_alu 0xfffd
	v_add_co_ci_u32_e64 v8, null, v2, v151, vcc_lo
	s_wait_alu 0xfffe
	s_delay_alu instid0(VALU_DEP_2) | instskip(SKIP_1) | instid1(VALU_DEP_2)
	v_add_co_u32 v3, vcc_lo, v3, s74
	s_wait_alu 0xfffd
	v_add_co_ci_u32_e64 v8, null, s75, v8, vcc_lo
	v_add_co_u32 v0, vcc_lo, 0xfffffe00, v0
	s_wait_alu 0xfffd
	v_add_co_ci_u32_e64 v2, null, -1, v2, vcc_lo
	v_add_co_u32 v9, vcc_lo, 0xfffffdf0, v3
	s_wait_alu 0xfffd
	v_add_co_ci_u32_e64 v3, null, -1, v8, vcc_lo
	v_add_co_u32 v185, vcc_lo, v40, s68
	s_wait_alu 0xfffd
	v_add_co_ci_u32_e64 v186, null, s69, v41, vcc_lo
	s_delay_alu instid0(VALU_DEP_3)
	v_cndmask_b32_e64 v3, v2, v3, s1
	v_cndmask_b32_e64 v2, v0, v9, s1
	v_mov_b32_e32 v0, v154
	s_mov_b32 s74, 0
	s_branch .LBB193_75
.LBB193_74:                             ;   in Loop: Header=BB193_75 Depth=2
	s_wait_alu 0xfffe
	s_or_b32 exec_lo, exec_lo, s75
	v_mul_f64_e32 v[112:113], v[18:19], v[26:27]
	v_mul_f64_e32 v[26:27], v[16:17], v[26:27]
	;; [unrolled: 1-line block ×4, first 2 shown]
	v_add_co_u32 v2, vcc_lo, v2, s58
	v_add_nc_u32_e32 v0, 64, v0
	s_wait_alu 0xfffd
	v_add_co_ci_u32_e64 v3, null, s59, v3, vcc_lo
	s_add_co_i32 s19, s19, -1
	s_add_co_i32 s74, s74, s78
	s_wait_alu 0xfffe
	s_cmp_eq_u32 s19, 0
	s_wait_loadcnt 0x0
	s_wait_storecnt 0x0
	s_barrier_signal -1
	s_barrier_wait -1
	global_inv scope:SCOPE_SE
	v_fma_f64 v[16:17], v[16:17], v[24:25], -v[112:113]
	v_fma_f64 v[18:19], v[18:19], v[24:25], v[26:27]
	v_mul_f64_e32 v[24:25], v[14:15], v[38:39]
	v_mul_f64_e32 v[26:27], v[12:13], v[38:39]
	v_fma_f64 v[20:21], v[20:21], v[40:41], -v[114:115]
	v_fma_f64 v[22:23], v[22:23], v[40:41], v[42:43]
	v_add_f64_e32 v[4:5], v[4:5], v[16:17]
	v_add_f64_e32 v[6:7], v[6:7], v[18:19]
	v_mul_f64_e32 v[16:17], v[10:11], v[34:35]
	v_mul_f64_e32 v[18:19], v[8:9], v[34:35]
	v_fma_f64 v[12:13], v[12:13], v[36:37], -v[24:25]
	v_fma_f64 v[14:15], v[14:15], v[36:37], v[26:27]
	v_add_f64_e32 v[4:5], v[4:5], v[20:21]
	v_add_f64_e32 v[6:7], v[6:7], v[22:23]
	;; [unrolled: 6-line block ×14, first 2 shown]
	v_fma_f64 v[8:9], v[124:125], v[128:129], -v[8:9]
	v_fma_f64 v[10:11], v[126:127], v[128:129], v[10:11]
	s_delay_alu instid0(VALU_DEP_4) | instskip(NEXT) | instid1(VALU_DEP_4)
	v_add_f64_e32 v[4:5], v[4:5], v[12:13]
	v_add_f64_e32 v[6:7], v[6:7], v[14:15]
	s_delay_alu instid0(VALU_DEP_2) | instskip(NEXT) | instid1(VALU_DEP_2)
	v_add_f64_e32 v[4:5], v[4:5], v[8:9]
	v_add_f64_e32 v[6:7], v[6:7], v[10:11]
	s_cbranch_scc1 .LBB193_79
.LBB193_75:                             ;   Parent Loop BB193_4 Depth=1
                                        ; =>  This Inner Loop Header: Depth=2
	s_and_saveexec_b32 s80, s0
	s_cbranch_execz .LBB193_77
; %bb.76:                               ;   in Loop: Header=BB193_75 Depth=2
	s_wait_alu 0xfffe
	s_ashr_i32 s75, s74, 31
	s_wait_alu 0xfffe
	s_lshl_b64 s[82:83], s[74:75], 4
	s_wait_alu 0xfffe
	v_add_co_u32 v8, vcc_lo, v185, s82
	s_wait_alu 0xfffd
	v_add_co_ci_u32_e64 v9, null, s83, v186, vcc_lo
	flat_load_b128 v[8:11], v[8:9]
	s_wait_loadcnt_dscnt 0x0
	ds_store_2addr_b64 v174, v[8:9], v[10:11] offset1:1
.LBB193_77:                             ;   in Loop: Header=BB193_75 Depth=2
	s_or_b32 exec_lo, exec_lo, s80
	v_add_co_u32 v8, vcc_lo, v2, s56
	s_wait_alu 0xfffd
	v_add_co_ci_u32_e64 v9, null, s57, v3, vcc_lo
	s_wait_loadcnt_dscnt 0x0
	s_delay_alu instid0(VALU_DEP_2) | instskip(SKIP_1) | instid1(VALU_DEP_2)
	v_add_co_u32 v10, vcc_lo, v8, s56
	s_wait_alu 0xfffd
	v_add_co_ci_u32_e64 v11, null, s57, v9, vcc_lo
	s_barrier_signal -1
	s_barrier_wait -1
	global_inv scope:SCOPE_SE
	flat_load_b128 v[16:19], v[2:3]
	v_add_co_u32 v2, vcc_lo, v10, s56
	s_wait_alu 0xfffd
	v_add_co_ci_u32_e64 v3, null, s57, v11, vcc_lo
	s_clause 0x2
	flat_load_b128 v[20:23], v[8:9]
	flat_load_b128 v[12:15], v[10:11]
	;; [unrolled: 1-line block ×3, first 2 shown]
	ds_load_b128 v[28:31], v156
	ds_load_b128 v[24:27], v175
	v_add_co_u32 v2, vcc_lo, v2, s58
	s_wait_alu 0xfffd
	v_add_co_ci_u32_e64 v3, null, s59, v3, vcc_lo
	s_delay_alu instid0(VALU_DEP_2) | instskip(SKIP_1) | instid1(VALU_DEP_2)
	v_add_co_u32 v60, vcc_lo, v2, s56
	s_wait_alu 0xfffd
	v_add_co_ci_u32_e64 v61, null, s57, v3, vcc_lo
	s_delay_alu instid0(VALU_DEP_2) | instskip(SKIP_1) | instid1(VALU_DEP_2)
	v_add_co_u32 v62, vcc_lo, v60, s56
	s_wait_alu 0xfffd
	v_add_co_ci_u32_e64 v63, null, s57, v61, vcc_lo
	s_wait_loadcnt_dscnt 0x301
	v_mul_f64_e32 v[32:33], v[18:19], v[30:31]
	v_mul_f64_e32 v[34:35], v[16:17], v[30:31]
	s_wait_loadcnt 0x2
	v_mul_f64_e32 v[36:37], v[22:23], v[30:31]
	v_mul_f64_e32 v[38:39], v[20:21], v[30:31]
	s_wait_loadcnt 0x1
	;; [unrolled: 3-line block ×3, first 2 shown]
	v_mul_f64_e32 v[56:57], v[10:11], v[30:31]
	v_mul_f64_e32 v[30:31], v[8:9], v[30:31]
	v_fma_f64 v[44:45], v[16:17], v[28:29], -v[32:33]
	v_fma_f64 v[46:47], v[18:19], v[28:29], v[34:35]
	v_fma_f64 v[48:49], v[20:21], v[28:29], -v[36:37]
	v_fma_f64 v[50:51], v[22:23], v[28:29], v[38:39]
	;; [unrolled: 2-line block ×4, first 2 shown]
	ds_load_b128 v[40:43], v175 offset:16
	ds_load_b128 v[36:39], v175 offset:32
	;; [unrolled: 1-line block ×3, first 2 shown]
	ds_store_b128 v176, v[44:47]
	ds_store_b128 v176, v[48:51] offset:1072
	ds_store_b128 v176, v[52:55] offset:2144
	;; [unrolled: 1-line block ×3, first 2 shown]
	s_wait_dscnt 0x0
	s_barrier_signal -1
	s_barrier_wait -1
	global_inv scope:SCOPE_SE
	ds_load_b128 v[80:83], v177
	ds_load_b128 v[84:87], v177 offset:16
	ds_load_b128 v[88:91], v177 offset:32
	;; [unrolled: 1-line block ×3, first 2 shown]
	s_wait_loadcnt_dscnt 0x0
	s_barrier_signal -1
	s_barrier_wait -1
	global_inv scope:SCOPE_SE
	flat_load_b128 v[28:31], v[2:3]
	v_add_co_u32 v2, vcc_lo, v62, s56
	s_wait_alu 0xfffd
	v_add_co_ci_u32_e64 v3, null, s57, v63, vcc_lo
	s_clause 0x2
	flat_load_b128 v[52:55], v[60:61]
	flat_load_b128 v[48:51], v[62:63]
	;; [unrolled: 1-line block ×3, first 2 shown]
	ds_load_b128 v[60:63], v156
	ds_load_b128 v[56:59], v175 offset:256
	v_add_co_u32 v2, vcc_lo, v2, s58
	s_wait_alu 0xfffd
	v_add_co_ci_u32_e64 v3, null, s59, v3, vcc_lo
	v_add_f64_e32 v[80:81], 0, v[80:81]
	v_add_f64_e32 v[82:83], 0, v[82:83]
	s_delay_alu instid0(VALU_DEP_2) | instskip(NEXT) | instid1(VALU_DEP_2)
	v_add_f64_e32 v[80:81], v[80:81], v[84:85]
	v_add_f64_e32 v[82:83], v[82:83], v[86:87]
	s_delay_alu instid0(VALU_DEP_2) | instskip(NEXT) | instid1(VALU_DEP_2)
	;; [unrolled: 3-line block ×3, first 2 shown]
	v_add_f64_e32 v[112:113], v[80:81], v[92:93]
	v_add_f64_e32 v[114:115], v[82:83], v[94:95]
	s_wait_loadcnt_dscnt 0x301
	v_mul_f64_e32 v[64:65], v[30:31], v[62:63]
	v_mul_f64_e32 v[66:67], v[28:29], v[62:63]
	s_wait_loadcnt 0x2
	v_mul_f64_e32 v[68:69], v[54:55], v[62:63]
	v_mul_f64_e32 v[70:71], v[52:53], v[62:63]
	s_wait_loadcnt 0x1
	v_mul_f64_e32 v[72:73], v[50:51], v[62:63]
	v_mul_f64_e32 v[74:75], v[48:49], v[62:63]
	s_wait_loadcnt 0x0
	v_mul_f64_e32 v[104:105], v[46:47], v[62:63]
	v_mul_f64_e32 v[62:63], v[44:45], v[62:63]
	v_fma_f64 v[76:77], v[28:29], v[60:61], -v[64:65]
	v_fma_f64 v[78:79], v[30:31], v[60:61], v[66:67]
	v_fma_f64 v[96:97], v[52:53], v[60:61], -v[68:69]
	v_fma_f64 v[98:99], v[54:55], v[60:61], v[70:71]
	;; [unrolled: 2-line block ×4, first 2 shown]
	ds_load_b128 v[72:75], v175 offset:272
	ds_load_b128 v[68:71], v175 offset:288
	;; [unrolled: 1-line block ×3, first 2 shown]
	ds_store_b128 v176, v[76:79]
	ds_store_b128 v176, v[96:99] offset:1072
	ds_store_b128 v176, v[100:103] offset:2144
	;; [unrolled: 1-line block ×3, first 2 shown]
	s_wait_dscnt 0x0
	s_barrier_signal -1
	s_barrier_wait -1
	global_inv scope:SCOPE_SE
	ds_load_b128 v[96:99], v177
	ds_load_b128 v[100:103], v177 offset:16
	ds_load_b128 v[104:107], v177 offset:32
	;; [unrolled: 1-line block ×3, first 2 shown]
	s_wait_loadcnt_dscnt 0x0
	s_barrier_signal -1
	s_barrier_wait -1
	global_inv scope:SCOPE_SE
	flat_load_b128 v[60:63], v[2:3]
	v_add_co_u32 v2, vcc_lo, v2, s56
	s_wait_alu 0xfffd
	v_add_co_ci_u32_e64 v3, null, s57, v3, vcc_lo
	ds_load_b128 v[116:119], v156
	ds_load_b128 v[80:83], v175 offset:512
	flat_load_b128 v[76:79], v[2:3]
	v_add_co_u32 v2, vcc_lo, v2, s56
	s_wait_alu 0xfffd
	v_add_co_ci_u32_e64 v3, null, s57, v3, vcc_lo
	s_delay_alu instid0(VALU_DEP_2) | instskip(SKIP_1) | instid1(VALU_DEP_2)
	v_add_co_u32 v132, vcc_lo, v2, s56
	s_wait_alu 0xfffd
	v_add_co_ci_u32_e64 v133, null, s57, v3, vcc_lo
	s_wait_loadcnt_dscnt 0x102
	v_mul_f64_e32 v[84:85], v[62:63], v[118:119]
	v_mul_f64_e32 v[86:87], v[60:61], v[118:119]
	s_wait_loadcnt_dscnt 0x0
	v_mul_f64_e32 v[88:89], v[78:79], v[118:119]
	s_delay_alu instid0(VALU_DEP_3) | instskip(SKIP_1) | instid1(VALU_DEP_4)
	v_fma_f64 v[92:93], v[60:61], v[116:117], -v[84:85]
	v_mul_f64_e32 v[84:85], v[76:77], v[118:119]
	v_fma_f64 v[94:95], v[62:63], v[116:117], v[86:87]
	s_delay_alu instid0(VALU_DEP_4) | instskip(NEXT) | instid1(VALU_DEP_3)
	v_fma_f64 v[120:121], v[76:77], v[116:117], -v[88:89]
	v_fma_f64 v[122:123], v[78:79], v[116:117], v[84:85]
	flat_load_b128 v[84:87], v[2:3]
	ds_store_b128 v176, v[92:95]
	s_wait_loadcnt_dscnt 0x1
	v_mul_f64_e32 v[88:89], v[84:85], v[118:119]
	v_mul_f64_e32 v[2:3], v[86:87], v[118:119]
	s_delay_alu instid0(VALU_DEP_2)
	v_fma_f64 v[126:127], v[86:87], v[116:117], v[88:89]
	flat_load_b128 v[88:91], v[132:133]
	v_fma_f64 v[124:125], v[84:85], v[116:117], -v[2:3]
	ds_store_b128 v176, v[120:123] offset:1072
	ds_store_b128 v176, v[124:127] offset:2144
	s_wait_loadcnt_dscnt 0x2
	v_mul_f64_e32 v[2:3], v[90:91], v[118:119]
	v_mul_f64_e32 v[118:119], v[88:89], v[118:119]
	s_delay_alu instid0(VALU_DEP_2) | instskip(SKIP_2) | instid1(VALU_DEP_4)
	v_fma_f64 v[128:129], v[88:89], v[116:117], -v[2:3]
	v_add_f64_e32 v[2:3], 0, v[96:97]
	v_add_f64_e32 v[96:97], 0, v[98:99]
	v_fma_f64 v[130:131], v[90:91], v[116:117], v[118:119]
	s_delay_alu instid0(VALU_DEP_3) | instskip(NEXT) | instid1(VALU_DEP_3)
	v_add_f64_e32 v[2:3], v[2:3], v[100:101]
	v_add_f64_e32 v[96:97], v[96:97], v[102:103]
	s_delay_alu instid0(VALU_DEP_2) | instskip(NEXT) | instid1(VALU_DEP_2)
	v_add_f64_e32 v[2:3], v[2:3], v[104:105]
	v_add_f64_e32 v[96:97], v[96:97], v[106:107]
	s_delay_alu instid0(VALU_DEP_2) | instskip(SKIP_3) | instid1(VALU_DEP_4)
	v_add_f64_e32 v[187:188], v[2:3], v[108:109]
	v_add_co_u32 v2, vcc_lo, v132, s58
	s_wait_alu 0xfffd
	v_add_co_ci_u32_e64 v3, null, s59, v133, vcc_lo
	v_add_f64_e32 v[189:190], v[96:97], v[110:111]
	ds_load_b128 v[108:111], v175 offset:528
	ds_load_b128 v[104:107], v175 offset:544
	ds_store_b128 v176, v[128:131] offset:3216
	ds_load_b128 v[100:103], v175 offset:560
	s_wait_dscnt 0x0
	s_barrier_signal -1
	s_barrier_wait -1
	global_inv scope:SCOPE_SE
	ds_load_b128 v[128:131], v177
	ds_load_b128 v[132:135], v177 offset:16
	ds_load_b128 v[136:139], v177 offset:32
	;; [unrolled: 1-line block ×3, first 2 shown]
	s_wait_loadcnt_dscnt 0x0
	s_barrier_signal -1
	s_barrier_wait -1
	global_inv scope:SCOPE_SE
	flat_load_b128 v[92:95], v[2:3]
	ds_load_b128 v[195:198], v156
	ds_load_b128 v[96:99], v175 offset:768
	v_add_co_u32 v116, vcc_lo, v2, s56
	s_wait_alu 0xfffd
	v_add_co_ci_u32_e64 v117, null, s57, v3, vcc_lo
	s_delay_alu instid0(VALU_DEP_2) | instskip(SKIP_1) | instid1(VALU_DEP_2)
	v_add_co_u32 v120, vcc_lo, v116, s56
	s_wait_alu 0xfffd
	v_add_co_ci_u32_e64 v121, null, s57, v117, vcc_lo
	v_add_f64_e32 v[128:129], 0, v[128:129]
	v_add_f64_e32 v[130:131], 0, v[130:131]
	s_delay_alu instid0(VALU_DEP_2) | instskip(NEXT) | instid1(VALU_DEP_2)
	v_add_f64_e32 v[128:129], v[128:129], v[132:133]
	v_add_f64_e32 v[130:131], v[130:131], v[134:135]
	s_delay_alu instid0(VALU_DEP_2) | instskip(NEXT) | instid1(VALU_DEP_2)
	;; [unrolled: 3-line block ×3, first 2 shown]
	v_add_f64_e32 v[191:192], v[128:129], v[191:192]
	v_add_f64_e32 v[193:194], v[130:131], v[193:194]
	s_wait_loadcnt_dscnt 0x1
	v_mul_f64_e32 v[118:119], v[92:93], v[197:198]
	v_mul_f64_e32 v[2:3], v[94:95], v[197:198]
	s_delay_alu instid0(VALU_DEP_2)
	v_fma_f64 v[201:202], v[94:95], v[195:196], v[118:119]
	flat_load_b128 v[116:119], v[116:117]
	v_fma_f64 v[199:200], v[92:93], v[195:196], -v[2:3]
	s_wait_loadcnt_dscnt 0x0
	v_mul_f64_e32 v[2:3], v[118:119], v[197:198]
	v_mul_f64_e32 v[122:123], v[116:117], v[197:198]
	s_delay_alu instid0(VALU_DEP_2) | instskip(SKIP_1) | instid1(VALU_DEP_3)
	v_fma_f64 v[203:204], v[116:117], v[195:196], -v[2:3]
	v_add_co_u32 v2, vcc_lo, v120, s56
	v_fma_f64 v[205:206], v[118:119], v[195:196], v[122:123]
	s_wait_alu 0xfffd
	v_add_co_ci_u32_e64 v3, null, s57, v121, vcc_lo
	flat_load_b128 v[120:123], v[120:121]
	s_wait_loadcnt_dscnt 0x0
	v_mul_f64_e32 v[124:125], v[122:123], v[197:198]
	v_mul_f64_e32 v[126:127], v[120:121], v[197:198]
	s_delay_alu instid0(VALU_DEP_2) | instskip(NEXT) | instid1(VALU_DEP_2)
	v_fma_f64 v[207:208], v[120:121], v[195:196], -v[124:125]
	v_fma_f64 v[209:210], v[122:123], v[195:196], v[126:127]
	flat_load_b128 v[124:127], v[2:3]
	s_wait_loadcnt_dscnt 0x0
	v_mul_f64_e32 v[211:212], v[126:127], v[197:198]
	v_mul_f64_e32 v[197:198], v[124:125], v[197:198]
	s_delay_alu instid0(VALU_DEP_2) | instskip(NEXT) | instid1(VALU_DEP_2)
	v_fma_f64 v[211:212], v[124:125], v[195:196], -v[211:212]
	v_fma_f64 v[213:214], v[126:127], v[195:196], v[197:198]
	ds_store_b128 v176, v[199:202]
	ds_store_b128 v176, v[203:206] offset:1072
	ds_store_b128 v176, v[207:210] offset:2144
	;; [unrolled: 1-line block ×3, first 2 shown]
	ds_load_b128 v[136:139], v175 offset:784
	ds_load_b128 v[132:135], v175 offset:800
	;; [unrolled: 1-line block ×3, first 2 shown]
	s_wait_dscnt 0x0
	s_barrier_signal -1
	s_barrier_wait -1
	global_inv scope:SCOPE_SE
	ds_load_b128 v[195:198], v177
	ds_load_b128 v[199:202], v177 offset:16
	s_wait_dscnt 0x1
	v_add_f64_e32 v[195:196], 0, v[195:196]
	v_add_f64_e32 v[197:198], 0, v[197:198]
	s_wait_dscnt 0x0
	s_delay_alu instid0(VALU_DEP_2) | instskip(NEXT) | instid1(VALU_DEP_2)
	v_add_f64_e32 v[203:204], v[195:196], v[199:200]
	v_add_f64_e32 v[205:206], v[197:198], v[201:202]
	ds_load_b128 v[195:198], v177 offset:32
	ds_load_b128 v[199:202], v177 offset:48
	s_wait_loadcnt_dscnt 0x0
	s_barrier_signal -1
	s_barrier_wait -1
	global_inv scope:SCOPE_SE
	v_add_f64_e32 v[195:196], v[203:204], v[195:196]
	v_add_f64_e32 v[197:198], v[205:206], v[197:198]
	s_delay_alu instid0(VALU_DEP_2) | instskip(NEXT) | instid1(VALU_DEP_2)
	v_add_f64_e32 v[195:196], v[195:196], v[199:200]
	v_add_f64_e32 v[197:198], v[197:198], v[201:202]
	ds_store_b128 v183, v[112:115]
	ds_store_b128 v183, v[187:190] offset:256
	ds_store_b128 v183, v[191:194] offset:512
	;; [unrolled: 1-line block ×3, first 2 shown]
	s_wait_loadcnt_dscnt 0x0
	s_barrier_signal -1
	s_barrier_wait -1
	global_inv scope:SCOPE_SE
	s_and_saveexec_b32 s75, s18
	s_cbranch_execz .LBB193_74
; %bb.78:                               ;   in Loop: Header=BB193_75 Depth=2
	ds_load_b128 v[112:115], v178
	ds_load_b128 v[187:190], v178 offset:16
	s_wait_dscnt 0x0
	v_add_f64_e32 v[191:192], v[187:188], v[112:113]
	v_add_f64_e32 v[193:194], v[189:190], v[114:115]
	ds_load_b128 v[112:115], v178 offset:32
	ds_load_b128 v[187:190], v178 offset:48
	s_wait_dscnt 0x1
	v_add_f64_e32 v[112:113], v[191:192], v[112:113]
	v_add_f64_e32 v[114:115], v[193:194], v[114:115]
	s_wait_dscnt 0x0
	s_delay_alu instid0(VALU_DEP_2) | instskip(NEXT) | instid1(VALU_DEP_2)
	v_add_f64_e32 v[191:192], v[112:113], v[187:188]
	v_add_f64_e32 v[193:194], v[114:115], v[189:190]
	ds_load_b128 v[112:115], v178 offset:64
	ds_load_b128 v[187:190], v178 offset:80
	s_wait_dscnt 0x1
	v_add_f64_e32 v[112:113], v[191:192], v[112:113]
	v_add_f64_e32 v[114:115], v[193:194], v[114:115]
	s_wait_dscnt 0x0
	s_delay_alu instid0(VALU_DEP_2) | instskip(NEXT) | instid1(VALU_DEP_2)
	;; [unrolled: 9-line block ×6, first 2 shown]
	v_add_f64_e32 v[191:192], v[112:113], v[187:188]
	v_add_f64_e32 v[193:194], v[114:115], v[189:190]
	ds_load_b128 v[112:115], v178 offset:224
	ds_load_b128 v[187:190], v179
	s_wait_dscnt 0x1
	v_add_f64_e32 v[112:113], v[191:192], v[112:113]
	v_add_f64_e32 v[114:115], v[193:194], v[114:115]
	s_wait_dscnt 0x0
	s_delay_alu instid0(VALU_DEP_2) | instskip(NEXT) | instid1(VALU_DEP_2)
	v_add_f64_e32 v[112:113], v[112:113], v[187:188]
	v_add_f64_e32 v[114:115], v[114:115], v[189:190]
	v_lshlrev_b64_e32 v[187:188], 4, v[0:1]
	s_wait_alu 0xfffe
	s_delay_alu instid0(VALU_DEP_1) | instskip(SKIP_1) | instid1(VALU_DEP_2)
	v_add_co_u32 v187, vcc_lo, s72, v187
	s_wait_alu 0xfffd
	v_add_co_ci_u32_e64 v188, null, s73, v188, vcc_lo
	global_store_b128 v[187:188], v[112:115], off
	s_branch .LBB193_74
.LBB193_79:                             ;   in Loop: Header=BB193_4 Depth=1
	ds_store_b128 v180, v[4:7]
	s_wait_loadcnt_dscnt 0x0
	s_barrier_signal -1
	s_barrier_wait -1
	global_inv scope:SCOPE_SE
	s_and_saveexec_b32 s19, s79
	s_cbranch_execz .LBB193_2
; %bb.80:                               ;   in Loop: Header=BB193_4 Depth=1
	ds_load_b128 v[2:5], v155 offset:1072
	ds_load_b128 v[6:9], v155
	s_wait_dscnt 0x0
	v_add_f64_e32 v[10:11], v[2:3], v[6:7]
	v_add_f64_e32 v[12:13], v[4:5], v[8:9]
	ds_load_b128 v[2:5], v155 offset:2144
	ds_load_b128 v[6:9], v155 offset:3216
	s_wait_dscnt 0x1
	v_add_f64_e32 v[2:3], v[10:11], v[2:3]
	v_add_f64_e32 v[4:5], v[12:13], v[4:5]
	s_wait_dscnt 0x0
	s_delay_alu instid0(VALU_DEP_2) | instskip(NEXT) | instid1(VALU_DEP_2)
	v_add_f64_e32 v[2:3], v[2:3], v[6:7]
	v_add_f64_e32 v[4:5], v[4:5], v[8:9]
	s_wait_alu 0xfffe
	v_add_co_u32 v6, vcc_lo, s72, v152
	s_wait_alu 0xfffd
	v_add_co_ci_u32_e64 v7, null, s73, v153, vcc_lo
	global_store_b128 v[6:7], v[2:5], off
	s_branch .LBB193_2
.LBB193_81:                             ;   in Loop: Header=BB193_4 Depth=1
	ds_load_b128 v[2:5], v162
	s_wait_dscnt 0x0
	ds_store_b128 v161, v[2:5]
	s_wait_alu 0xfffe
	s_or_b32 exec_lo, exec_lo, s19
	s_and_saveexec_b32 s19, s8
	s_cbranch_execz .LBB193_28
.LBB193_82:                             ;   in Loop: Header=BB193_4 Depth=1
	ds_load_b128 v[2:5], v163
	v_add_nc_u32_e32 v0, 16, v161
	s_wait_dscnt 0x0
	ds_store_b128 v0, v[2:5]
	s_wait_alu 0xfffe
	s_or_b32 exec_lo, exec_lo, s19
	s_and_saveexec_b32 s19, s9
	s_cbranch_execz .LBB193_29
.LBB193_83:                             ;   in Loop: Header=BB193_4 Depth=1
	ds_load_b128 v[2:5], v164
	v_add_nc_u32_e32 v0, 32, v161
	s_wait_dscnt 0x0
	ds_store_b128 v0, v[2:5]
	s_wait_alu 0xfffe
	s_or_b32 exec_lo, exec_lo, s19
	s_and_saveexec_b32 s19, s10
	s_cbranch_execnz .LBB193_30
	s_branch .LBB193_31
.LBB193_84:                             ;   in Loop: Header=BB193_4 Depth=1
	ds_load_b128 v[10:13], v162
	s_wait_dscnt 0x0
	ds_store_b128 v169, v[10:13]
	s_wait_alu 0xfffe
	s_or_b32 exec_lo, exec_lo, s19
	s_and_saveexec_b32 s19, s8
	s_cbranch_execz .LBB193_49
.LBB193_85:                             ;   in Loop: Header=BB193_4 Depth=1
	ds_load_b128 v[10:13], v163
	s_wait_dscnt 0x0
	ds_store_b128 v170, v[10:13]
	s_wait_alu 0xfffe
	s_or_b32 exec_lo, exec_lo, s19
	s_and_saveexec_b32 s19, s9
	s_cbranch_execz .LBB193_50
.LBB193_86:                             ;   in Loop: Header=BB193_4 Depth=1
	ds_load_b128 v[10:13], v164
	s_wait_dscnt 0x0
	ds_store_b128 v171, v[10:13]
	s_wait_alu 0xfffe
	s_or_b32 exec_lo, exec_lo, s19
	s_and_saveexec_b32 s19, s10
	s_cbranch_execnz .LBB193_51
	s_branch .LBB193_52
.LBB193_87:                             ;   in Loop: Header=BB193_4 Depth=1
	flat_load_b128 v[10:13], v[4:5]
	s_wait_loadcnt_dscnt 0x0
	ds_store_2addr_b64 v157, v[10:11], v[12:13] offset1:1
	s_or_b32 exec_lo, exec_lo, s19
	s_and_saveexec_b32 s19, s4
	s_wait_alu 0xfffe
	s_xor_b32 s19, exec_lo, s19
	s_cbranch_execz .LBB193_19
.LBB193_88:                             ;   in Loop: Header=BB193_4 Depth=1
	v_dual_mov_b32 v0, v1 :: v_dual_mov_b32 v3, v1
	v_mov_b32_e32 v2, v1
	ds_store_b128 v158, v[0:3]
	s_wait_alu 0xfffe
	s_and_not1_saveexec_b32 s19, s19
	s_cbranch_execz .LBB193_20
.LBB193_89:                             ;   in Loop: Header=BB193_4 Depth=1
	s_lshl_b64 s[72:73], s[46:47], 4
	s_wait_alu 0xfffe
	v_add_co_u32 v2, vcc_lo, v4, s72
	s_wait_alu 0xfffd
	v_add_co_ci_u32_e64 v3, null, s73, v5, vcc_lo
	flat_load_b128 v[10:13], v[2:3]
	s_wait_loadcnt_dscnt 0x0
	ds_store_2addr_b64 v158, v[10:11], v[12:13] offset1:1
	s_or_b32 exec_lo, exec_lo, s19
	s_and_saveexec_b32 s19, s5
	s_wait_alu 0xfffe
	s_xor_b32 s19, exec_lo, s19
	s_cbranch_execz .LBB193_21
.LBB193_90:                             ;   in Loop: Header=BB193_4 Depth=1
	v_dual_mov_b32 v0, v1 :: v_dual_mov_b32 v3, v1
	v_mov_b32_e32 v2, v1
	ds_store_b128 v159, v[0:3]
	s_wait_alu 0xfffe
	s_and_not1_saveexec_b32 s19, s19
	s_cbranch_execz .LBB193_22
.LBB193_91:                             ;   in Loop: Header=BB193_4 Depth=1
	s_lshl_b64 s[72:73], s[48:49], 4
	s_wait_alu 0xfffe
	v_add_co_u32 v2, vcc_lo, v4, s72
	s_wait_alu 0xfffd
	v_add_co_ci_u32_e64 v3, null, s73, v5, vcc_lo
	flat_load_b128 v[10:13], v[2:3]
	s_wait_loadcnt_dscnt 0x0
	ds_store_2addr_b64 v159, v[10:11], v[12:13] offset1:1
	s_or_b32 exec_lo, exec_lo, s19
	s_and_saveexec_b32 s19, s6
	s_wait_alu 0xfffe
	s_xor_b32 s19, exec_lo, s19
	s_cbranch_execz .LBB193_23
.LBB193_92:                             ;   in Loop: Header=BB193_4 Depth=1
	v_dual_mov_b32 v0, v1 :: v_dual_mov_b32 v3, v1
	v_mov_b32_e32 v2, v1
	ds_store_b128 v160, v[0:3]
	s_wait_alu 0xfffe
	s_and_not1_saveexec_b32 s19, s19
	s_cbranch_execnz .LBB193_24
	s_branch .LBB193_25
.LBB193_93:                             ;   in Loop: Header=BB193_4 Depth=1
	flat_load_b128 v[12:15], v[10:11]
	s_wait_loadcnt_dscnt 0x0
	ds_store_2addr_b64 v157, v[12:13], v[14:15] offset1:1
	s_or_b32 exec_lo, exec_lo, s19
	s_and_saveexec_b32 s19, s14
	s_wait_alu 0xfffe
	s_xor_b32 s19, exec_lo, s19
	s_cbranch_execz .LBB193_40
.LBB193_94:                             ;   in Loop: Header=BB193_4 Depth=1
	v_dual_mov_b32 v0, v1 :: v_dual_mov_b32 v3, v1
	v_mov_b32_e32 v2, v1
	ds_store_b128 v158, v[0:3]
	s_wait_alu 0xfffe
	s_and_not1_saveexec_b32 s19, s19
	s_cbranch_execz .LBB193_41
.LBB193_95:                             ;   in Loop: Header=BB193_4 Depth=1
	s_lshl_b64 s[72:73], s[46:47], 4
	s_wait_alu 0xfffe
	v_add_co_u32 v2, vcc_lo, v10, s72
	s_wait_alu 0xfffd
	v_add_co_ci_u32_e64 v3, null, s73, v11, vcc_lo
	flat_load_b128 v[12:15], v[2:3]
	s_wait_loadcnt_dscnt 0x0
	ds_store_2addr_b64 v158, v[12:13], v[14:15] offset1:1
	s_or_b32 exec_lo, exec_lo, s19
	s_and_saveexec_b32 s19, s15
	s_wait_alu 0xfffe
	s_xor_b32 s19, exec_lo, s19
	s_cbranch_execz .LBB193_42
.LBB193_96:                             ;   in Loop: Header=BB193_4 Depth=1
	v_dual_mov_b32 v0, v1 :: v_dual_mov_b32 v3, v1
	v_mov_b32_e32 v2, v1
	ds_store_b128 v159, v[0:3]
	s_wait_alu 0xfffe
	s_and_not1_saveexec_b32 s19, s19
	s_cbranch_execz .LBB193_43
.LBB193_97:                             ;   in Loop: Header=BB193_4 Depth=1
	s_lshl_b64 s[72:73], s[48:49], 4
	s_wait_alu 0xfffe
	v_add_co_u32 v2, vcc_lo, v10, s72
	s_wait_alu 0xfffd
	v_add_co_ci_u32_e64 v3, null, s73, v11, vcc_lo
	flat_load_b128 v[12:15], v[2:3]
	s_wait_loadcnt_dscnt 0x0
	ds_store_2addr_b64 v159, v[12:13], v[14:15] offset1:1
	s_or_b32 exec_lo, exec_lo, s19
	s_and_saveexec_b32 s19, s16
	s_wait_alu 0xfffe
	s_xor_b32 s19, exec_lo, s19
	s_cbranch_execz .LBB193_44
.LBB193_98:                             ;   in Loop: Header=BB193_4 Depth=1
	v_dual_mov_b32 v0, v1 :: v_dual_mov_b32 v3, v1
	v_mov_b32_e32 v2, v1
	ds_store_b128 v160, v[0:3]
	s_wait_alu 0xfffe
	s_and_not1_saveexec_b32 s19, s19
	s_cbranch_execnz .LBB193_45
	s_branch .LBB193_46
.LBB193_99:                             ;   in Loop: Header=BB193_4 Depth=1
	flat_load_b128 v[10:13], v[8:9]
	s_wait_loadcnt_dscnt 0x0
	ds_store_2addr_b64 v157, v[10:11], v[12:13] offset1:1
	s_or_b32 exec_lo, exec_lo, s19
	s_and_saveexec_b32 s19, s4
	s_wait_alu 0xfffe
	s_xor_b32 s19, exec_lo, s19
	s_cbranch_execz .LBB193_61
.LBB193_100:                            ;   in Loop: Header=BB193_4 Depth=1
	v_dual_mov_b32 v0, v1 :: v_dual_mov_b32 v3, v1
	v_mov_b32_e32 v2, v1
	ds_store_b128 v158, v[0:3]
	s_wait_alu 0xfffe
	s_and_not1_saveexec_b32 s19, s19
	s_cbranch_execz .LBB193_62
.LBB193_101:                            ;   in Loop: Header=BB193_4 Depth=1
	s_lshl_b64 s[72:73], s[46:47], 4
	s_wait_alu 0xfffe
	v_add_co_u32 v2, vcc_lo, v8, s72
	s_wait_alu 0xfffd
	v_add_co_ci_u32_e64 v3, null, s73, v9, vcc_lo
	flat_load_b128 v[10:13], v[2:3]
	s_wait_loadcnt_dscnt 0x0
	ds_store_2addr_b64 v158, v[10:11], v[12:13] offset1:1
	s_or_b32 exec_lo, exec_lo, s19
	s_and_saveexec_b32 s19, s5
	s_wait_alu 0xfffe
	s_xor_b32 s19, exec_lo, s19
	s_cbranch_execz .LBB193_63
.LBB193_102:                            ;   in Loop: Header=BB193_4 Depth=1
	v_dual_mov_b32 v0, v1 :: v_dual_mov_b32 v3, v1
	v_mov_b32_e32 v2, v1
	ds_store_b128 v159, v[0:3]
	s_wait_alu 0xfffe
	s_and_not1_saveexec_b32 s19, s19
	s_cbranch_execz .LBB193_64
.LBB193_103:                            ;   in Loop: Header=BB193_4 Depth=1
	s_lshl_b64 s[72:73], s[48:49], 4
	s_wait_alu 0xfffe
	v_add_co_u32 v2, vcc_lo, v8, s72
	s_wait_alu 0xfffd
	v_add_co_ci_u32_e64 v3, null, s73, v9, vcc_lo
	flat_load_b128 v[10:13], v[2:3]
	s_wait_loadcnt_dscnt 0x0
	ds_store_2addr_b64 v159, v[10:11], v[12:13] offset1:1
	s_or_b32 exec_lo, exec_lo, s19
	s_and_saveexec_b32 s19, s6
	s_wait_alu 0xfffe
	s_xor_b32 s19, exec_lo, s19
	s_cbranch_execz .LBB193_65
.LBB193_104:                            ;   in Loop: Header=BB193_4 Depth=1
	v_dual_mov_b32 v0, v1 :: v_dual_mov_b32 v3, v1
	v_mov_b32_e32 v2, v1
	ds_store_b128 v160, v[0:3]
	s_wait_alu 0xfffe
	s_and_not1_saveexec_b32 s19, s19
	s_cbranch_execnz .LBB193_66
	s_branch .LBB193_67
.LBB193_105:
	s_nop 0
	s_sendmsg sendmsg(MSG_DEALLOC_VGPRS)
	s_endpgm
	.section	.rodata,"a",@progbits
	.p2align	6, 0x0
	.amdhsa_kernel _ZL26rocblas_hemvn_kernel_lowerILb0ELi64ELi4ELi33ELi32ELi16EiPK19rocblas_complex_numIdEPKS3_PS1_EviT6_lT7_lT5_lS8_lS9_lS7_lT8_i
		.amdhsa_group_segment_fixed_size 19200
		.amdhsa_private_segment_fixed_size 0
		.amdhsa_kernarg_size 376
		.amdhsa_user_sgpr_count 2
		.amdhsa_user_sgpr_dispatch_ptr 0
		.amdhsa_user_sgpr_queue_ptr 0
		.amdhsa_user_sgpr_kernarg_segment_ptr 1
		.amdhsa_user_sgpr_dispatch_id 0
		.amdhsa_user_sgpr_private_segment_size 0
		.amdhsa_wavefront_size32 1
		.amdhsa_uses_dynamic_stack 0
		.amdhsa_enable_private_segment 0
		.amdhsa_system_sgpr_workgroup_id_x 1
		.amdhsa_system_sgpr_workgroup_id_y 0
		.amdhsa_system_sgpr_workgroup_id_z 1
		.amdhsa_system_sgpr_workgroup_info 0
		.amdhsa_system_vgpr_workitem_id 1
		.amdhsa_next_free_vgpr 215
		.amdhsa_next_free_sgpr 84
		.amdhsa_reserve_vcc 1
		.amdhsa_float_round_mode_32 0
		.amdhsa_float_round_mode_16_64 0
		.amdhsa_float_denorm_mode_32 3
		.amdhsa_float_denorm_mode_16_64 3
		.amdhsa_fp16_overflow 0
		.amdhsa_workgroup_processor_mode 1
		.amdhsa_memory_ordered 1
		.amdhsa_forward_progress 1
		.amdhsa_inst_pref_size 79
		.amdhsa_round_robin_scheduling 0
		.amdhsa_exception_fp_ieee_invalid_op 0
		.amdhsa_exception_fp_denorm_src 0
		.amdhsa_exception_fp_ieee_div_zero 0
		.amdhsa_exception_fp_ieee_overflow 0
		.amdhsa_exception_fp_ieee_underflow 0
		.amdhsa_exception_fp_ieee_inexact 0
		.amdhsa_exception_int_div_zero 0
	.end_amdhsa_kernel
	.section	.text._ZL26rocblas_hemvn_kernel_lowerILb0ELi64ELi4ELi33ELi32ELi16EiPK19rocblas_complex_numIdEPKS3_PS1_EviT6_lT7_lT5_lS8_lS9_lS7_lT8_i,"axG",@progbits,_ZL26rocblas_hemvn_kernel_lowerILb0ELi64ELi4ELi33ELi32ELi16EiPK19rocblas_complex_numIdEPKS3_PS1_EviT6_lT7_lT5_lS8_lS9_lS7_lT8_i,comdat
.Lfunc_end193:
	.size	_ZL26rocblas_hemvn_kernel_lowerILb0ELi64ELi4ELi33ELi32ELi16EiPK19rocblas_complex_numIdEPKS3_PS1_EviT6_lT7_lT5_lS8_lS9_lS7_lT8_i, .Lfunc_end193-_ZL26rocblas_hemvn_kernel_lowerILb0ELi64ELi4ELi33ELi32ELi16EiPK19rocblas_complex_numIdEPKS3_PS1_EviT6_lT7_lT5_lS8_lS9_lS7_lT8_i
                                        ; -- End function
	.set _ZL26rocblas_hemvn_kernel_lowerILb0ELi64ELi4ELi33ELi32ELi16EiPK19rocblas_complex_numIdEPKS3_PS1_EviT6_lT7_lT5_lS8_lS9_lS7_lT8_i.num_vgpr, 215
	.set _ZL26rocblas_hemvn_kernel_lowerILb0ELi64ELi4ELi33ELi32ELi16EiPK19rocblas_complex_numIdEPKS3_PS1_EviT6_lT7_lT5_lS8_lS9_lS7_lT8_i.num_agpr, 0
	.set _ZL26rocblas_hemvn_kernel_lowerILb0ELi64ELi4ELi33ELi32ELi16EiPK19rocblas_complex_numIdEPKS3_PS1_EviT6_lT7_lT5_lS8_lS9_lS7_lT8_i.numbered_sgpr, 84
	.set _ZL26rocblas_hemvn_kernel_lowerILb0ELi64ELi4ELi33ELi32ELi16EiPK19rocblas_complex_numIdEPKS3_PS1_EviT6_lT7_lT5_lS8_lS9_lS7_lT8_i.num_named_barrier, 0
	.set _ZL26rocblas_hemvn_kernel_lowerILb0ELi64ELi4ELi33ELi32ELi16EiPK19rocblas_complex_numIdEPKS3_PS1_EviT6_lT7_lT5_lS8_lS9_lS7_lT8_i.private_seg_size, 0
	.set _ZL26rocblas_hemvn_kernel_lowerILb0ELi64ELi4ELi33ELi32ELi16EiPK19rocblas_complex_numIdEPKS3_PS1_EviT6_lT7_lT5_lS8_lS9_lS7_lT8_i.uses_vcc, 1
	.set _ZL26rocblas_hemvn_kernel_lowerILb0ELi64ELi4ELi33ELi32ELi16EiPK19rocblas_complex_numIdEPKS3_PS1_EviT6_lT7_lT5_lS8_lS9_lS7_lT8_i.uses_flat_scratch, 1
	.set _ZL26rocblas_hemvn_kernel_lowerILb0ELi64ELi4ELi33ELi32ELi16EiPK19rocblas_complex_numIdEPKS3_PS1_EviT6_lT7_lT5_lS8_lS9_lS7_lT8_i.has_dyn_sized_stack, 0
	.set _ZL26rocblas_hemvn_kernel_lowerILb0ELi64ELi4ELi33ELi32ELi16EiPK19rocblas_complex_numIdEPKS3_PS1_EviT6_lT7_lT5_lS8_lS9_lS7_lT8_i.has_recursion, 0
	.set _ZL26rocblas_hemvn_kernel_lowerILb0ELi64ELi4ELi33ELi32ELi16EiPK19rocblas_complex_numIdEPKS3_PS1_EviT6_lT7_lT5_lS8_lS9_lS7_lT8_i.has_indirect_call, 0
	.section	.AMDGPU.csdata,"",@progbits
; Kernel info:
; codeLenInByte = 9996
; TotalNumSgprs: 86
; NumVgprs: 215
; ScratchSize: 0
; MemoryBound: 0
; FloatMode: 240
; IeeeMode: 1
; LDSByteSize: 19200 bytes/workgroup (compile time only)
; SGPRBlocks: 0
; VGPRBlocks: 26
; NumSGPRsForWavesPerEU: 86
; NumVGPRsForWavesPerEU: 215
; Occupancy: 7
; WaveLimiterHint : 0
; COMPUTE_PGM_RSRC2:SCRATCH_EN: 0
; COMPUTE_PGM_RSRC2:USER_SGPR: 2
; COMPUTE_PGM_RSRC2:TRAP_HANDLER: 0
; COMPUTE_PGM_RSRC2:TGID_X_EN: 1
; COMPUTE_PGM_RSRC2:TGID_Y_EN: 0
; COMPUTE_PGM_RSRC2:TGID_Z_EN: 1
; COMPUTE_PGM_RSRC2:TIDIG_COMP_CNT: 1
	.section	.text._ZL26rocblas_hemvn_kernel_lowerILb0ELi64ELi4ELi33ELi32ELi16El19rocblas_complex_numIdEPKPKS1_PS1_EviT6_lT7_lT5_lS8_lS9_lS7_lT8_i,"axG",@progbits,_ZL26rocblas_hemvn_kernel_lowerILb0ELi64ELi4ELi33ELi32ELi16El19rocblas_complex_numIdEPKPKS1_PS1_EviT6_lT7_lT5_lS8_lS9_lS7_lT8_i,comdat
	.globl	_ZL26rocblas_hemvn_kernel_lowerILb0ELi64ELi4ELi33ELi32ELi16El19rocblas_complex_numIdEPKPKS1_PS1_EviT6_lT7_lT5_lS8_lS9_lS7_lT8_i ; -- Begin function _ZL26rocblas_hemvn_kernel_lowerILb0ELi64ELi4ELi33ELi32ELi16El19rocblas_complex_numIdEPKPKS1_PS1_EviT6_lT7_lT5_lS8_lS9_lS7_lT8_i
	.p2align	8
	.type	_ZL26rocblas_hemvn_kernel_lowerILb0ELi64ELi4ELi33ELi32ELi16El19rocblas_complex_numIdEPKPKS1_PS1_EviT6_lT7_lT5_lS8_lS9_lS7_lT8_i,@function
_ZL26rocblas_hemvn_kernel_lowerILb0ELi64ELi4ELi33ELi32ELi16El19rocblas_complex_numIdEPKPKS1_PS1_EviT6_lT7_lT5_lS8_lS9_lS7_lT8_i: ; @_ZL26rocblas_hemvn_kernel_lowerILb0ELi64ELi4ELi33ELi32ELi16El19rocblas_complex_numIdEPKPKS1_PS1_EviT6_lT7_lT5_lS8_lS9_lS7_lT8_i
; %bb.0:
	s_clause 0x1
	s_load_b64 s[2:3], s[0:1], 0x94
	s_load_b32 s19, s[0:1], 0x80
	s_lshr_b32 s28, ttmp7, 16
	s_wait_kmcnt 0x0
	s_lshr_b32 s4, s2, 16
	s_and_b32 s2, s2, 0xffff
	s_and_b32 s3, s3, 0xffff
	s_mul_i32 s2, s4, s2
	s_delay_alu instid0(SALU_CYCLE_1) | instskip(NEXT) | instid1(SALU_CYCLE_1)
	s_mul_i32 s2, s2, s3
	s_cmp_lg_u32 s2, 0x100
	s_cselect_b32 s2, -1, 0
	s_cmp_ge_u32 s28, s19
	s_cselect_b32 s3, -1, 0
	s_delay_alu instid0(SALU_CYCLE_1) | instskip(NEXT) | instid1(SALU_CYCLE_1)
	s_or_b32 s2, s2, s3
	s_and_b32 vcc_lo, exec_lo, s2
	s_cbranch_vccnz .LBB194_105
; %bb.1:
	s_clause 0x3
	s_load_b128 s[4:7], s[0:1], 0x8
	s_load_b128 s[12:15], s[0:1], 0x60
	s_load_b32 s2, s[0:1], 0x0
	s_load_b64 s[8:9], s[0:1], 0x78
	s_add_nc_u64 s[10:11], s[0:1], 0x88
	s_clause 0x3
	s_load_b128 s[20:23], s[0:1], 0x20
	s_load_b64 s[56:57], s[0:1], 0x30
	s_load_b64 s[30:31], s[0:1], 0x50
	s_load_b128 s[24:27], s[0:1], 0x40
	v_bfe_u32 v16, v0, 10, 10
	v_dual_mov_b32 v2, 0 :: v_dual_and_b32 v165, 0x3ff, v0
	s_load_b32 s34, s[10:11], 0x0
	v_and_b32_e32 v1, 31, v0
	s_delay_alu instid0(VALU_DEP_3)
	v_lshlrev_b32_e32 v17, 6, v16
	s_lshl_b32 s58, ttmp9, 6
	s_mov_b32 s35, 0
	v_add_nc_u32_e32 v3, s58, v165
	v_lshlrev_b32_e32 v166, 4, v165
	v_add_nc_u32_e32 v18, v17, v165
	v_add_nc_u32_e32 v189, 0x4300, v17
	v_cmp_eq_u32_e64 s0, 0, v16
	v_ashrrev_i32_e32 v4, 31, v3
	s_wait_kmcnt 0x0
	v_cmp_eq_f64_e64 s1, s[4:5], 0
	v_cmp_eq_f64_e64 s5, s[6:7], 0
	v_cmp_neq_f64_e64 s6, s[12:13], 1.0
	v_cmp_neq_f64_e64 s7, s[14:15], 0
	v_lshrrev_b32_e32 v14, 5, v18
	s_ashr_i32 s3, s2, 31
	s_mul_i32 s4, s2, ttmp9
	s_lshr_b32 s11, s3, 26
	v_mul_lo_u32 v11, s30, v4
	v_mad_co_u64_u32 v[7:8], null, s56, v14, v[1:2]
	s_mul_u64 s[38:39], s[34:35], s[2:3]
	s_add_co_i32 s3, s2, s11
	v_lshlrev_b32_e32 v20, 2, v14
	s_and_not1_b32 s3, s3, 63
	s_add_co_i32 s10, s34, -1
	s_sub_co_i32 s2, s2, s3
	v_mad_co_u64_u32 v[9:10], null, s57, v14, v[8:9]
	v_or_b32_e32 v23, 1, v20
	v_mul_lo_u32 v13, s31, v3
	v_mad_co_u64_u32 v[5:6], null, s30, v3, 0
	v_lshlrev_b32_e32 v22, 6, v14
	v_dual_mov_b32 v8, v9 :: v_dual_add_nc_u32 v15, 16, v14
	v_lshlrev_b32_e32 v12, 4, v1
	v_add_nc_u32_e32 v19, 24, v14
	v_sub_co_u32 v10, s3, 0, v1
	v_add3_u32 v6, v6, v11, v13
	s_delay_alu instid0(VALU_DEP_4)
	v_lshl_or_b32 v21, v1, 9, v12
	v_mad_u32_u24 v168, 0x210, v14, v12
	v_mad_u32_u24 v173, 0x840, v14, v12
	v_mad_u32_u24 v175, 0x210, v23, v12
	v_or_b32_e32 v12, 3, v20
	v_add_nc_u32_e32 v172, v21, v22
	v_or_b32_e32 v21, 2, v20
	v_add_nc_u32_e32 v13, 8, v14
	s_and_b32 s33, s1, s5
	v_sub_co_ci_u32_e64 v11, null, 0, 0, s3
	s_or_b32 s68, s6, s7
	s_cmp_eq_u32 ttmp9, s10
	v_cmp_lt_u32_e64 s7, v20, v1
	s_cselect_b32 s40, s2, 0
	v_mul_u32_u24_e32 v20, 33, v1
	s_cmp_eq_u32 s40, 0
	v_cmp_lt_u32_e64 s10, v12, v1
	s_cselect_b32 s69, -1, 0
	s_cmp_lg_u32 s40, 0
	v_or_b32_e32 v12, 32, v1
	s_cselect_b32 s2, -1, 0
	s_wait_alu 0xfffe
	s_ashr_i32 s5, s4, 31
	s_sub_co_i32 s16, s40, 32
	s_wait_alu 0xfffe
	s_lshl_b64 s[4:5], s[4:5], 4
	v_cmp_le_i32_e64 s15, s16, v15
	s_wait_alu 0xfffe
	s_add_nc_u64 s[48:49], s[8:9], s[4:5]
	v_cmp_le_i32_e64 s5, s40, v15
	v_lshlrev_b32_e32 v15, 2, v16
	v_cmp_lt_u32_e64 s9, v21, v1
	v_lshlrev_b32_e32 v21, 4, v14
	v_lshlrev_b32_e32 v178, 4, v20
	v_cmp_le_i32_e64 s4, s40, v13
	v_cmp_gt_i32_e64 s12, s40, v12
	v_cmp_le_i32_e64 s14, s16, v13
	v_mad_co_u64_u32 v[12:13], null, s56, v15, 0
	v_add_nc_u32_e32 v182, v178, v21
	v_cmp_le_i32_e32 vcc_lo, s40, v165
	v_lshrrev_b32_e32 v20, 4, v18
	v_cmp_le_i32_e64 s3, s40, v14
	v_cmp_le_i32_e64 s6, s40, v19
	;; [unrolled: 1-line block ×4, first 2 shown]
	v_cmp_eq_u32_e64 s17, 1, v14
	v_mul_i32_i24_e32 v19, 0xffffffd0, v14
	v_mad_u32_u24 v187, v14, 48, v182
	v_mad_co_u64_u32 v[13:14], null, s57, v15, v[13:14]
	s_and_b32 s2, s2, vcc_lo
	v_sub_co_u32 v14, vcc_lo, 0, v7
	v_add_nc_u32_e32 v181, 0x4700, v22
	v_add_nc_u32_e32 v183, v178, v22
	v_and_b32_e32 v22, 15, v0
	v_sub_co_ci_u32_e64 v15, null, 0, v9, vcc_lo
	v_and_b32_e32 v0, 48, v0
	v_lshlrev_b32_e32 v9, 6, v20
	v_or_b32_e32 v17, 0xf0, v166
	s_ashr_i32 s59, s58, 31
	s_lshl_b64 s[50:51], s[56:57], 5
	v_lshlrev_b32_e32 v0, 4, v0
	v_mad_u32_u24 v191, 0x430, v22, v9
	v_mul_i32_i24_e32 v9, 0xffffffd0, v20
	s_wait_alu 0xfffe
	s_mul_u64 s[46:47], s[56:57], s[58:59]
	s_mul_u64 s[52:53], s[30:31], s[58:59]
	v_lshlrev_b64_e32 v[153:154], 4, v[5:6]
	v_lshlrev_b64_e32 v[155:156], 4, v[7:8]
	;; [unrolled: 1-line block ×6, first 2 shown]
	v_add_nc_u32_e32 v167, 0x4700, v166
	v_add_nc_u32_e32 v169, 0x1080, v168
	;; [unrolled: 1-line block ×4, first 2 shown]
	v_cmp_gt_i32_e64 s1, s40, v1
	s_lshl_b64 s[42:43], s[56:57], 7
	s_lshl_b64 s[44:45], s[56:57], 8
	s_ashr_i32 s41, s40, 31
	v_cmp_lt_u32_e64 s8, v23, v1
	v_add_nc_u32_e32 v174, 16, v172
	v_add_nc_u32_e32 v176, 32, v172
	v_add_nc_u32_e32 v177, 0x210, v175
	v_add_nc_u32_e32 v179, 48, v172
	v_add_nc_u32_e32 v180, 0x420, v175
	v_cmp_gt_u32_e64 s11, 32, v18
	v_add_nc_u32_e32 v184, 16, v183
	v_add_nc_u32_e32 v185, 32, v183
	;; [unrolled: 1-line block ×3, first 2 shown]
	s_xor_b32 s29, s2, -1
	v_add_nc_u32_e32 v188, 0x4300, v166
	v_mad_u32_u24 v190, 0x10c0, v16, v166
	v_cmp_gt_u32_e64 s18, 64, v18
	v_mad_u32_u24 v192, 0x430, v22, v0
	v_mad_u32_u24 v193, 0x430, v22, v17
	;; [unrolled: 1-line block ×3, first 2 shown]
	v_add_nc_u32_e32 v195, 0x4700, v21
	v_add_nc_u32_e32 v196, v181, v19
	;; [unrolled: 1-line block ×3, first 2 shown]
	v_lshlrev_b32_e32 v198, 4, v1
	s_sub_nc_u64 s[60:61], 0, s[50:51]
	s_cmp_gt_i32 ttmp9, 0
	s_sub_nc_u64 s[62:63], 0, s[52:53]
	s_sub_nc_u64 s[64:65], 0, s[46:47]
	s_mul_u64 s[36:37], s[56:57], 0x180
	s_cselect_b32 s70, -1, 0
	s_and_b32 s71, s0, s29
	s_wait_alu 0xfffe
	s_sub_nc_u64 s[52:53], 0, s[40:41]
	s_lshl_b64 s[54:55], s[56:57], 4
	s_mul_u64 s[56:57], s[56:57], 0xd0
	s_lshl_b64 s[26:27], s[26:27], 4
	s_lshl_b64 s[22:23], s[22:23], 4
	;; [unrolled: 1-line block ×6, first 2 shown]
	s_branch .LBB194_4
.LBB194_2:                              ;   in Loop: Header=BB194_4 Depth=1
	s_or_b32 exec_lo, exec_lo, s29
.LBB194_3:                              ;   in Loop: Header=BB194_4 Depth=1
	s_add_co_i32 s28, s28, 0x10000
	s_delay_alu instid0(SALU_CYCLE_1)
	s_cmp_lt_u32 s28, s19
	s_cbranch_scc0 .LBB194_105
.LBB194_4:                              ; =>This Loop Header: Depth=1
                                        ;     Child Loop BB194_75 Depth 2
	s_and_not1_b32 vcc_lo, exec_lo, s33
	s_mov_b32 s29, -1
	s_wait_alu 0xfffe
	s_cbranch_vccz .LBB194_6
; %bb.5:                                ;   in Loop: Header=BB194_4 Depth=1
	s_and_not1_b32 vcc_lo, exec_lo, s29
	s_wait_alu 0xfffe
	s_cbranch_vccnz .LBB194_3
	s_branch .LBB194_7
.LBB194_6:                              ;   in Loop: Header=BB194_4 Depth=1
	s_and_b32 vcc_lo, exec_lo, s68
	s_cbranch_execnz .LBB194_3
.LBB194_7:                              ;   in Loop: Header=BB194_4 Depth=1
	s_mov_b32 s29, s35
	s_delay_alu instid0(SALU_CYCLE_1)
	s_lshl_b64 s[66:67], s[28:29], 3
	s_wait_alu 0xfffe
	s_add_nc_u64 s[72:73], s[24:25], s[66:67]
	s_add_nc_u64 s[66:67], s[20:21], s[66:67]
	s_clause 0x1
	global_load_b64 v[0:1], v2, s[72:73]
	global_load_b64 v[5:6], v2, s[66:67]
	s_wait_loadcnt 0x1
	v_add_co_u32 v0, vcc_lo, v0, s26
	s_wait_alu 0xfffd
	v_add_co_ci_u32_e64 v1, null, s27, v1, vcc_lo
	s_delay_alu instid0(VALU_DEP_2) | instskip(SKIP_1) | instid1(VALU_DEP_2)
	v_add_co_u32 v41, vcc_lo, v0, v153
	s_wait_alu 0xfffd
	v_add_co_ci_u32_e64 v42, null, v1, v154, vcc_lo
	s_and_saveexec_b32 s34, s0
	s_cbranch_execz .LBB194_12
; %bb.8:                                ;   in Loop: Header=BB194_4 Depth=1
	s_and_saveexec_b32 s66, s2
	s_wait_alu 0xfffe
	s_xor_b32 s66, exec_lo, s66
; %bb.9:                                ;   in Loop: Header=BB194_4 Depth=1
	v_dual_mov_b32 v1, v2 :: v_dual_mov_b32 v4, v2
	v_mov_b32_e32 v3, v2
	ds_store_b128 v167, v[1:4]
; %bb.10:                               ;   in Loop: Header=BB194_4 Depth=1
	s_wait_alu 0xfffe
	s_and_not1_saveexec_b32 s66, s66
	s_cbranch_execz .LBB194_12
; %bb.11:                               ;   in Loop: Header=BB194_4 Depth=1
	flat_load_b128 v[7:10], v[41:42]
	s_wait_loadcnt_dscnt 0x0
	ds_store_2addr_b64 v167, v[7:8], v[9:10] offset1:1
.LBB194_12:                             ;   in Loop: Header=BB194_4 Depth=1
	s_wait_alu 0xfffe
	s_or_b32 exec_lo, exec_lo, s34
	s_wait_loadcnt 0x0
	v_add_co_u32 v0, vcc_lo, v5, s22
	s_wait_alu 0xfffd
	v_add_co_ci_u32_e64 v1, null, s23, v6, vcc_lo
	s_lshl_b64 s[66:67], s[46:47], 4
	v_add_co_u32 v0, vcc_lo, v0, s58
	s_wait_alu 0xfffd
	v_add_co_ci_u32_e64 v1, null, s59, v1, vcc_lo
	s_mov_b32 s34, -1
	v_add_co_u32 v0, vcc_lo, v0, v155
	s_wait_alu 0xfffd
	v_add_co_ci_u32_e64 v1, null, v1, v156, vcc_lo
	s_wait_alu 0xfffe
	s_delay_alu instid0(VALU_DEP_2) | instskip(SKIP_1) | instid1(VALU_DEP_2)
	v_add_co_u32 v9, vcc_lo, v0, s66
	s_wait_alu 0xfffd
	v_add_co_ci_u32_e64 v10, null, s67, v1, vcc_lo
	s_and_not1_b32 vcc_lo, exec_lo, s69
	s_wait_alu 0xfffe
	s_cbranch_vccnz .LBB194_14
; %bb.13:                               ;   in Loop: Header=BB194_4 Depth=1
	flat_load_b128 v[3:6], v[9:10]
	v_add_co_u32 v0, vcc_lo, v9, s42
	s_wait_alu 0xfffd
	v_add_co_ci_u32_e64 v1, null, s43, v10, vcc_lo
	s_mov_b32 s34, 0
	s_wait_loadcnt_dscnt 0x0
	ds_store_2addr_b64 v168, v[3:4], v[5:6] offset1:1
	flat_load_b128 v[3:6], v[0:1]
	v_add_co_u32 v0, vcc_lo, v0, s42
	s_wait_alu 0xfffd
	v_add_co_ci_u32_e64 v1, null, s43, v1, vcc_lo
	s_wait_loadcnt_dscnt 0x0
	ds_store_2addr_b64 v169, v[3:4], v[5:6] offset1:1
	flat_load_b128 v[3:6], v[0:1]
	v_add_co_u32 v0, vcc_lo, v0, s42
	s_wait_alu 0xfffd
	v_add_co_ci_u32_e64 v1, null, s43, v1, vcc_lo
	s_wait_loadcnt_dscnt 0x0
	ds_store_2addr_b64 v170, v[3:4], v[5:6] offset1:1
	flat_load_b128 v[3:6], v[0:1]
	s_wait_loadcnt_dscnt 0x0
	ds_store_2addr_b64 v171, v[3:4], v[5:6] offset1:1
.LBB194_14:                             ;   in Loop: Header=BB194_4 Depth=1
	s_wait_alu 0xfffe
	s_and_not1_b32 vcc_lo, exec_lo, s34
	s_wait_alu 0xfffe
	s_cbranch_vccnz .LBB194_26
; %bb.15:                               ;   in Loop: Header=BB194_4 Depth=1
	s_and_saveexec_b32 s34, s3
	s_wait_alu 0xfffe
	s_xor_b32 s34, exec_lo, s34
; %bb.16:                               ;   in Loop: Header=BB194_4 Depth=1
	v_dual_mov_b32 v1, v2 :: v_dual_mov_b32 v4, v2
	v_mov_b32_e32 v3, v2
	ds_store_b128 v168, v[1:4]
; %bb.17:                               ;   in Loop: Header=BB194_4 Depth=1
	s_wait_alu 0xfffe
	s_or_saveexec_b32 s34, s34
	v_add_co_u32 v0, vcc_lo, v9, v157
	s_wait_alu 0xfffd
	v_add_co_ci_u32_e64 v1, null, v10, v158, vcc_lo
	s_lshl_b64 s[66:67], s[40:41], 4
	s_wait_alu 0xfffe
	v_add_co_u32 v0, vcc_lo, v0, s66
	s_wait_alu 0xfffd
	v_add_co_ci_u32_e64 v1, null, s67, v1, vcc_lo
	s_delay_alu instid0(VALU_DEP_2) | instskip(SKIP_1) | instid1(VALU_DEP_2)
	v_add_co_u32 v0, vcc_lo, v0, -16
	s_wait_alu 0xfffd
	v_add_co_ci_u32_e64 v1, null, -1, v1, vcc_lo
	s_delay_alu instid0(VALU_DEP_2) | instskip(NEXT) | instid1(VALU_DEP_2)
	v_cndmask_b32_e64 v5, v0, v9, s1
	v_cndmask_b32_e64 v6, v1, v10, s1
	s_xor_b32 exec_lo, exec_lo, s34
	s_cbranch_execnz .LBB194_87
; %bb.18:                               ;   in Loop: Header=BB194_4 Depth=1
	s_or_b32 exec_lo, exec_lo, s34
	s_and_saveexec_b32 s34, s4
	s_wait_alu 0xfffe
	s_xor_b32 s34, exec_lo, s34
	s_cbranch_execnz .LBB194_88
.LBB194_19:                             ;   in Loop: Header=BB194_4 Depth=1
	s_wait_alu 0xfffe
	s_and_not1_saveexec_b32 s34, s34
	s_cbranch_execnz .LBB194_89
.LBB194_20:                             ;   in Loop: Header=BB194_4 Depth=1
	s_wait_alu 0xfffe
	s_or_b32 exec_lo, exec_lo, s34
	s_and_saveexec_b32 s34, s5
	s_wait_alu 0xfffe
	s_xor_b32 s34, exec_lo, s34
	s_cbranch_execnz .LBB194_90
.LBB194_21:                             ;   in Loop: Header=BB194_4 Depth=1
	s_wait_alu 0xfffe
	s_and_not1_saveexec_b32 s34, s34
	s_cbranch_execnz .LBB194_91
.LBB194_22:                             ;   in Loop: Header=BB194_4 Depth=1
	s_wait_alu 0xfffe
	s_or_b32 exec_lo, exec_lo, s34
	s_and_saveexec_b32 s34, s6
	s_wait_alu 0xfffe
	s_xor_b32 s34, exec_lo, s34
	s_cbranch_execnz .LBB194_92
.LBB194_23:                             ;   in Loop: Header=BB194_4 Depth=1
	s_wait_alu 0xfffe
	s_and_not1_saveexec_b32 s34, s34
	s_cbranch_execz .LBB194_25
.LBB194_24:                             ;   in Loop: Header=BB194_4 Depth=1
	v_add_co_u32 v0, vcc_lo, v5, s36
	s_wait_alu 0xfffd
	v_add_co_ci_u32_e64 v1, null, s37, v6, vcc_lo
	flat_load_b128 v[11:14], v[0:1]
	s_wait_loadcnt_dscnt 0x0
	ds_store_2addr_b64 v171, v[11:12], v[13:14] offset1:1
.LBB194_25:                             ;   in Loop: Header=BB194_4 Depth=1
	s_wait_alu 0xfffe
	s_or_b32 exec_lo, exec_lo, s34
	v_add_co_u32 v0, vcc_lo, v5, v198
	s_wait_alu 0xfffd
	v_add_co_ci_u32_e64 v1, null, 0, v6, vcc_lo
	s_lshl_b64 s[66:67], s[52:53], 4
	s_wait_alu 0xfffe
	v_add_co_u32 v0, vcc_lo, v0, s66
	s_wait_alu 0xfffd
	v_add_co_ci_u32_e64 v1, null, s67, v1, vcc_lo
	s_delay_alu instid0(VALU_DEP_2) | instskip(SKIP_1) | instid1(VALU_DEP_2)
	v_add_co_u32 v0, vcc_lo, v0, 16
	s_wait_alu 0xfffd
	v_add_co_ci_u32_e64 v1, null, 0, v1, vcc_lo
	s_delay_alu instid0(VALU_DEP_2) | instskip(NEXT) | instid1(VALU_DEP_2)
	v_cndmask_b32_e64 v9, v0, v9, s1
	v_cndmask_b32_e64 v10, v1, v10, s1
.LBB194_26:                             ;   in Loop: Header=BB194_4 Depth=1
	s_wait_dscnt 0x0
	s_barrier_signal -1
	s_barrier_wait -1
	global_inv scope:SCOPE_SE
	s_and_saveexec_b32 s34, s7
	s_cbranch_execnz .LBB194_81
; %bb.27:                               ;   in Loop: Header=BB194_4 Depth=1
	s_wait_alu 0xfffe
	s_or_b32 exec_lo, exec_lo, s34
	s_and_saveexec_b32 s34, s8
	s_cbranch_execnz .LBB194_82
.LBB194_28:                             ;   in Loop: Header=BB194_4 Depth=1
	s_wait_alu 0xfffe
	s_or_b32 exec_lo, exec_lo, s34
	s_and_saveexec_b32 s34, s9
	s_cbranch_execnz .LBB194_83
.LBB194_29:                             ;   in Loop: Header=BB194_4 Depth=1
	s_wait_alu 0xfffe
	s_or_b32 exec_lo, exec_lo, s34
	s_and_saveexec_b32 s34, s10
	s_cbranch_execz .LBB194_31
.LBB194_30:                             ;   in Loop: Header=BB194_4 Depth=1
	ds_load_b128 v[3:6], v180
	s_wait_dscnt 0x0
	ds_store_b128 v179, v[3:6]
.LBB194_31:                             ;   in Loop: Header=BB194_4 Depth=1
	s_wait_alu 0xfffe
	s_or_b32 exec_lo, exec_lo, s34
	s_wait_loadcnt_dscnt 0x0
	s_barrier_signal -1
	s_barrier_wait -1
	global_inv scope:SCOPE_SE
	ds_load_b128 v[3:6], v173
	ds_load_b128 v[11:14], v181
	ds_load_b128 v[15:18], v181 offset:16
	ds_load_b128 v[19:22], v175
	s_wait_dscnt 0x2
	v_mul_f64_e32 v[0:1], v[13:14], v[5:6]
	v_mul_f64_e32 v[5:6], v[11:12], v[5:6]
	s_wait_dscnt 0x0
	v_mul_f64_e32 v[7:8], v[17:18], v[21:22]
	v_mul_f64_e32 v[29:30], v[15:16], v[21:22]
	s_delay_alu instid0(VALU_DEP_4) | instskip(NEXT) | instid1(VALU_DEP_4)
	v_fma_f64 v[0:1], v[11:12], v[3:4], -v[0:1]
	v_fma_f64 v[31:32], v[13:14], v[3:4], v[5:6]
	ds_load_b128 v[3:6], v177
	ds_load_b128 v[11:14], v181 offset:32
	ds_load_b128 v[21:24], v181 offset:48
	ds_load_b128 v[25:28], v180
	v_fma_f64 v[7:8], v[15:16], v[19:20], -v[7:8]
	v_fma_f64 v[15:16], v[17:18], v[19:20], v[29:30]
	s_wait_loadcnt_dscnt 0x0
	s_barrier_signal -1
	s_barrier_wait -1
	global_inv scope:SCOPE_SE
	v_mul_f64_e32 v[33:34], v[13:14], v[5:6]
	v_mul_f64_e32 v[5:6], v[11:12], v[5:6]
	;; [unrolled: 1-line block ×4, first 2 shown]
	v_add_f64_e32 v[0:1], 0, v[0:1]
	v_add_f64_e32 v[17:18], 0, v[31:32]
	v_fma_f64 v[11:12], v[11:12], v[3:4], -v[33:34]
	v_fma_f64 v[3:4], v[13:14], v[3:4], v[5:6]
	v_fma_f64 v[13:14], v[23:24], v[25:26], v[27:28]
	v_add_f64_e32 v[0:1], v[0:1], v[7:8]
	v_add_f64_e32 v[5:6], v[17:18], v[15:16]
	v_fma_f64 v[7:8], v[21:22], v[25:26], -v[19:20]
	s_delay_alu instid0(VALU_DEP_3) | instskip(NEXT) | instid1(VALU_DEP_3)
	v_add_f64_e32 v[0:1], v[0:1], v[11:12]
	v_add_f64_e32 v[3:4], v[5:6], v[3:4]
	v_mov_b32_e32 v5, 0
	v_mov_b32_e32 v6, 0
	s_delay_alu instid0(VALU_DEP_4) | instskip(NEXT) | instid1(VALU_DEP_4)
	v_add_f64_e32 v[11:12], v[0:1], v[7:8]
	v_add_f64_e32 v[13:14], v[3:4], v[13:14]
	v_mov_b32_e32 v7, 0
	v_mov_b32_e32 v8, 0
	ds_store_b128 v182, v[11:14]
	s_wait_loadcnt_dscnt 0x0
	s_barrier_signal -1
	s_barrier_wait -1
	global_inv scope:SCOPE_SE
	s_and_saveexec_b32 s34, s11
	s_cbranch_execz .LBB194_33
; %bb.32:                               ;   in Loop: Header=BB194_4 Depth=1
	ds_load_b128 v[3:6], v178
	ds_load_b128 v[11:14], v178 offset:16
	s_wait_dscnt 0x0
	v_add_f64_e32 v[0:1], v[11:12], v[3:4]
	v_add_f64_e32 v[7:8], v[13:14], v[5:6]
	ds_load_b128 v[3:6], v178 offset:32
	ds_load_b128 v[11:14], v178 offset:48
	s_wait_dscnt 0x1
	v_add_f64_e32 v[0:1], v[0:1], v[3:4]
	v_add_f64_e32 v[3:4], v[7:8], v[5:6]
	s_wait_dscnt 0x0
	s_delay_alu instid0(VALU_DEP_2) | instskip(NEXT) | instid1(VALU_DEP_2)
	v_add_f64_e32 v[0:1], v[0:1], v[11:12]
	v_add_f64_e32 v[7:8], v[3:4], v[13:14]
	ds_load_b128 v[3:6], v178 offset:64
	ds_load_b128 v[11:14], v178 offset:80
	s_wait_dscnt 0x1
	v_add_f64_e32 v[0:1], v[0:1], v[3:4]
	v_add_f64_e32 v[3:4], v[7:8], v[5:6]
	s_wait_dscnt 0x0
	s_delay_alu instid0(VALU_DEP_2) | instskip(NEXT) | instid1(VALU_DEP_2)
	;; [unrolled: 9-line block ×3, first 2 shown]
	v_add_f64_e32 v[5:6], v[0:1], v[11:12]
	v_add_f64_e32 v[7:8], v[3:4], v[13:14]
.LBB194_33:                             ;   in Loop: Header=BB194_4 Depth=1
	s_wait_alu 0xfffe
	s_or_b32 exec_lo, exec_lo, s34
	s_lshl_b64 s[66:67], s[50:51], 4
	s_mov_b32 s34, -1
	s_wait_alu 0xfffe
	v_add_co_u32 v0, vcc_lo, v9, s66
	s_wait_alu 0xfffd
	v_add_co_ci_u32_e64 v11, null, s67, v10, vcc_lo
	s_wait_loadcnt 0x0
	s_delay_alu instid0(VALU_DEP_2) | instskip(SKIP_1) | instid1(VALU_DEP_2)
	v_add_co_u32 v9, vcc_lo, 0x200, v0
	s_wait_alu 0xfffd
	v_add_co_ci_u32_e64 v10, null, 0, v11, vcc_lo
	s_and_not1_b32 vcc_lo, exec_lo, s69
	s_barrier_signal -1
	s_barrier_wait -1
	global_inv scope:SCOPE_SE
	s_wait_alu 0xfffe
	s_cbranch_vccnz .LBB194_35
; %bb.34:                               ;   in Loop: Header=BB194_4 Depth=1
	flat_load_b128 v[12:15], v[9:10]
	v_add_co_u32 v3, vcc_lo, v0, s42
	s_wait_alu 0xfffd
	v_add_co_ci_u32_e64 v4, null, s43, v11, vcc_lo
	s_mov_b32 s34, 0
	s_wait_loadcnt_dscnt 0x0
	ds_store_2addr_b64 v168, v[12:13], v[14:15] offset1:1
	flat_load_b128 v[12:15], v[3:4] offset:512
	v_add_co_u32 v3, vcc_lo, v3, s42
	s_wait_alu 0xfffd
	v_add_co_ci_u32_e64 v4, null, s43, v4, vcc_lo
	s_wait_loadcnt_dscnt 0x0
	ds_store_2addr_b64 v169, v[12:13], v[14:15] offset1:1
	flat_load_b128 v[12:15], v[3:4] offset:512
	v_add_co_u32 v3, vcc_lo, v3, s42
	s_wait_alu 0xfffd
	v_add_co_ci_u32_e64 v4, null, s43, v4, vcc_lo
	s_wait_loadcnt_dscnt 0x0
	ds_store_2addr_b64 v170, v[12:13], v[14:15] offset1:1
	flat_load_b128 v[12:15], v[3:4] offset:512
	s_wait_loadcnt_dscnt 0x0
	ds_store_2addr_b64 v171, v[12:13], v[14:15] offset1:1
.LBB194_35:                             ;   in Loop: Header=BB194_4 Depth=1
	s_wait_alu 0xfffe
	s_and_not1_b32 vcc_lo, exec_lo, s34
	s_wait_alu 0xfffe
	s_cbranch_vccnz .LBB194_47
; %bb.36:                               ;   in Loop: Header=BB194_4 Depth=1
	s_and_saveexec_b32 s34, s13
	s_wait_alu 0xfffe
	s_xor_b32 s34, exec_lo, s34
; %bb.37:                               ;   in Loop: Header=BB194_4 Depth=1
	v_dual_mov_b32 v1, v2 :: v_dual_mov_b32 v4, v2
	v_mov_b32_e32 v3, v2
	ds_store_b128 v168, v[1:4]
; %bb.38:                               ;   in Loop: Header=BB194_4 Depth=1
	s_wait_alu 0xfffe
	s_or_saveexec_b32 s34, s34
	v_add_co_u32 v0, vcc_lo, v0, v157
	s_wait_alu 0xfffd
	v_add_co_ci_u32_e64 v1, null, v11, v158, vcc_lo
	s_lshl_b64 s[66:67], s[40:41], 4
	s_wait_alu 0xfffe
	v_add_co_u32 v0, vcc_lo, v0, s66
	s_wait_alu 0xfffd
	v_add_co_ci_u32_e64 v1, null, s67, v1, vcc_lo
	s_delay_alu instid0(VALU_DEP_2) | instskip(SKIP_1) | instid1(VALU_DEP_2)
	v_add_co_u32 v0, vcc_lo, v0, -16
	s_wait_alu 0xfffd
	v_add_co_ci_u32_e64 v1, null, -1, v1, vcc_lo
	s_delay_alu instid0(VALU_DEP_2) | instskip(NEXT) | instid1(VALU_DEP_2)
	v_cndmask_b32_e64 v11, v0, v9, s12
	v_cndmask_b32_e64 v12, v1, v10, s12
	s_xor_b32 exec_lo, exec_lo, s34
	s_cbranch_execnz .LBB194_93
; %bb.39:                               ;   in Loop: Header=BB194_4 Depth=1
	s_or_b32 exec_lo, exec_lo, s34
	s_and_saveexec_b32 s34, s14
	s_wait_alu 0xfffe
	s_xor_b32 s34, exec_lo, s34
	s_cbranch_execnz .LBB194_94
.LBB194_40:                             ;   in Loop: Header=BB194_4 Depth=1
	s_wait_alu 0xfffe
	s_and_not1_saveexec_b32 s34, s34
	s_cbranch_execnz .LBB194_95
.LBB194_41:                             ;   in Loop: Header=BB194_4 Depth=1
	s_wait_alu 0xfffe
	s_or_b32 exec_lo, exec_lo, s34
	s_and_saveexec_b32 s34, s15
	s_wait_alu 0xfffe
	s_xor_b32 s34, exec_lo, s34
	s_cbranch_execnz .LBB194_96
.LBB194_42:                             ;   in Loop: Header=BB194_4 Depth=1
	s_wait_alu 0xfffe
	s_and_not1_saveexec_b32 s34, s34
	s_cbranch_execnz .LBB194_97
.LBB194_43:                             ;   in Loop: Header=BB194_4 Depth=1
	s_wait_alu 0xfffe
	s_or_b32 exec_lo, exec_lo, s34
	s_and_saveexec_b32 s34, s16
	s_wait_alu 0xfffe
	s_xor_b32 s34, exec_lo, s34
	s_cbranch_execnz .LBB194_98
.LBB194_44:                             ;   in Loop: Header=BB194_4 Depth=1
	s_wait_alu 0xfffe
	s_and_not1_saveexec_b32 s34, s34
	s_cbranch_execz .LBB194_46
.LBB194_45:                             ;   in Loop: Header=BB194_4 Depth=1
	v_add_co_u32 v0, vcc_lo, v11, s36
	s_wait_alu 0xfffd
	v_add_co_ci_u32_e64 v1, null, s37, v12, vcc_lo
	flat_load_b128 v[13:16], v[0:1]
	s_wait_loadcnt_dscnt 0x0
	ds_store_2addr_b64 v171, v[13:14], v[15:16] offset1:1
.LBB194_46:                             ;   in Loop: Header=BB194_4 Depth=1
	s_wait_alu 0xfffe
	s_or_b32 exec_lo, exec_lo, s34
	v_add_co_u32 v0, vcc_lo, v11, v198
	s_wait_alu 0xfffd
	v_add_co_ci_u32_e64 v1, null, 0, v12, vcc_lo
	s_lshl_b64 s[66:67], s[52:53], 4
	s_wait_alu 0xfffe
	v_add_co_u32 v0, vcc_lo, v0, s66
	s_wait_alu 0xfffd
	v_add_co_ci_u32_e64 v1, null, s67, v1, vcc_lo
	s_delay_alu instid0(VALU_DEP_2) | instskip(SKIP_1) | instid1(VALU_DEP_2)
	v_add_co_u32 v0, vcc_lo, 0x210, v0
	s_wait_alu 0xfffd
	v_add_co_ci_u32_e64 v1, null, 0, v1, vcc_lo
	s_delay_alu instid0(VALU_DEP_2) | instskip(NEXT) | instid1(VALU_DEP_2)
	v_cndmask_b32_e64 v9, v0, v9, s12
	v_cndmask_b32_e64 v10, v1, v10, s12
.LBB194_47:                             ;   in Loop: Header=BB194_4 Depth=1
	s_wait_loadcnt_dscnt 0x0
	s_barrier_signal -1
	s_barrier_wait -1
	global_inv scope:SCOPE_SE
	s_and_saveexec_b32 s34, s7
	s_cbranch_execnz .LBB194_84
; %bb.48:                               ;   in Loop: Header=BB194_4 Depth=1
	s_wait_alu 0xfffe
	s_or_b32 exec_lo, exec_lo, s34
	s_and_saveexec_b32 s34, s8
	s_cbranch_execnz .LBB194_85
.LBB194_49:                             ;   in Loop: Header=BB194_4 Depth=1
	s_wait_alu 0xfffe
	s_or_b32 exec_lo, exec_lo, s34
	s_and_saveexec_b32 s34, s9
	s_cbranch_execnz .LBB194_86
.LBB194_50:                             ;   in Loop: Header=BB194_4 Depth=1
	s_wait_alu 0xfffe
	s_or_b32 exec_lo, exec_lo, s34
	s_and_saveexec_b32 s34, s10
	s_cbranch_execz .LBB194_52
.LBB194_51:                             ;   in Loop: Header=BB194_4 Depth=1
	ds_load_b128 v[11:14], v180
	s_wait_dscnt 0x0
	ds_store_b128 v186, v[11:14]
.LBB194_52:                             ;   in Loop: Header=BB194_4 Depth=1
	s_wait_alu 0xfffe
	s_or_b32 exec_lo, exec_lo, s34
	s_wait_loadcnt_dscnt 0x0
	s_barrier_signal -1
	s_barrier_wait -1
	global_inv scope:SCOPE_SE
	ds_load_b128 v[11:14], v173
	ds_load_b128 v[15:18], v181 offset:512
	ds_load_b128 v[19:22], v181 offset:528
	ds_load_b128 v[23:26], v175
	s_wait_dscnt 0x2
	v_mul_f64_e32 v[0:1], v[17:18], v[13:14]
	v_mul_f64_e32 v[3:4], v[15:16], v[13:14]
	s_wait_dscnt 0x0
	v_mul_f64_e32 v[33:34], v[21:22], v[25:26]
	v_mul_f64_e32 v[35:36], v[19:20], v[25:26]
	s_delay_alu instid0(VALU_DEP_4) | instskip(NEXT) | instid1(VALU_DEP_4)
	v_fma_f64 v[0:1], v[15:16], v[11:12], -v[0:1]
	v_fma_f64 v[3:4], v[17:18], v[11:12], v[3:4]
	ds_load_b128 v[11:14], v177
	ds_load_b128 v[15:18], v181 offset:544
	ds_load_b128 v[25:28], v181 offset:560
	ds_load_b128 v[29:32], v180
	v_fma_f64 v[19:20], v[19:20], v[23:24], -v[33:34]
	v_fma_f64 v[21:22], v[21:22], v[23:24], v[35:36]
	s_wait_loadcnt_dscnt 0x0
	s_barrier_signal -1
	s_barrier_wait -1
	global_inv scope:SCOPE_SE
	v_mul_f64_e32 v[37:38], v[17:18], v[13:14]
	v_mul_f64_e32 v[13:14], v[15:16], v[13:14]
	;; [unrolled: 1-line block ×4, first 2 shown]
	v_add_f64_e32 v[0:1], 0, v[0:1]
	v_add_f64_e32 v[3:4], 0, v[3:4]
	v_fma_f64 v[15:16], v[15:16], v[11:12], -v[37:38]
	v_fma_f64 v[11:12], v[17:18], v[11:12], v[13:14]
	v_fma_f64 v[13:14], v[25:26], v[29:30], -v[23:24]
	v_fma_f64 v[17:18], v[27:28], v[29:30], v[31:32]
	v_add_f64_e32 v[0:1], v[0:1], v[19:20]
	v_add_f64_e32 v[3:4], v[3:4], v[21:22]
	s_delay_alu instid0(VALU_DEP_2) | instskip(NEXT) | instid1(VALU_DEP_2)
	v_add_f64_e32 v[0:1], v[0:1], v[15:16]
	v_add_f64_e32 v[3:4], v[3:4], v[11:12]
	s_delay_alu instid0(VALU_DEP_2) | instskip(NEXT) | instid1(VALU_DEP_2)
	v_add_f64_e32 v[11:12], v[0:1], v[13:14]
	v_add_f64_e32 v[13:14], v[3:4], v[17:18]
	ds_store_b128 v182, v[11:14]
	s_wait_loadcnt_dscnt 0x0
	s_barrier_signal -1
	s_barrier_wait -1
	global_inv scope:SCOPE_SE
	s_and_saveexec_b32 s34, s17
	s_cbranch_execz .LBB194_54
; %bb.53:                               ;   in Loop: Header=BB194_4 Depth=1
	ds_load_b128 v[3:6], v178
	ds_load_b128 v[11:14], v178 offset:16
	s_wait_dscnt 0x0
	v_add_f64_e32 v[0:1], v[11:12], v[3:4]
	v_add_f64_e32 v[7:8], v[13:14], v[5:6]
	ds_load_b128 v[3:6], v178 offset:32
	ds_load_b128 v[11:14], v178 offset:48
	s_wait_dscnt 0x1
	v_add_f64_e32 v[0:1], v[0:1], v[3:4]
	v_add_f64_e32 v[3:4], v[7:8], v[5:6]
	s_wait_dscnt 0x0
	s_delay_alu instid0(VALU_DEP_2) | instskip(NEXT) | instid1(VALU_DEP_2)
	v_add_f64_e32 v[0:1], v[0:1], v[11:12]
	v_add_f64_e32 v[7:8], v[3:4], v[13:14]
	ds_load_b128 v[3:6], v178 offset:64
	ds_load_b128 v[11:14], v178 offset:80
	s_wait_dscnt 0x1
	v_add_f64_e32 v[0:1], v[0:1], v[3:4]
	v_add_f64_e32 v[3:4], v[7:8], v[5:6]
	s_wait_dscnt 0x0
	s_delay_alu instid0(VALU_DEP_2) | instskip(NEXT) | instid1(VALU_DEP_2)
	v_add_f64_e32 v[0:1], v[0:1], v[11:12]
	v_add_f64_e32 v[7:8], v[3:4], v[13:14]
	ds_load_b128 v[3:6], v178 offset:96
	ds_load_b128 v[11:14], v178 offset:112
	s_wait_dscnt 0x1
	v_add_f64_e32 v[0:1], v[0:1], v[3:4]
	v_add_f64_e32 v[3:4], v[7:8], v[5:6]
	s_wait_dscnt 0x0
	s_delay_alu instid0(VALU_DEP_2) | instskip(NEXT) | instid1(VALU_DEP_2)
	v_add_f64_e32 v[5:6], v[0:1], v[11:12]
	v_add_f64_e32 v[7:8], v[3:4], v[13:14]
.LBB194_54:                             ;   in Loop: Header=BB194_4 Depth=1
	s_wait_alu 0xfffe
	s_or_b32 exec_lo, exec_lo, s34
	v_add_co_u32 v43, vcc_lo, v9, s60
	s_wait_alu 0xfffd
	v_add_co_ci_u32_e64 v44, null, s61, v10, vcc_lo
	s_and_not1_b32 vcc_lo, exec_lo, s69
	s_mov_b32 s34, -1
	s_wait_loadcnt 0x0
	s_barrier_signal -1
	s_barrier_wait -1
	global_inv scope:SCOPE_SE
	s_wait_alu 0xfffe
	s_cbranch_vccnz .LBB194_56
; %bb.55:                               ;   in Loop: Header=BB194_4 Depth=1
	flat_load_b128 v[9:12], v[43:44]
	v_add_co_u32 v0, vcc_lo, v43, s42
	s_wait_alu 0xfffd
	v_add_co_ci_u32_e64 v1, null, s43, v44, vcc_lo
	s_mov_b32 s34, 0
	s_wait_loadcnt_dscnt 0x0
	ds_store_2addr_b64 v168, v[9:10], v[11:12] offset1:1
	flat_load_b128 v[9:12], v[0:1]
	v_add_co_u32 v0, vcc_lo, v0, s42
	s_wait_alu 0xfffd
	v_add_co_ci_u32_e64 v1, null, s43, v1, vcc_lo
	s_wait_loadcnt_dscnt 0x0
	ds_store_2addr_b64 v169, v[9:10], v[11:12] offset1:1
	flat_load_b128 v[9:12], v[0:1]
	v_add_co_u32 v0, vcc_lo, v0, s42
	s_wait_alu 0xfffd
	v_add_co_ci_u32_e64 v1, null, s43, v1, vcc_lo
	s_wait_loadcnt_dscnt 0x0
	ds_store_2addr_b64 v170, v[9:10], v[11:12] offset1:1
	flat_load_b128 v[9:12], v[0:1]
	s_wait_loadcnt_dscnt 0x0
	ds_store_2addr_b64 v171, v[9:10], v[11:12] offset1:1
.LBB194_56:                             ;   in Loop: Header=BB194_4 Depth=1
	s_wait_alu 0xfffe
	s_and_not1_b32 vcc_lo, exec_lo, s34
	s_wait_alu 0xfffe
	s_cbranch_vccnz .LBB194_68
; %bb.57:                               ;   in Loop: Header=BB194_4 Depth=1
	s_and_saveexec_b32 s34, s3
	s_wait_alu 0xfffe
	s_xor_b32 s34, exec_lo, s34
; %bb.58:                               ;   in Loop: Header=BB194_4 Depth=1
	v_dual_mov_b32 v1, v2 :: v_dual_mov_b32 v4, v2
	v_mov_b32_e32 v3, v2
	ds_store_b128 v168, v[1:4]
; %bb.59:                               ;   in Loop: Header=BB194_4 Depth=1
	s_wait_alu 0xfffe
	s_or_saveexec_b32 s34, s34
	v_add_co_u32 v0, vcc_lo, v43, v157
	s_wait_alu 0xfffd
	v_add_co_ci_u32_e64 v1, null, v44, v158, vcc_lo
	s_lshl_b64 s[66:67], s[40:41], 4
	s_wait_alu 0xfffe
	v_add_co_u32 v0, vcc_lo, v0, s66
	s_wait_alu 0xfffd
	v_add_co_ci_u32_e64 v1, null, s67, v1, vcc_lo
	s_delay_alu instid0(VALU_DEP_2) | instskip(SKIP_1) | instid1(VALU_DEP_2)
	v_add_co_u32 v0, vcc_lo, 0xfffffdf0, v0
	s_wait_alu 0xfffd
	v_add_co_ci_u32_e64 v1, null, -1, v1, vcc_lo
	s_delay_alu instid0(VALU_DEP_2) | instskip(NEXT) | instid1(VALU_DEP_2)
	v_cndmask_b32_e64 v9, v0, v43, s12
	v_cndmask_b32_e64 v10, v1, v44, s12
	s_xor_b32 exec_lo, exec_lo, s34
	s_cbranch_execnz .LBB194_99
; %bb.60:                               ;   in Loop: Header=BB194_4 Depth=1
	s_or_b32 exec_lo, exec_lo, s34
	s_and_saveexec_b32 s34, s4
	s_wait_alu 0xfffe
	s_xor_b32 s34, exec_lo, s34
	s_cbranch_execnz .LBB194_100
.LBB194_61:                             ;   in Loop: Header=BB194_4 Depth=1
	s_wait_alu 0xfffe
	s_and_not1_saveexec_b32 s34, s34
	s_cbranch_execnz .LBB194_101
.LBB194_62:                             ;   in Loop: Header=BB194_4 Depth=1
	s_wait_alu 0xfffe
	s_or_b32 exec_lo, exec_lo, s34
	s_and_saveexec_b32 s34, s5
	s_wait_alu 0xfffe
	s_xor_b32 s34, exec_lo, s34
	s_cbranch_execnz .LBB194_102
.LBB194_63:                             ;   in Loop: Header=BB194_4 Depth=1
	s_wait_alu 0xfffe
	s_and_not1_saveexec_b32 s34, s34
	s_cbranch_execnz .LBB194_103
.LBB194_64:                             ;   in Loop: Header=BB194_4 Depth=1
	s_wait_alu 0xfffe
	s_or_b32 exec_lo, exec_lo, s34
	s_and_saveexec_b32 s34, s6
	s_wait_alu 0xfffe
	s_xor_b32 s34, exec_lo, s34
	s_cbranch_execnz .LBB194_104
.LBB194_65:                             ;   in Loop: Header=BB194_4 Depth=1
	s_wait_alu 0xfffe
	s_and_not1_saveexec_b32 s34, s34
	s_cbranch_execz .LBB194_67
.LBB194_66:                             ;   in Loop: Header=BB194_4 Depth=1
	v_add_co_u32 v0, vcc_lo, v9, s36
	s_wait_alu 0xfffd
	v_add_co_ci_u32_e64 v1, null, s37, v10, vcc_lo
	flat_load_b128 v[11:14], v[0:1]
	s_wait_loadcnt_dscnt 0x0
	ds_store_2addr_b64 v171, v[11:12], v[13:14] offset1:1
.LBB194_67:                             ;   in Loop: Header=BB194_4 Depth=1
	s_wait_alu 0xfffe
	s_or_b32 exec_lo, exec_lo, s34
	v_add_co_u32 v0, vcc_lo, v9, v198
	s_wait_alu 0xfffd
	v_add_co_ci_u32_e64 v1, null, 0, v10, vcc_lo
	s_lshl_b64 s[66:67], s[52:53], 4
	s_wait_alu 0xfffe
	v_add_co_u32 v0, vcc_lo, v0, s66
	s_wait_alu 0xfffd
	v_add_co_ci_u32_e64 v1, null, s67, v1, vcc_lo
	s_delay_alu instid0(VALU_DEP_2) | instskip(SKIP_1) | instid1(VALU_DEP_2)
	v_add_co_u32 v0, vcc_lo, 0x210, v0
	s_wait_alu 0xfffd
	v_add_co_ci_u32_e64 v1, null, 0, v1, vcc_lo
	s_delay_alu instid0(VALU_DEP_2) | instskip(NEXT) | instid1(VALU_DEP_2)
	v_cndmask_b32_e64 v43, v0, v43, s12
	v_cndmask_b32_e64 v44, v1, v44, s12
.LBB194_68:                             ;   in Loop: Header=BB194_4 Depth=1
	s_wait_loadcnt_dscnt 0x0
	s_barrier_signal -1
	s_barrier_wait -1
	global_inv scope:SCOPE_SE
	ds_load_b128 v[9:12], v196
	ds_load_b128 v[13:16], v168
	;; [unrolled: 1-line block ×3, first 2 shown]
	ds_load_b128 v[21:24], v195 offset:384
	ds_load_b128 v[25:28], v195 offset:128
	;; [unrolled: 1-line block ×3, first 2 shown]
	s_wait_dscnt 0x4
	v_mul_f64_e32 v[0:1], v[11:12], v[15:16]
	v_mul_f64_e32 v[3:4], v[9:10], v[15:16]
	s_wait_dscnt 0x1
	v_mul_f64_e32 v[33:34], v[27:28], v[19:20]
	v_mul_f64_e32 v[19:20], v[25:26], v[19:20]
	s_delay_alu instid0(VALU_DEP_4) | instskip(NEXT) | instid1(VALU_DEP_4)
	v_fma_f64 v[0:1], v[9:10], v[13:14], -v[0:1]
	v_fma_f64 v[3:4], v[11:12], v[13:14], v[3:4]
	ds_load_b128 v[9:12], v170
	ds_load_b128 v[13:16], v171
	v_fma_f64 v[25:26], v[25:26], v[17:18], -v[33:34]
	v_fma_f64 v[17:18], v[27:28], v[17:18], v[19:20]
	s_wait_dscnt 0x1
	v_mul_f64_e32 v[35:36], v[31:32], v[11:12]
	v_mul_f64_e32 v[11:12], v[29:30], v[11:12]
	s_wait_dscnt 0x0
	v_mul_f64_e32 v[19:20], v[23:24], v[15:16]
	v_mul_f64_e32 v[15:16], v[21:22], v[15:16]
	v_add_f64_e32 v[0:1], 0, v[0:1]
	v_add_f64_e32 v[3:4], 0, v[3:4]
	v_fma_f64 v[27:28], v[29:30], v[9:10], -v[35:36]
	v_fma_f64 v[9:10], v[31:32], v[9:10], v[11:12]
	v_fma_f64 v[11:12], v[21:22], v[13:14], -v[19:20]
	v_fma_f64 v[13:14], v[23:24], v[13:14], v[15:16]
	v_add_f64_e32 v[0:1], v[0:1], v[25:26]
	v_add_f64_e32 v[3:4], v[3:4], v[17:18]
	s_delay_alu instid0(VALU_DEP_2) | instskip(NEXT) | instid1(VALU_DEP_2)
	v_add_f64_e32 v[0:1], v[0:1], v[27:28]
	v_add_f64_e32 v[3:4], v[3:4], v[9:10]
	s_delay_alu instid0(VALU_DEP_2) | instskip(NEXT) | instid1(VALU_DEP_2)
	v_add_f64_e32 v[45:46], v[0:1], v[11:12]
	v_add_f64_e32 v[47:48], v[3:4], v[13:14]
	ds_load_b128 v[33:36], v187
	ds_load_b128 v[25:28], v187 offset:16
	ds_load_b128 v[13:16], v187 offset:32
	;; [unrolled: 1-line block ×7, first 2 shown]
	s_wait_loadcnt_dscnt 0x0
	s_barrier_signal -1
	s_barrier_wait -1
	global_inv scope:SCOPE_SE
	ds_store_b128 v182, v[45:48]
	s_wait_loadcnt_dscnt 0x0
	s_barrier_signal -1
	s_barrier_wait -1
	global_inv scope:SCOPE_SE
	s_and_saveexec_b32 s34, s17
	s_cbranch_execz .LBB194_70
; %bb.69:                               ;   in Loop: Header=BB194_4 Depth=1
	ds_load_b128 v[45:48], v178
	ds_load_b128 v[49:52], v178 offset:16
	s_wait_dscnt 0x1
	v_add_f64_e32 v[0:1], v[5:6], v[45:46]
	v_add_f64_e32 v[3:4], v[7:8], v[47:48]
	s_wait_dscnt 0x0
	s_delay_alu instid0(VALU_DEP_2) | instskip(NEXT) | instid1(VALU_DEP_2)
	v_add_f64_e32 v[0:1], v[0:1], v[49:50]
	v_add_f64_e32 v[7:8], v[3:4], v[51:52]
	ds_load_b128 v[3:6], v178 offset:32
	ds_load_b128 v[45:48], v178 offset:48
	s_wait_dscnt 0x1
	v_add_f64_e32 v[0:1], v[0:1], v[3:4]
	v_add_f64_e32 v[3:4], v[7:8], v[5:6]
	s_wait_dscnt 0x0
	s_delay_alu instid0(VALU_DEP_2) | instskip(NEXT) | instid1(VALU_DEP_2)
	v_add_f64_e32 v[0:1], v[0:1], v[45:46]
	v_add_f64_e32 v[7:8], v[3:4], v[47:48]
	ds_load_b128 v[3:6], v178 offset:64
	;; [unrolled: 9-line block ×3, first 2 shown]
	ds_load_b128 v[45:48], v178 offset:112
	s_wait_dscnt 0x1
	v_add_f64_e32 v[0:1], v[0:1], v[3:4]
	v_add_f64_e32 v[3:4], v[7:8], v[5:6]
	s_wait_dscnt 0x0
	s_delay_alu instid0(VALU_DEP_2) | instskip(NEXT) | instid1(VALU_DEP_2)
	v_add_f64_e32 v[5:6], v[0:1], v[45:46]
	v_add_f64_e32 v[7:8], v[3:4], v[47:48]
.LBB194_70:                             ;   in Loop: Header=BB194_4 Depth=1
	s_wait_alu 0xfffe
	s_or_b32 exec_lo, exec_lo, s34
	v_mul_f64_e32 v[0:1], v[35:36], v[39:40]
	v_mul_f64_e32 v[3:4], v[33:34], v[39:40]
	;; [unrolled: 1-line block ×4, first 2 shown]
	s_wait_loadcnt 0x0
	s_barrier_signal -1
	s_barrier_wait -1
	global_inv scope:SCOPE_SE
	v_fma_f64 v[0:1], v[33:34], v[37:38], -v[0:1]
	v_fma_f64 v[3:4], v[35:36], v[37:38], v[3:4]
	v_mul_f64_e32 v[33:34], v[15:16], v[23:24]
	v_mul_f64_e32 v[23:24], v[13:14], v[23:24]
	v_fma_f64 v[25:26], v[25:26], v[29:30], -v[39:40]
	v_fma_f64 v[27:28], v[27:28], v[29:30], v[31:32]
	v_mul_f64_e32 v[29:30], v[11:12], v[19:20]
	v_mul_f64_e32 v[19:20], v[9:10], v[19:20]
	v_add_f64_e32 v[0:1], 0, v[0:1]
	v_add_f64_e32 v[3:4], 0, v[3:4]
	v_fma_f64 v[13:14], v[13:14], v[21:22], -v[33:34]
	v_fma_f64 v[15:16], v[15:16], v[21:22], v[23:24]
	v_fma_f64 v[9:10], v[9:10], v[17:18], -v[29:30]
	v_fma_f64 v[11:12], v[11:12], v[17:18], v[19:20]
	v_add_f64_e32 v[0:1], v[0:1], v[25:26]
	v_add_f64_e32 v[3:4], v[3:4], v[27:28]
	s_delay_alu instid0(VALU_DEP_2) | instskip(NEXT) | instid1(VALU_DEP_2)
	v_add_f64_e32 v[0:1], v[0:1], v[13:14]
	v_add_f64_e32 v[3:4], v[3:4], v[15:16]
	s_delay_alu instid0(VALU_DEP_2) | instskip(NEXT) | instid1(VALU_DEP_2)
	v_add_f64_e32 v[9:10], v[0:1], v[9:10]
	v_add_f64_e32 v[11:12], v[3:4], v[11:12]
	ds_store_b128 v182, v[9:12]
	s_wait_loadcnt_dscnt 0x0
	s_barrier_signal -1
	s_barrier_wait -1
	global_inv scope:SCOPE_SE
	s_and_saveexec_b32 s34, s11
	s_cbranch_execz .LBB194_72
; %bb.71:                               ;   in Loop: Header=BB194_4 Depth=1
	ds_load_b128 v[9:12], v178
	ds_load_b128 v[13:16], v178 offset:16
	s_wait_dscnt 0x1
	v_add_f64_e32 v[0:1], v[5:6], v[9:10]
	v_add_f64_e32 v[3:4], v[7:8], v[11:12]
	s_wait_dscnt 0x0
	s_delay_alu instid0(VALU_DEP_2) | instskip(NEXT) | instid1(VALU_DEP_2)
	v_add_f64_e32 v[0:1], v[0:1], v[13:14]
	v_add_f64_e32 v[11:12], v[3:4], v[15:16]
	ds_load_b128 v[3:6], v178 offset:32
	ds_load_b128 v[7:10], v178 offset:48
	s_wait_dscnt 0x1
	v_add_f64_e32 v[0:1], v[0:1], v[3:4]
	v_add_f64_e32 v[3:4], v[11:12], v[5:6]
	s_wait_dscnt 0x0
	s_delay_alu instid0(VALU_DEP_2) | instskip(NEXT) | instid1(VALU_DEP_2)
	v_add_f64_e32 v[0:1], v[0:1], v[7:8]
	v_add_f64_e32 v[11:12], v[3:4], v[9:10]
	ds_load_b128 v[3:6], v178 offset:64
	;; [unrolled: 9-line block ×3, first 2 shown]
	ds_load_b128 v[7:10], v178 offset:112
	s_wait_dscnt 0x1
	v_add_f64_e32 v[0:1], v[0:1], v[3:4]
	v_add_f64_e32 v[3:4], v[11:12], v[5:6]
	s_wait_dscnt 0x0
	s_delay_alu instid0(VALU_DEP_2) | instskip(NEXT) | instid1(VALU_DEP_2)
	v_add_f64_e32 v[5:6], v[0:1], v[7:8]
	v_add_f64_e32 v[7:8], v[3:4], v[9:10]
.LBB194_72:                             ;   in Loop: Header=BB194_4 Depth=1
	s_wait_alu 0xfffe
	s_or_b32 exec_lo, exec_lo, s34
	s_mul_u64 s[66:67], s[38:39], s[28:29]
	s_and_not1_b32 vcc_lo, exec_lo, s70
	s_wait_alu 0xfffe
	s_lshl_b64 s[66:67], s[66:67], 4
	s_wait_loadcnt 0x0
	s_wait_alu 0xfffe
	s_add_nc_u64 s[66:67], s[48:49], s[66:67]
	s_barrier_signal -1
	s_barrier_wait -1
	global_inv scope:SCOPE_SE
	s_cbranch_vccnz .LBB194_79
; %bb.73:                               ;   in Loop: Header=BB194_4 Depth=1
	v_add_co_u32 v0, vcc_lo, v43, s64
	s_wait_alu 0xfffd
	v_add_co_ci_u32_e64 v1, null, s65, v44, vcc_lo
	v_lshlrev_b32_e32 v3, 4, v165
	s_delay_alu instid0(VALU_DEP_3) | instskip(SKIP_1) | instid1(VALU_DEP_3)
	v_add_co_u32 v0, vcc_lo, v0, v159
	s_wait_alu 0xfffd
	v_add_co_ci_u32_e64 v1, null, v1, v160, vcc_lo
	s_lshl_b64 s[72:73], s[40:41], 4
	v_add_co_u32 v0, vcc_lo, v0, v161
	s_wait_alu 0xfffd
	v_add_co_ci_u32_e64 v1, null, v1, v162, vcc_lo
	s_mov_b32 s29, ttmp9
	s_wait_alu 0xfffe
	v_add_co_u32 v4, vcc_lo, v0, s72
	s_wait_alu 0xfffd
	v_add_co_ci_u32_e64 v9, null, s73, v1, vcc_lo
	v_add_co_u32 v0, vcc_lo, v0, v3
	s_wait_alu 0xfffd
	v_add_co_ci_u32_e64 v1, null, 0, v1, vcc_lo
	v_add_co_u32 v3, vcc_lo, 0xfffffdf0, v4
	s_wait_alu 0xfffd
	v_add_co_ci_u32_e64 v4, null, -1, v9, vcc_lo
	v_add_co_u32 v0, vcc_lo, 0xfffffe00, v0
	s_wait_alu 0xfffd
	v_add_co_ci_u32_e64 v1, null, -1, v1, vcc_lo
	v_add_co_u32 v199, vcc_lo, v41, s62
	s_wait_alu 0xfffd
	v_add_co_ci_u32_e64 v200, null, s63, v42, vcc_lo
	s_delay_alu instid0(VALU_DEP_3)
	v_cndmask_b32_e64 v1, v1, v4, s2
	v_cndmask_b32_e64 v0, v0, v3, s2
	s_mov_b32 s34, 0
	s_branch .LBB194_75
.LBB194_74:                             ;   in Loop: Header=BB194_75 Depth=2
	s_wait_alu 0xfffe
	s_or_b32 exec_lo, exec_lo, s72
	v_mul_f64_e32 v[0:1], v[19:20], v[27:28]
	v_mul_f64_e32 v[27:28], v[17:18], v[27:28]
	;; [unrolled: 1-line block ×4, first 2 shown]
	s_add_co_i32 s29, s29, -1
	s_add_co_i32 s34, s34, 64
	s_cmp_eq_u32 s29, 0
	s_wait_loadcnt 0x0
	s_wait_storecnt 0x0
	s_barrier_signal -1
	s_barrier_wait -1
	global_inv scope:SCOPE_SE
	v_fma_f64 v[0:1], v[17:18], v[25:26], -v[0:1]
	v_fma_f64 v[17:18], v[19:20], v[25:26], v[27:28]
	v_mul_f64_e32 v[19:20], v[15:16], v[39:40]
	v_mul_f64_e32 v[25:26], v[13:14], v[39:40]
	v_fma_f64 v[21:22], v[21:22], v[41:42], -v[89:90]
	v_fma_f64 v[23:24], v[23:24], v[41:42], v[43:44]
	v_add_f64_e32 v[0:1], v[5:6], v[0:1]
	v_add_f64_e32 v[5:6], v[7:8], v[17:18]
	v_mul_f64_e32 v[7:8], v[11:12], v[35:36]
	v_mul_f64_e32 v[17:18], v[9:10], v[35:36]
	v_fma_f64 v[13:14], v[13:14], v[37:38], -v[19:20]
	v_fma_f64 v[15:16], v[15:16], v[37:38], v[25:26]
	v_mul_f64_e32 v[19:20], v[31:32], v[59:60]
	v_add_f64_e32 v[0:1], v[0:1], v[21:22]
	v_add_f64_e32 v[5:6], v[5:6], v[23:24]
	v_mul_f64_e32 v[21:22], v[29:30], v[59:60]
	v_fma_f64 v[7:8], v[9:10], v[33:34], -v[7:8]
	v_fma_f64 v[9:10], v[11:12], v[33:34], v[17:18]
	v_mul_f64_e32 v[11:12], v[55:56], v[75:76]
	v_add_f64_e32 v[0:1], v[0:1], v[13:14]
	v_add_f64_e32 v[5:6], v[5:6], v[15:16]
	v_mul_f64_e32 v[13:14], v[53:54], v[75:76]
	v_fma_f64 v[15:16], v[29:30], v[57:58], -v[19:20]
	v_fma_f64 v[17:18], v[31:32], v[57:58], v[21:22]
	v_fma_f64 v[11:12], v[53:54], v[73:74], -v[11:12]
	v_add_f64_e32 v[0:1], v[0:1], v[7:8]
	v_add_f64_e32 v[5:6], v[5:6], v[9:10]
	v_mul_f64_e32 v[7:8], v[51:52], v[71:72]
	v_mul_f64_e32 v[9:10], v[49:50], v[71:72]
	v_fma_f64 v[13:14], v[55:56], v[73:74], v[13:14]
	v_add_f64_e32 v[0:1], v[0:1], v[15:16]
	v_add_f64_e32 v[5:6], v[5:6], v[17:18]
	v_mul_f64_e32 v[15:16], v[47:48], v[67:68]
	v_mul_f64_e32 v[17:18], v[45:46], v[67:68]
	v_fma_f64 v[7:8], v[49:50], v[69:70], -v[7:8]
	v_fma_f64 v[9:10], v[51:52], v[69:70], v[9:10]
	v_add_f64_e32 v[0:1], v[0:1], v[11:12]
	v_add_f64_e32 v[5:6], v[5:6], v[13:14]
	v_mul_f64_e32 v[11:12], v[63:64], v[95:96]
	v_mul_f64_e32 v[13:14], v[61:62], v[95:96]
	v_fma_f64 v[15:16], v[45:46], v[65:66], -v[15:16]
	;; [unrolled: 6-line block ×9, first 2 shown]
	v_fma_f64 v[13:14], v[123:124], v[145:146], v[13:14]
	v_add_f64_e32 v[0:1], v[0:1], v[15:16]
	v_add_f64_e32 v[5:6], v[5:6], v[17:18]
	v_fma_f64 v[7:8], v[133:134], v[141:142], -v[7:8]
	v_fma_f64 v[9:10], v[135:136], v[141:142], v[9:10]
	s_delay_alu instid0(VALU_DEP_4) | instskip(NEXT) | instid1(VALU_DEP_4)
	v_add_f64_e32 v[0:1], v[0:1], v[11:12]
	v_add_f64_e32 v[11:12], v[5:6], v[13:14]
	s_delay_alu instid0(VALU_DEP_2) | instskip(NEXT) | instid1(VALU_DEP_2)
	v_add_f64_e32 v[5:6], v[0:1], v[7:8]
	v_add_f64_e32 v[7:8], v[11:12], v[9:10]
	v_add_co_u32 v0, vcc_lo, v3, s56
	s_wait_alu 0xfffd
	v_add_co_ci_u32_e64 v1, null, s57, v4, vcc_lo
	s_cbranch_scc1 .LBB194_79
.LBB194_75:                             ;   Parent Loop BB194_4 Depth=1
                                        ; =>  This Inner Loop Header: Depth=2
	s_and_saveexec_b32 s72, s0
	s_cbranch_execz .LBB194_77
; %bb.76:                               ;   in Loop: Header=BB194_75 Depth=2
	s_wait_alu 0xfffe
	s_mul_u64 s[74:75], s[30:31], s[34:35]
	s_wait_alu 0xfffe
	s_lshl_b64 s[74:75], s[74:75], 4
	s_wait_alu 0xfffe
	v_add_co_u32 v3, vcc_lo, v199, s74
	s_wait_alu 0xfffd
	v_add_co_ci_u32_e64 v4, null, s75, v200, vcc_lo
	flat_load_b128 v[9:12], v[3:4]
	s_wait_loadcnt_dscnt 0x0
	ds_store_2addr_b64 v188, v[9:10], v[11:12] offset1:1
.LBB194_77:                             ;   in Loop: Header=BB194_75 Depth=2
	s_wait_alu 0xfffe
	s_or_b32 exec_lo, exec_lo, s72
	v_add_co_u32 v3, vcc_lo, v0, s54
	s_wait_alu 0xfffd
	v_add_co_ci_u32_e64 v4, null, s55, v1, vcc_lo
	s_wait_loadcnt_dscnt 0x0
	s_delay_alu instid0(VALU_DEP_2) | instskip(SKIP_1) | instid1(VALU_DEP_2)
	v_add_co_u32 v9, vcc_lo, v3, s54
	s_wait_alu 0xfffd
	v_add_co_ci_u32_e64 v10, null, s55, v4, vcc_lo
	s_barrier_signal -1
	s_barrier_wait -1
	global_inv scope:SCOPE_SE
	flat_load_b128 v[17:20], v[0:1]
	v_add_co_u32 v0, vcc_lo, v9, s54
	s_wait_alu 0xfffd
	v_add_co_ci_u32_e64 v1, null, s55, v10, vcc_lo
	s_clause 0x2
	flat_load_b128 v[21:24], v[3:4]
	flat_load_b128 v[13:16], v[9:10]
	;; [unrolled: 1-line block ×3, first 2 shown]
	ds_load_b128 v[29:32], v167
	ds_load_b128 v[25:28], v189
	v_add_co_u32 v0, vcc_lo, v0, s56
	s_wait_alu 0xfffd
	v_add_co_ci_u32_e64 v1, null, s57, v1, vcc_lo
	s_wait_loadcnt_dscnt 0x301
	v_mul_f64_e32 v[3:4], v[19:20], v[31:32]
	v_mul_f64_e32 v[33:34], v[17:18], v[31:32]
	s_wait_loadcnt 0x2
	v_mul_f64_e32 v[35:36], v[23:24], v[31:32]
	v_mul_f64_e32 v[37:38], v[21:22], v[31:32]
	s_wait_loadcnt 0x1
	;; [unrolled: 3-line block ×3, first 2 shown]
	v_mul_f64_e32 v[43:44], v[11:12], v[31:32]
	v_mul_f64_e32 v[31:32], v[9:10], v[31:32]
	v_fma_f64 v[45:46], v[17:18], v[29:30], -v[3:4]
	v_fma_f64 v[47:48], v[19:20], v[29:30], v[33:34]
	v_add_co_u32 v3, vcc_lo, v0, s54
	v_fma_f64 v[49:50], v[21:22], v[29:30], -v[35:36]
	v_fma_f64 v[51:52], v[23:24], v[29:30], v[37:38]
	v_fma_f64 v[53:54], v[13:14], v[29:30], -v[39:40]
	v_fma_f64 v[55:56], v[15:16], v[29:30], v[41:42]
	v_fma_f64 v[57:58], v[9:10], v[29:30], -v[43:44]
	v_fma_f64 v[59:60], v[11:12], v[29:30], v[31:32]
	s_wait_alu 0xfffd
	v_add_co_ci_u32_e64 v4, null, s55, v1, vcc_lo
	v_add_co_u32 v61, vcc_lo, v3, s54
	ds_load_b128 v[41:44], v189 offset:16
	ds_load_b128 v[37:40], v189 offset:32
	s_wait_alu 0xfffd
	v_add_co_ci_u32_e64 v62, null, s55, v4, vcc_lo
	ds_load_b128 v[33:36], v189 offset:48
	ds_store_b128 v190, v[45:48]
	ds_store_b128 v190, v[49:52] offset:1072
	ds_store_b128 v190, v[53:56] offset:2144
	;; [unrolled: 1-line block ×3, first 2 shown]
	s_wait_dscnt 0x0
	s_barrier_signal -1
	s_barrier_wait -1
	global_inv scope:SCOPE_SE
	ds_load_b128 v[105:108], v191
	ds_load_b128 v[101:104], v191 offset:16
	ds_load_b128 v[97:100], v191 offset:32
	;; [unrolled: 1-line block ×3, first 2 shown]
	s_wait_loadcnt_dscnt 0x0
	s_barrier_signal -1
	s_barrier_wait -1
	global_inv scope:SCOPE_SE
	flat_load_b128 v[29:32], v[0:1]
	v_add_co_u32 v0, vcc_lo, v61, s54
	s_wait_alu 0xfffd
	v_add_co_ci_u32_e64 v1, null, s55, v62, vcc_lo
	s_clause 0x2
	flat_load_b128 v[53:56], v[3:4]
	flat_load_b128 v[49:52], v[61:62]
	flat_load_b128 v[45:48], v[0:1]
	ds_load_b128 v[61:64], v167
	ds_load_b128 v[57:60], v189 offset:256
	v_add_co_u32 v0, vcc_lo, v0, s56
	s_wait_alu 0xfffd
	v_add_co_ci_u32_e64 v1, null, s57, v1, vcc_lo
	s_wait_loadcnt_dscnt 0x301
	v_mul_f64_e32 v[3:4], v[31:32], v[63:64]
	v_mul_f64_e32 v[65:66], v[29:30], v[63:64]
	s_wait_loadcnt 0x2
	v_mul_f64_e32 v[67:68], v[55:56], v[63:64]
	v_mul_f64_e32 v[69:70], v[53:54], v[63:64]
	s_wait_loadcnt 0x1
	;; [unrolled: 3-line block ×3, first 2 shown]
	v_mul_f64_e32 v[75:76], v[47:48], v[63:64]
	v_mul_f64_e32 v[63:64], v[45:46], v[63:64]
	v_fma_f64 v[77:78], v[29:30], v[61:62], -v[3:4]
	v_fma_f64 v[79:80], v[31:32], v[61:62], v[65:66]
	v_add_co_u32 v3, vcc_lo, v0, s54
	v_fma_f64 v[81:82], v[53:54], v[61:62], -v[67:68]
	v_fma_f64 v[83:84], v[55:56], v[61:62], v[69:70]
	v_fma_f64 v[85:86], v[49:50], v[61:62], -v[71:72]
	v_fma_f64 v[87:88], v[51:52], v[61:62], v[73:74]
	;; [unrolled: 2-line block ×3, first 2 shown]
	s_wait_alu 0xfffd
	v_add_co_ci_u32_e64 v4, null, s55, v1, vcc_lo
	v_add_co_u32 v109, vcc_lo, v3, s54
	ds_load_b128 v[73:76], v189 offset:272
	ds_load_b128 v[69:72], v189 offset:288
	;; [unrolled: 1-line block ×3, first 2 shown]
	s_wait_alu 0xfffd
	v_add_co_ci_u32_e64 v110, null, s55, v4, vcc_lo
	ds_store_b128 v190, v[77:80]
	ds_store_b128 v190, v[81:84] offset:1072
	ds_store_b128 v190, v[85:88] offset:2144
	;; [unrolled: 1-line block ×3, first 2 shown]
	s_wait_dscnt 0x0
	s_barrier_signal -1
	s_barrier_wait -1
	global_inv scope:SCOPE_SE
	ds_load_b128 v[201:204], v191
	ds_load_b128 v[205:208], v191 offset:16
	ds_load_b128 v[209:212], v191 offset:32
	;; [unrolled: 1-line block ×3, first 2 shown]
	s_wait_loadcnt_dscnt 0x0
	s_barrier_signal -1
	s_barrier_wait -1
	global_inv scope:SCOPE_SE
	flat_load_b128 v[61:64], v[0:1]
	v_add_co_u32 v0, vcc_lo, v109, s54
	s_wait_alu 0xfffd
	v_add_co_ci_u32_e64 v1, null, s55, v110, vcc_lo
	s_clause 0x1
	flat_load_b128 v[85:88], v[3:4]
	flat_load_b128 v[77:80], v[109:110]
	;; [unrolled: 1-line block ×3, first 2 shown]
	ds_load_b128 v[109:112], v167
	ds_load_b128 v[93:96], v189 offset:512
	v_add_co_u32 v0, vcc_lo, v0, s56
	s_wait_alu 0xfffd
	v_add_co_ci_u32_e64 v1, null, s57, v1, vcc_lo
	v_add_f64_e32 v[201:202], 0, v[201:202]
	s_delay_alu instid0(VALU_DEP_3) | instskip(SKIP_1) | instid1(VALU_DEP_3)
	v_add_co_u32 v141, vcc_lo, v0, s54
	s_wait_alu 0xfffd
	v_add_co_ci_u32_e64 v142, null, s55, v1, vcc_lo
	v_add_f64_e32 v[203:204], 0, v[203:204]
	s_delay_alu instid0(VALU_DEP_3) | instskip(SKIP_1) | instid1(VALU_DEP_3)
	v_add_co_u32 v143, vcc_lo, v141, s54
	s_wait_alu 0xfffd
	v_add_co_ci_u32_e64 v144, null, s55, v142, vcc_lo
	v_add_f64_e32 v[201:202], v[201:202], v[205:206]
	s_delay_alu instid0(VALU_DEP_4) | instskip(NEXT) | instid1(VALU_DEP_2)
	v_add_f64_e32 v[203:204], v[203:204], v[207:208]
	v_add_f64_e32 v[201:202], v[201:202], v[209:210]
	s_delay_alu instid0(VALU_DEP_2)
	v_add_f64_e32 v[203:204], v[203:204], v[211:212]
	s_wait_loadcnt_dscnt 0x301
	v_mul_f64_e32 v[3:4], v[63:64], v[111:112]
	v_mul_f64_e32 v[113:114], v[61:62], v[111:112]
	s_wait_loadcnt 0x2
	v_mul_f64_e32 v[115:116], v[87:88], v[111:112]
	v_mul_f64_e32 v[117:118], v[85:86], v[111:112]
	s_wait_loadcnt 0x1
	;; [unrolled: 3-line block ×3, first 2 shown]
	v_mul_f64_e32 v[127:128], v[83:84], v[111:112]
	v_mul_f64_e32 v[111:112], v[81:82], v[111:112]
	v_fma_f64 v[121:122], v[61:62], v[109:110], -v[3:4]
	v_fma_f64 v[123:124], v[63:64], v[109:110], v[113:114]
	v_add_co_u32 v3, vcc_lo, v143, s54
	v_fma_f64 v[129:130], v[85:86], v[109:110], -v[115:116]
	v_fma_f64 v[131:132], v[87:88], v[109:110], v[117:118]
	v_fma_f64 v[133:134], v[77:78], v[109:110], -v[119:120]
	v_fma_f64 v[135:136], v[79:80], v[109:110], v[125:126]
	;; [unrolled: 2-line block ×3, first 2 shown]
	ds_load_b128 v[125:128], v189 offset:528
	ds_load_b128 v[117:120], v189 offset:544
	;; [unrolled: 1-line block ×3, first 2 shown]
	ds_store_b128 v190, v[121:124]
	ds_store_b128 v190, v[129:132] offset:1072
	ds_store_b128 v190, v[133:136] offset:2144
	ds_store_b128 v190, v[137:140] offset:3216
	s_wait_dscnt 0x0
	s_barrier_signal -1
	s_barrier_wait -1
	global_inv scope:SCOPE_SE
	ds_load_b128 v[217:220], v191
	ds_load_b128 v[221:224], v191 offset:16
	ds_load_b128 v[225:228], v191 offset:32
	;; [unrolled: 1-line block ×3, first 2 shown]
	s_wait_loadcnt_dscnt 0x0
	s_barrier_signal -1
	s_barrier_wait -1
	global_inv scope:SCOPE_SE
	flat_load_b128 v[109:112], v[0:1]
	s_wait_alu 0xfffd
	v_add_co_ci_u32_e64 v4, null, s55, v144, vcc_lo
	flat_load_b128 v[129:132], v[141:142]
	flat_load_b128 v[121:124], v[143:144]
	;; [unrolled: 1-line block ×3, first 2 shown]
	ds_load_b128 v[141:144], v167
	ds_load_b128 v[137:140], v189 offset:768
	v_add_f64_e32 v[217:218], 0, v[217:218]
	v_add_f64_e32 v[219:220], 0, v[219:220]
	s_delay_alu instid0(VALU_DEP_2) | instskip(NEXT) | instid1(VALU_DEP_2)
	v_add_f64_e32 v[205:206], v[217:218], v[221:222]
	v_add_f64_e32 v[207:208], v[219:220], v[223:224]
	s_delay_alu instid0(VALU_DEP_2) | instskip(NEXT) | instid1(VALU_DEP_2)
	v_add_f64_e32 v[205:206], v[205:206], v[225:226]
	v_add_f64_e32 v[207:208], v[207:208], v[227:228]
	s_wait_loadcnt_dscnt 0x301
	v_mul_f64_e32 v[0:1], v[111:112], v[143:144]
	v_mul_f64_e32 v[145:146], v[109:110], v[143:144]
	s_wait_loadcnt 0x2
	v_mul_f64_e32 v[147:148], v[131:132], v[143:144]
	v_mul_f64_e32 v[149:150], v[129:130], v[143:144]
	s_wait_loadcnt 0x1
	v_mul_f64_e32 v[151:152], v[123:124], v[143:144]
	v_mul_f64_e32 v[243:244], v[121:122], v[143:144]
	s_wait_loadcnt 0x0
	v_mul_f64_e32 v[245:246], v[135:136], v[143:144]
	v_mul_f64_e32 v[143:144], v[133:134], v[143:144]
	v_fma_f64 v[233:234], v[109:110], v[141:142], -v[0:1]
	v_fma_f64 v[235:236], v[111:112], v[141:142], v[145:146]
	v_fma_f64 v[237:238], v[129:130], v[141:142], -v[147:148]
	v_fma_f64 v[239:240], v[131:132], v[141:142], v[149:150]
	;; [unrolled: 2-line block ×4, first 2 shown]
	ds_load_b128 v[149:152], v189 offset:784
	ds_load_b128 v[145:148], v189 offset:800
	;; [unrolled: 1-line block ×3, first 2 shown]
	ds_store_b128 v190, v[233:236]
	ds_store_b128 v190, v[237:240] offset:1072
	ds_store_b128 v190, v[241:244] offset:2144
	;; [unrolled: 1-line block ×3, first 2 shown]
	s_wait_dscnt 0x0
	s_barrier_signal -1
	s_barrier_wait -1
	global_inv scope:SCOPE_SE
	ds_load_b128 v[233:236], v191
	v_add_f64_e32 v[0:1], 0, v[105:106]
	v_add_f64_e32 v[237:238], 0, v[107:108]
	ds_load_b128 v[105:108], v191 offset:16
	s_wait_dscnt 0x1
	v_add_f64_e32 v[233:234], 0, v[233:234]
	v_add_f64_e32 v[235:236], 0, v[235:236]
	;; [unrolled: 1-line block ×4, first 2 shown]
	ds_load_b128 v[101:104], v191 offset:32
	s_wait_dscnt 0x1
	v_add_f64_e32 v[105:106], v[233:234], v[105:106]
	v_add_f64_e32 v[107:108], v[235:236], v[107:108]
	;; [unrolled: 1-line block ×4, first 2 shown]
	ds_load_b128 v[97:100], v191 offset:48
	s_wait_loadcnt_dscnt 0x0
	s_barrier_signal -1
	s_barrier_wait -1
	global_inv scope:SCOPE_SE
	v_add_f64_e32 v[209:210], v[105:106], v[101:102]
	v_add_f64_e32 v[211:212], v[107:108], v[103:104]
	;; [unrolled: 1-line block ×10, first 2 shown]
	ds_store_b128 v197, v[89:92]
	ds_store_b128 v197, v[101:104] offset:256
	ds_store_b128 v197, v[105:108] offset:512
	;; [unrolled: 1-line block ×3, first 2 shown]
	s_wait_loadcnt_dscnt 0x0
	s_barrier_signal -1
	s_barrier_wait -1
	global_inv scope:SCOPE_SE
	s_and_saveexec_b32 s72, s18
	s_cbranch_execz .LBB194_74
; %bb.78:                               ;   in Loop: Header=BB194_75 Depth=2
	ds_load_b128 v[89:92], v192
	ds_load_b128 v[97:100], v192 offset:16
	s_wait_dscnt 0x0
	v_add_f64_e32 v[0:1], v[97:98], v[89:90]
	v_add_f64_e32 v[101:102], v[99:100], v[91:92]
	ds_load_b128 v[89:92], v192 offset:32
	ds_load_b128 v[97:100], v192 offset:48
	s_wait_dscnt 0x1
	v_add_f64_e32 v[0:1], v[0:1], v[89:90]
	v_add_f64_e32 v[89:90], v[101:102], v[91:92]
	s_wait_dscnt 0x0
	s_delay_alu instid0(VALU_DEP_2) | instskip(NEXT) | instid1(VALU_DEP_2)
	v_add_f64_e32 v[0:1], v[0:1], v[97:98]
	v_add_f64_e32 v[101:102], v[89:90], v[99:100]
	ds_load_b128 v[89:92], v192 offset:64
	ds_load_b128 v[97:100], v192 offset:80
	s_wait_dscnt 0x1
	v_add_f64_e32 v[0:1], v[0:1], v[89:90]
	v_add_f64_e32 v[89:90], v[101:102], v[91:92]
	s_wait_dscnt 0x0
	s_delay_alu instid0(VALU_DEP_2) | instskip(NEXT) | instid1(VALU_DEP_2)
	;; [unrolled: 9-line block ×6, first 2 shown]
	v_add_f64_e32 v[0:1], v[0:1], v[97:98]
	v_add_f64_e32 v[101:102], v[89:90], v[99:100]
	ds_load_b128 v[89:92], v192 offset:224
	ds_load_b128 v[97:100], v193
	s_wait_dscnt 0x1
	v_add_f64_e32 v[0:1], v[0:1], v[89:90]
	v_add_f64_e32 v[91:92], v[101:102], v[91:92]
	s_wait_dscnt 0x0
	s_delay_alu instid0(VALU_DEP_2) | instskip(NEXT) | instid1(VALU_DEP_2)
	v_add_f64_e32 v[89:90], v[0:1], v[97:98]
	v_add_f64_e32 v[91:92], v[91:92], v[99:100]
	v_add_nc_u32_e32 v1, s34, v165
	s_delay_alu instid0(VALU_DEP_1) | instskip(NEXT) | instid1(VALU_DEP_1)
	v_lshlrev_b64_e32 v[0:1], 4, v[1:2]
	v_add_co_u32 v0, vcc_lo, s66, v0
	s_wait_alu 0xfffd
	s_delay_alu instid0(VALU_DEP_2)
	v_add_co_ci_u32_e64 v1, null, s67, v1, vcc_lo
	global_store_b128 v[0:1], v[89:92], off
	s_branch .LBB194_74
.LBB194_79:                             ;   in Loop: Header=BB194_4 Depth=1
	ds_store_b128 v194, v[5:8]
	s_wait_loadcnt_dscnt 0x0
	s_barrier_signal -1
	s_barrier_wait -1
	global_inv scope:SCOPE_SE
	s_and_saveexec_b32 s29, s71
	s_cbranch_execz .LBB194_2
; %bb.80:                               ;   in Loop: Header=BB194_4 Depth=1
	ds_load_b128 v[3:6], v166 offset:1072
	ds_load_b128 v[7:10], v166
	s_wait_dscnt 0x0
	v_add_f64_e32 v[0:1], v[3:4], v[7:8]
	v_add_f64_e32 v[11:12], v[5:6], v[9:10]
	ds_load_b128 v[3:6], v166 offset:2144
	ds_load_b128 v[7:10], v166 offset:3216
	s_wait_dscnt 0x1
	v_add_f64_e32 v[0:1], v[0:1], v[3:4]
	v_add_f64_e32 v[5:6], v[11:12], v[5:6]
	s_wait_dscnt 0x0
	s_delay_alu instid0(VALU_DEP_2) | instskip(NEXT) | instid1(VALU_DEP_2)
	v_add_f64_e32 v[3:4], v[0:1], v[7:8]
	v_add_f64_e32 v[5:6], v[5:6], v[9:10]
	s_wait_alu 0xfffe
	v_add_co_u32 v0, vcc_lo, s66, v163
	s_wait_alu 0xfffd
	v_add_co_ci_u32_e64 v1, null, s67, v164, vcc_lo
	global_store_b128 v[0:1], v[3:6], off
	s_branch .LBB194_2
.LBB194_81:                             ;   in Loop: Header=BB194_4 Depth=1
	ds_load_b128 v[3:6], v173
	s_wait_dscnt 0x0
	ds_store_b128 v172, v[3:6]
	s_wait_alu 0xfffe
	s_or_b32 exec_lo, exec_lo, s34
	s_and_saveexec_b32 s34, s8
	s_cbranch_execz .LBB194_28
.LBB194_82:                             ;   in Loop: Header=BB194_4 Depth=1
	ds_load_b128 v[3:6], v175
	s_wait_dscnt 0x0
	ds_store_b128 v174, v[3:6]
	s_wait_alu 0xfffe
	s_or_b32 exec_lo, exec_lo, s34
	s_and_saveexec_b32 s34, s9
	s_cbranch_execz .LBB194_29
.LBB194_83:                             ;   in Loop: Header=BB194_4 Depth=1
	ds_load_b128 v[3:6], v177
	s_wait_dscnt 0x0
	ds_store_b128 v176, v[3:6]
	s_wait_alu 0xfffe
	s_or_b32 exec_lo, exec_lo, s34
	s_and_saveexec_b32 s34, s10
	s_cbranch_execnz .LBB194_30
	s_branch .LBB194_31
.LBB194_84:                             ;   in Loop: Header=BB194_4 Depth=1
	ds_load_b128 v[11:14], v173
	s_wait_dscnt 0x0
	ds_store_b128 v183, v[11:14]
	s_wait_alu 0xfffe
	s_or_b32 exec_lo, exec_lo, s34
	s_and_saveexec_b32 s34, s8
	s_cbranch_execz .LBB194_49
.LBB194_85:                             ;   in Loop: Header=BB194_4 Depth=1
	ds_load_b128 v[11:14], v175
	s_wait_dscnt 0x0
	ds_store_b128 v184, v[11:14]
	s_wait_alu 0xfffe
	s_or_b32 exec_lo, exec_lo, s34
	s_and_saveexec_b32 s34, s9
	s_cbranch_execz .LBB194_50
.LBB194_86:                             ;   in Loop: Header=BB194_4 Depth=1
	ds_load_b128 v[11:14], v177
	s_wait_dscnt 0x0
	ds_store_b128 v185, v[11:14]
	s_wait_alu 0xfffe
	s_or_b32 exec_lo, exec_lo, s34
	s_and_saveexec_b32 s34, s10
	s_cbranch_execnz .LBB194_51
	s_branch .LBB194_52
.LBB194_87:                             ;   in Loop: Header=BB194_4 Depth=1
	flat_load_b128 v[11:14], v[5:6]
	s_wait_loadcnt_dscnt 0x0
	ds_store_2addr_b64 v168, v[11:12], v[13:14] offset1:1
	s_or_b32 exec_lo, exec_lo, s34
	s_and_saveexec_b32 s34, s4
	s_wait_alu 0xfffe
	s_xor_b32 s34, exec_lo, s34
	s_cbranch_execz .LBB194_19
.LBB194_88:                             ;   in Loop: Header=BB194_4 Depth=1
	v_dual_mov_b32 v1, v2 :: v_dual_mov_b32 v4, v2
	v_mov_b32_e32 v3, v2
	ds_store_b128 v169, v[1:4]
	s_wait_alu 0xfffe
	s_and_not1_saveexec_b32 s34, s34
	s_cbranch_execz .LBB194_20
.LBB194_89:                             ;   in Loop: Header=BB194_4 Depth=1
	v_add_co_u32 v0, vcc_lo, v5, s42
	s_wait_alu 0xfffd
	v_add_co_ci_u32_e64 v1, null, s43, v6, vcc_lo
	flat_load_b128 v[11:14], v[0:1]
	s_wait_loadcnt_dscnt 0x0
	ds_store_2addr_b64 v169, v[11:12], v[13:14] offset1:1
	s_wait_alu 0xfffe
	s_or_b32 exec_lo, exec_lo, s34
	s_and_saveexec_b32 s34, s5
	s_wait_alu 0xfffe
	s_xor_b32 s34, exec_lo, s34
	s_cbranch_execz .LBB194_21
.LBB194_90:                             ;   in Loop: Header=BB194_4 Depth=1
	v_dual_mov_b32 v1, v2 :: v_dual_mov_b32 v4, v2
	v_mov_b32_e32 v3, v2
	ds_store_b128 v170, v[1:4]
	s_wait_alu 0xfffe
	s_and_not1_saveexec_b32 s34, s34
	s_cbranch_execz .LBB194_22
.LBB194_91:                             ;   in Loop: Header=BB194_4 Depth=1
	v_add_co_u32 v0, vcc_lo, v5, s44
	s_wait_alu 0xfffd
	v_add_co_ci_u32_e64 v1, null, s45, v6, vcc_lo
	flat_load_b128 v[11:14], v[0:1]
	s_wait_loadcnt_dscnt 0x0
	ds_store_2addr_b64 v170, v[11:12], v[13:14] offset1:1
	s_wait_alu 0xfffe
	s_or_b32 exec_lo, exec_lo, s34
	s_and_saveexec_b32 s34, s6
	s_wait_alu 0xfffe
	s_xor_b32 s34, exec_lo, s34
	s_cbranch_execz .LBB194_23
.LBB194_92:                             ;   in Loop: Header=BB194_4 Depth=1
	v_dual_mov_b32 v1, v2 :: v_dual_mov_b32 v4, v2
	v_mov_b32_e32 v3, v2
	ds_store_b128 v171, v[1:4]
	s_wait_alu 0xfffe
	s_and_not1_saveexec_b32 s34, s34
	s_cbranch_execnz .LBB194_24
	s_branch .LBB194_25
.LBB194_93:                             ;   in Loop: Header=BB194_4 Depth=1
	flat_load_b128 v[13:16], v[11:12]
	s_wait_loadcnt_dscnt 0x0
	ds_store_2addr_b64 v168, v[13:14], v[15:16] offset1:1
	s_or_b32 exec_lo, exec_lo, s34
	s_and_saveexec_b32 s34, s14
	s_wait_alu 0xfffe
	s_xor_b32 s34, exec_lo, s34
	s_cbranch_execz .LBB194_40
.LBB194_94:                             ;   in Loop: Header=BB194_4 Depth=1
	v_dual_mov_b32 v1, v2 :: v_dual_mov_b32 v4, v2
	v_mov_b32_e32 v3, v2
	ds_store_b128 v169, v[1:4]
	s_wait_alu 0xfffe
	s_and_not1_saveexec_b32 s34, s34
	s_cbranch_execz .LBB194_41
.LBB194_95:                             ;   in Loop: Header=BB194_4 Depth=1
	v_add_co_u32 v0, vcc_lo, v11, s42
	s_wait_alu 0xfffd
	v_add_co_ci_u32_e64 v1, null, s43, v12, vcc_lo
	flat_load_b128 v[13:16], v[0:1]
	s_wait_loadcnt_dscnt 0x0
	ds_store_2addr_b64 v169, v[13:14], v[15:16] offset1:1
	s_wait_alu 0xfffe
	s_or_b32 exec_lo, exec_lo, s34
	s_and_saveexec_b32 s34, s15
	s_wait_alu 0xfffe
	s_xor_b32 s34, exec_lo, s34
	s_cbranch_execz .LBB194_42
.LBB194_96:                             ;   in Loop: Header=BB194_4 Depth=1
	v_dual_mov_b32 v1, v2 :: v_dual_mov_b32 v4, v2
	v_mov_b32_e32 v3, v2
	ds_store_b128 v170, v[1:4]
	s_wait_alu 0xfffe
	s_and_not1_saveexec_b32 s34, s34
	s_cbranch_execz .LBB194_43
.LBB194_97:                             ;   in Loop: Header=BB194_4 Depth=1
	v_add_co_u32 v0, vcc_lo, v11, s44
	s_wait_alu 0xfffd
	v_add_co_ci_u32_e64 v1, null, s45, v12, vcc_lo
	flat_load_b128 v[13:16], v[0:1]
	s_wait_loadcnt_dscnt 0x0
	ds_store_2addr_b64 v170, v[13:14], v[15:16] offset1:1
	s_wait_alu 0xfffe
	s_or_b32 exec_lo, exec_lo, s34
	s_and_saveexec_b32 s34, s16
	s_wait_alu 0xfffe
	s_xor_b32 s34, exec_lo, s34
	s_cbranch_execz .LBB194_44
.LBB194_98:                             ;   in Loop: Header=BB194_4 Depth=1
	v_dual_mov_b32 v1, v2 :: v_dual_mov_b32 v4, v2
	v_mov_b32_e32 v3, v2
	ds_store_b128 v171, v[1:4]
	s_wait_alu 0xfffe
	s_and_not1_saveexec_b32 s34, s34
	s_cbranch_execnz .LBB194_45
	s_branch .LBB194_46
.LBB194_99:                             ;   in Loop: Header=BB194_4 Depth=1
	flat_load_b128 v[11:14], v[9:10]
	s_wait_loadcnt_dscnt 0x0
	ds_store_2addr_b64 v168, v[11:12], v[13:14] offset1:1
	s_or_b32 exec_lo, exec_lo, s34
	s_and_saveexec_b32 s34, s4
	s_wait_alu 0xfffe
	s_xor_b32 s34, exec_lo, s34
	s_cbranch_execz .LBB194_61
.LBB194_100:                            ;   in Loop: Header=BB194_4 Depth=1
	v_dual_mov_b32 v1, v2 :: v_dual_mov_b32 v4, v2
	v_mov_b32_e32 v3, v2
	ds_store_b128 v169, v[1:4]
	s_wait_alu 0xfffe
	s_and_not1_saveexec_b32 s34, s34
	s_cbranch_execz .LBB194_62
.LBB194_101:                            ;   in Loop: Header=BB194_4 Depth=1
	v_add_co_u32 v0, vcc_lo, v9, s42
	s_wait_alu 0xfffd
	v_add_co_ci_u32_e64 v1, null, s43, v10, vcc_lo
	flat_load_b128 v[11:14], v[0:1]
	s_wait_loadcnt_dscnt 0x0
	ds_store_2addr_b64 v169, v[11:12], v[13:14] offset1:1
	s_wait_alu 0xfffe
	s_or_b32 exec_lo, exec_lo, s34
	s_and_saveexec_b32 s34, s5
	s_wait_alu 0xfffe
	s_xor_b32 s34, exec_lo, s34
	s_cbranch_execz .LBB194_63
.LBB194_102:                            ;   in Loop: Header=BB194_4 Depth=1
	v_dual_mov_b32 v1, v2 :: v_dual_mov_b32 v4, v2
	v_mov_b32_e32 v3, v2
	ds_store_b128 v170, v[1:4]
	s_wait_alu 0xfffe
	s_and_not1_saveexec_b32 s34, s34
	s_cbranch_execz .LBB194_64
.LBB194_103:                            ;   in Loop: Header=BB194_4 Depth=1
	v_add_co_u32 v0, vcc_lo, v9, s44
	s_wait_alu 0xfffd
	v_add_co_ci_u32_e64 v1, null, s45, v10, vcc_lo
	flat_load_b128 v[11:14], v[0:1]
	s_wait_loadcnt_dscnt 0x0
	ds_store_2addr_b64 v170, v[11:12], v[13:14] offset1:1
	s_wait_alu 0xfffe
	s_or_b32 exec_lo, exec_lo, s34
	s_and_saveexec_b32 s34, s6
	s_wait_alu 0xfffe
	s_xor_b32 s34, exec_lo, s34
	s_cbranch_execz .LBB194_65
.LBB194_104:                            ;   in Loop: Header=BB194_4 Depth=1
	v_dual_mov_b32 v1, v2 :: v_dual_mov_b32 v4, v2
	v_mov_b32_e32 v3, v2
	ds_store_b128 v171, v[1:4]
	s_wait_alu 0xfffe
	s_and_not1_saveexec_b32 s34, s34
	s_cbranch_execnz .LBB194_66
	s_branch .LBB194_67
.LBB194_105:
	s_nop 0
	s_sendmsg sendmsg(MSG_DEALLOC_VGPRS)
	s_endpgm
	.section	.rodata,"a",@progbits
	.p2align	6, 0x0
	.amdhsa_kernel _ZL26rocblas_hemvn_kernel_lowerILb0ELi64ELi4ELi33ELi32ELi16El19rocblas_complex_numIdEPKPKS1_PS1_EviT6_lT7_lT5_lS8_lS9_lS7_lT8_i
		.amdhsa_group_segment_fixed_size 19200
		.amdhsa_private_segment_fixed_size 0
		.amdhsa_kernarg_size 392
		.amdhsa_user_sgpr_count 2
		.amdhsa_user_sgpr_dispatch_ptr 0
		.amdhsa_user_sgpr_queue_ptr 0
		.amdhsa_user_sgpr_kernarg_segment_ptr 1
		.amdhsa_user_sgpr_dispatch_id 0
		.amdhsa_user_sgpr_private_segment_size 0
		.amdhsa_wavefront_size32 1
		.amdhsa_uses_dynamic_stack 0
		.amdhsa_enable_private_segment 0
		.amdhsa_system_sgpr_workgroup_id_x 1
		.amdhsa_system_sgpr_workgroup_id_y 0
		.amdhsa_system_sgpr_workgroup_id_z 1
		.amdhsa_system_sgpr_workgroup_info 0
		.amdhsa_system_vgpr_workitem_id 1
		.amdhsa_next_free_vgpr 249
		.amdhsa_next_free_sgpr 76
		.amdhsa_reserve_vcc 1
		.amdhsa_float_round_mode_32 0
		.amdhsa_float_round_mode_16_64 0
		.amdhsa_float_denorm_mode_32 3
		.amdhsa_float_denorm_mode_16_64 3
		.amdhsa_fp16_overflow 0
		.amdhsa_workgroup_processor_mode 1
		.amdhsa_memory_ordered 1
		.amdhsa_forward_progress 1
		.amdhsa_inst_pref_size 77
		.amdhsa_round_robin_scheduling 0
		.amdhsa_exception_fp_ieee_invalid_op 0
		.amdhsa_exception_fp_denorm_src 0
		.amdhsa_exception_fp_ieee_div_zero 0
		.amdhsa_exception_fp_ieee_overflow 0
		.amdhsa_exception_fp_ieee_underflow 0
		.amdhsa_exception_fp_ieee_inexact 0
		.amdhsa_exception_int_div_zero 0
	.end_amdhsa_kernel
	.section	.text._ZL26rocblas_hemvn_kernel_lowerILb0ELi64ELi4ELi33ELi32ELi16El19rocblas_complex_numIdEPKPKS1_PS1_EviT6_lT7_lT5_lS8_lS9_lS7_lT8_i,"axG",@progbits,_ZL26rocblas_hemvn_kernel_lowerILb0ELi64ELi4ELi33ELi32ELi16El19rocblas_complex_numIdEPKPKS1_PS1_EviT6_lT7_lT5_lS8_lS9_lS7_lT8_i,comdat
.Lfunc_end194:
	.size	_ZL26rocblas_hemvn_kernel_lowerILb0ELi64ELi4ELi33ELi32ELi16El19rocblas_complex_numIdEPKPKS1_PS1_EviT6_lT7_lT5_lS8_lS9_lS7_lT8_i, .Lfunc_end194-_ZL26rocblas_hemvn_kernel_lowerILb0ELi64ELi4ELi33ELi32ELi16El19rocblas_complex_numIdEPKPKS1_PS1_EviT6_lT7_lT5_lS8_lS9_lS7_lT8_i
                                        ; -- End function
	.set _ZL26rocblas_hemvn_kernel_lowerILb0ELi64ELi4ELi33ELi32ELi16El19rocblas_complex_numIdEPKPKS1_PS1_EviT6_lT7_lT5_lS8_lS9_lS7_lT8_i.num_vgpr, 249
	.set _ZL26rocblas_hemvn_kernel_lowerILb0ELi64ELi4ELi33ELi32ELi16El19rocblas_complex_numIdEPKPKS1_PS1_EviT6_lT7_lT5_lS8_lS9_lS7_lT8_i.num_agpr, 0
	.set _ZL26rocblas_hemvn_kernel_lowerILb0ELi64ELi4ELi33ELi32ELi16El19rocblas_complex_numIdEPKPKS1_PS1_EviT6_lT7_lT5_lS8_lS9_lS7_lT8_i.numbered_sgpr, 76
	.set _ZL26rocblas_hemvn_kernel_lowerILb0ELi64ELi4ELi33ELi32ELi16El19rocblas_complex_numIdEPKPKS1_PS1_EviT6_lT7_lT5_lS8_lS9_lS7_lT8_i.num_named_barrier, 0
	.set _ZL26rocblas_hemvn_kernel_lowerILb0ELi64ELi4ELi33ELi32ELi16El19rocblas_complex_numIdEPKPKS1_PS1_EviT6_lT7_lT5_lS8_lS9_lS7_lT8_i.private_seg_size, 0
	.set _ZL26rocblas_hemvn_kernel_lowerILb0ELi64ELi4ELi33ELi32ELi16El19rocblas_complex_numIdEPKPKS1_PS1_EviT6_lT7_lT5_lS8_lS9_lS7_lT8_i.uses_vcc, 1
	.set _ZL26rocblas_hemvn_kernel_lowerILb0ELi64ELi4ELi33ELi32ELi16El19rocblas_complex_numIdEPKPKS1_PS1_EviT6_lT7_lT5_lS8_lS9_lS7_lT8_i.uses_flat_scratch, 1
	.set _ZL26rocblas_hemvn_kernel_lowerILb0ELi64ELi4ELi33ELi32ELi16El19rocblas_complex_numIdEPKPKS1_PS1_EviT6_lT7_lT5_lS8_lS9_lS7_lT8_i.has_dyn_sized_stack, 0
	.set _ZL26rocblas_hemvn_kernel_lowerILb0ELi64ELi4ELi33ELi32ELi16El19rocblas_complex_numIdEPKPKS1_PS1_EviT6_lT7_lT5_lS8_lS9_lS7_lT8_i.has_recursion, 0
	.set _ZL26rocblas_hemvn_kernel_lowerILb0ELi64ELi4ELi33ELi32ELi16El19rocblas_complex_numIdEPKPKS1_PS1_EviT6_lT7_lT5_lS8_lS9_lS7_lT8_i.has_indirect_call, 0
	.section	.AMDGPU.csdata,"",@progbits
; Kernel info:
; codeLenInByte = 9804
; TotalNumSgprs: 78
; NumVgprs: 249
; ScratchSize: 0
; MemoryBound: 0
; FloatMode: 240
; IeeeMode: 1
; LDSByteSize: 19200 bytes/workgroup (compile time only)
; SGPRBlocks: 0
; VGPRBlocks: 31
; NumSGPRsForWavesPerEU: 78
; NumVGPRsForWavesPerEU: 249
; Occupancy: 5
; WaveLimiterHint : 1
; COMPUTE_PGM_RSRC2:SCRATCH_EN: 0
; COMPUTE_PGM_RSRC2:USER_SGPR: 2
; COMPUTE_PGM_RSRC2:TRAP_HANDLER: 0
; COMPUTE_PGM_RSRC2:TGID_X_EN: 1
; COMPUTE_PGM_RSRC2:TGID_Y_EN: 0
; COMPUTE_PGM_RSRC2:TGID_Z_EN: 1
; COMPUTE_PGM_RSRC2:TIDIG_COMP_CNT: 1
	.section	.text._ZL26rocblas_hemvn_kernel_lowerILb0ELi64ELi4ELi33ELi32ELi16Ei19rocblas_complex_numIdEPKPKS1_PS1_EviT6_lT7_lT5_lS8_lS9_lS7_lT8_i,"axG",@progbits,_ZL26rocblas_hemvn_kernel_lowerILb0ELi64ELi4ELi33ELi32ELi16Ei19rocblas_complex_numIdEPKPKS1_PS1_EviT6_lT7_lT5_lS8_lS9_lS7_lT8_i,comdat
	.globl	_ZL26rocblas_hemvn_kernel_lowerILb0ELi64ELi4ELi33ELi32ELi16Ei19rocblas_complex_numIdEPKPKS1_PS1_EviT6_lT7_lT5_lS8_lS9_lS7_lT8_i ; -- Begin function _ZL26rocblas_hemvn_kernel_lowerILb0ELi64ELi4ELi33ELi32ELi16Ei19rocblas_complex_numIdEPKPKS1_PS1_EviT6_lT7_lT5_lS8_lS9_lS7_lT8_i
	.p2align	8
	.type	_ZL26rocblas_hemvn_kernel_lowerILb0ELi64ELi4ELi33ELi32ELi16Ei19rocblas_complex_numIdEPKPKS1_PS1_EviT6_lT7_lT5_lS8_lS9_lS7_lT8_i,@function
_ZL26rocblas_hemvn_kernel_lowerILb0ELi64ELi4ELi33ELi32ELi16Ei19rocblas_complex_numIdEPKPKS1_PS1_EviT6_lT7_lT5_lS8_lS9_lS7_lT8_i: ; @_ZL26rocblas_hemvn_kernel_lowerILb0ELi64ELi4ELi33ELi32ELi16Ei19rocblas_complex_numIdEPKPKS1_PS1_EviT6_lT7_lT5_lS8_lS9_lS7_lT8_i
; %bb.0:
	s_clause 0x1
	s_load_b64 s[2:3], s[0:1], 0x94
	s_load_b32 s19, s[0:1], 0x80
	s_lshr_b32 s28, ttmp7, 16
	s_wait_kmcnt 0x0
	s_lshr_b32 s4, s2, 16
	s_and_b32 s2, s2, 0xffff
	s_and_b32 s3, s3, 0xffff
	s_mul_i32 s2, s4, s2
	s_delay_alu instid0(SALU_CYCLE_1) | instskip(NEXT) | instid1(SALU_CYCLE_1)
	s_mul_i32 s2, s2, s3
	s_cmp_lg_u32 s2, 0x100
	s_cselect_b32 s2, -1, 0
	s_cmp_ge_u32 s28, s19
	s_cselect_b32 s3, -1, 0
	s_delay_alu instid0(SALU_CYCLE_1) | instskip(NEXT) | instid1(SALU_CYCLE_1)
	s_or_b32 s2, s2, s3
	s_and_b32 vcc_lo, exec_lo, s2
	s_cbranch_vccnz .LBB195_105
; %bb.1:
	s_clause 0x7
	s_load_b128 s[8:11], s[0:1], 0x8
	s_load_b128 s[12:15], s[0:1], 0x60
	s_load_b32 s2, s[0:1], 0x0
	s_load_b64 s[4:5], s[0:1], 0x78
	s_load_b128 s[20:23], s[0:1], 0x20
	s_load_b32 s50, s[0:1], 0x30
	s_load_b128 s[24:27], s[0:1], 0x40
	s_load_b32 s18, s[0:1], 0x50
	s_add_nc_u64 s[0:1], s[0:1], 0x88
	v_bfe_u32 v4, v0, 10, 10
	s_load_b32 s6, s[0:1], 0x0
	v_dual_mov_b32 v1, 0 :: v_dual_and_b32 v166, 0x3ff, v0
	s_mov_b32 s29, 0
	s_delay_alu instid0(VALU_DEP_2)
	v_lshlrev_b32_e32 v17, 6, v4
	s_mov_b32 s7, s29
	v_and_b32_e32 v2, 31, v0
	s_lshl_b32 s52, ttmp9, 6
	v_lshlrev_b32_e32 v167, 4, v166
	v_add_nc_u32_e32 v18, v17, v166
	v_add_nc_u32_e32 v3, s52, v166
	s_wait_kmcnt 0x0
	v_cmp_eq_f64_e64 s9, s[8:9], 0
	v_cmp_eq_f64_e64 s10, s[10:11], 0
	v_cmp_neq_f64_e64 s11, s[12:13], 1.0
	v_cmp_neq_f64_e64 s12, s[14:15], 0
	v_lshrrev_b32_e32 v12, 5, v18
	s_ashr_i32 s3, s2, 31
	v_lshlrev_b32_e32 v11, 4, v2
	s_lshr_b32 s13, s3, 26
	s_ashr_i32 s51, s50, 31
	v_lshlrev_b32_e32 v16, 2, v12
	s_mul_u64 s[34:35], s[6:7], s[2:3]
	s_wait_alu 0xfffe
	s_add_co_i32 s3, s2, s13
	s_add_co_i32 s1, s6, -1
	s_and_not1_b32 s3, s3, 63
	s_mul_i32 s8, s2, ttmp9
	s_sub_co_i32 s2, s2, s3
	v_or_b32_e32 v21, 1, v16
	v_mad_u32_u24 v169, 0x210, v12, v11
	v_lshl_or_b32 v19, v2, 9, v11
	v_mad_u32_u24 v174, 0x840, v12, v11
	v_lshlrev_b32_e32 v20, 6, v12
	v_mad_u32_u24 v176, 0x210, v21, v11
	v_or_b32_e32 v11, 3, v16
	v_mad_co_u64_u32 v[7:8], null, s50, v12, v[2:3]
	s_delay_alu instid0(VALU_DEP_4)
	v_add_nc_u32_e32 v173, v19, v20
	v_or_b32_e32 v19, 2, v16
	v_mul_lo_u32 v5, s18, v3
	v_add_nc_u32_e32 v13, 8, v12
	v_add_nc_u32_e32 v14, 16, v12
	v_add_nc_u32_e32 v15, 24, v12
	s_mul_i32 s44, s18, s52
	v_ashrrev_i32_e32 v8, 31, v7
	v_and_b32_e32 v22, 15, v0
	v_and_b32_e32 v0, 48, v0
	v_sub_co_u32 v9, s3, 0, v2
	v_cmp_eq_u32_e64 s0, 0, v4
	v_ashrrev_i32_e32 v6, 31, v5
	s_and_b32 s33, s9, s10
	v_cmp_lt_u32_e64 s10, v11, v2
	s_or_b32 s68, s11, s12
	s_cmp_eq_u32 ttmp9, s1
	v_or_b32_e32 v11, 32, v2
	s_cselect_b32 s36, s2, 0
	v_sub_co_ci_u32_e64 v10, null, 0, 0, s3
	s_cmp_eq_u32 s36, 0
	v_cmp_gt_i32_e64 s12, s36, v11
	s_cselect_b32 s69, -1, 0
	s_cmp_lg_u32 s36, 0
	v_mul_lo_u32 v11, v4, s50
	s_cselect_b32 s2, -1, 0
	s_wait_alu 0xfffe
	s_ashr_i32 s9, s8, 31
	v_cmp_le_i32_e32 vcc_lo, s36, v166
	s_wait_alu 0xfffe
	s_lshl_b64 s[6:7], s[8:9], 4
	v_cmp_lt_u32_e64 s9, v19, v2
	s_add_nc_u64 s[42:43], s[4:5], s[6:7]
	v_cmp_lt_u32_e64 s7, v16, v2
	v_mul_u32_u24_e32 v16, 33, v2
	v_lshlrev_b32_e32 v19, 4, v12
	v_cmp_lt_u32_e64 s8, v21, v2
	v_lshrrev_b32_e32 v21, 4, v18
	v_lshl_add_u32 v11, v11, 2, v166
	v_lshlrev_b32_e32 v179, 4, v16
	s_sub_co_i32 s16, s36, 32
	s_ashr_i32 s45, s44, 31
	v_lshlrev_b32_e32 v23, 6, v21
	s_and_b32 s2, s2, vcc_lo
	v_add_nc_u32_e32 v183, v179, v19
	v_cmp_le_i32_e64 s4, s36, v13
	v_cmp_le_i32_e64 s6, s36, v15
	;; [unrolled: 1-line block ×6, first 2 shown]
	s_sub_nc_u64 s[60:61], 0, s[44:45]
	v_sub_co_u32 v13, vcc_lo, 0, v7
	v_sub_co_u32 v15, s44, 0, v166
	v_cmp_le_i32_e64 s3, s36, v12
	v_cmp_le_i32_e64 s5, s36, v14
	v_add_nc_u32_e32 v182, 0x4700, v20
	v_add_nc_u32_e32 v184, v179, v20
	v_cmp_eq_u32_e64 s17, 1, v12
	v_mul_i32_i24_e32 v20, 0xffffffd0, v12
	v_mad_u32_u24 v188, v12, 48, v183
	v_sub_co_ci_u32_e64 v14, null, 0, v8, vcc_lo
	v_ashrrev_i32_e32 v12, 31, v11
	v_sub_co_ci_u32_e64 v16, null, 0, 0, s44
	v_mad_u32_u24 v191, 0x10c0, v4, v167
	v_mad_u32_u24 v195, 0x430, v4, v167
	v_ashrrev_i32_e32 v4, 31, v3
	s_mul_i32 s54, s50, s52
	s_mul_i32 s30, s50, 24
	s_lshl_b32 s38, s50, 3
	s_lshl_b32 s40, s50, 4
	;; [unrolled: 1-line block ×3, first 2 shown]
	v_add_nc_u32_e32 v190, 0x4300, v17
	v_lshlrev_b32_e32 v0, 4, v0
	v_or_b32_e32 v17, 0xf0, v167
	v_mad_u32_u24 v192, 0x430, v22, v23
	v_mul_i32_i24_e32 v21, 0xffffffd0, v21
	s_ashr_i32 s53, s52, 31
	s_ashr_i32 s55, s54, 31
	;; [unrolled: 1-line block ×7, first 2 shown]
	s_wait_alu 0xfffe
	s_xor_b32 s46, s2, -1
	s_cmp_gt_i32 ttmp9, 0
	v_lshlrev_b64_e32 v[152:153], 4, v[5:6]
	v_lshlrev_b64_e32 v[154:155], 4, v[7:8]
	;; [unrolled: 1-line block ×7, first 2 shown]
	v_add_nc_u32_e32 v168, 0x4700, v167
	v_add_nc_u32_e32 v170, 0x1080, v169
	v_add_nc_u32_e32 v171, 0x2100, v169
	v_add_nc_u32_e32 v172, 0x3180, v169
	v_cmp_gt_i32_e64 s1, s36, v2
	v_add_nc_u32_e32 v175, 16, v173
	v_add_nc_u32_e32 v177, 32, v173
	v_add_nc_u32_e32 v178, 0x210, v176
	v_add_nc_u32_e32 v180, 48, v173
	v_add_nc_u32_e32 v181, 0x420, v176
	v_cmp_gt_u32_e64 s11, 32, v18
	v_add_nc_u32_e32 v185, 16, v184
	v_add_nc_u32_e32 v186, 32, v184
	;; [unrolled: 1-line block ×3, first 2 shown]
	s_cselect_b32 s70, -1, 0
	s_lshl_b32 s71, s18, 6
	v_add_nc_u32_e32 v189, 0x4300, v167
	v_cmp_gt_u32_e64 s18, 64, v18
	v_mad_u32_u24 v193, 0x430, v22, v0
	v_mad_u32_u24 v194, 0x430, v22, v17
	v_add_nc_u32_e32 v196, 0x4700, v19
	v_add_nc_u32_e32 v197, v182, v20
	;; [unrolled: 1-line block ×3, first 2 shown]
	v_lshlrev_b32_e32 v199, 4, v2
	s_sub_nc_u64 s[58:59], 0, s[56:57]
	s_sub_nc_u64 s[62:63], 0, s[54:55]
	s_and_b32 s72, s0, s46
	s_lshl_b64 s[44:45], s[50:51], 7
	s_sub_nc_u64 s[46:47], 0, s[36:37]
	s_lshl_b64 s[48:49], s[50:51], 4
	s_mul_u64 s[50:51], s[50:51], 0xd0
	s_lshl_b64 s[26:27], s[26:27], 4
	s_lshl_b64 s[22:23], s[22:23], 4
	;; [unrolled: 1-line block ×8, first 2 shown]
	s_branch .LBB195_4
.LBB195_2:                              ;   in Loop: Header=BB195_4 Depth=1
	s_wait_alu 0xfffe
	s_or_b32 exec_lo, exec_lo, s66
.LBB195_3:                              ;   in Loop: Header=BB195_4 Depth=1
	s_add_co_i32 s28, s28, 0x10000
	s_delay_alu instid0(SALU_CYCLE_1)
	s_cmp_lt_u32 s28, s19
	s_cbranch_scc0 .LBB195_105
.LBB195_4:                              ; =>This Loop Header: Depth=1
                                        ;     Child Loop BB195_75 Depth 2
	s_and_not1_b32 vcc_lo, exec_lo, s33
	s_mov_b32 s64, -1
	s_wait_alu 0xfffe
	s_cbranch_vccz .LBB195_6
; %bb.5:                                ;   in Loop: Header=BB195_4 Depth=1
	s_and_not1_b32 vcc_lo, exec_lo, s64
	s_wait_alu 0xfffe
	s_cbranch_vccnz .LBB195_3
	s_branch .LBB195_7
.LBB195_6:                              ;   in Loop: Header=BB195_4 Depth=1
	s_and_b32 vcc_lo, exec_lo, s68
	s_cbranch_execnz .LBB195_3
.LBB195_7:                              ;   in Loop: Header=BB195_4 Depth=1
	s_lshl_b64 s[64:65], s[28:29], 3
	s_wait_alu 0xfffe
	s_add_nc_u64 s[66:67], s[24:25], s[64:65]
	s_add_nc_u64 s[64:65], s[20:21], s[64:65]
	s_clause 0x1
	global_load_b64 v[2:3], v1, s[66:67]
	global_load_b64 v[4:5], v1, s[64:65]
	s_wait_loadcnt 0x1
	v_add_co_u32 v0, vcc_lo, v2, s26
	s_wait_alu 0xfffd
	v_add_co_ci_u32_e64 v2, null, s27, v3, vcc_lo
	s_delay_alu instid0(VALU_DEP_2) | instskip(SKIP_1) | instid1(VALU_DEP_2)
	v_add_co_u32 v40, vcc_lo, v0, v152
	s_wait_alu 0xfffd
	v_add_co_ci_u32_e64 v41, null, v2, v153, vcc_lo
	s_and_saveexec_b32 s64, s0
	s_cbranch_execz .LBB195_12
; %bb.8:                                ;   in Loop: Header=BB195_4 Depth=1
	s_and_saveexec_b32 s65, s2
	s_wait_alu 0xfffe
	s_xor_b32 s65, exec_lo, s65
; %bb.9:                                ;   in Loop: Header=BB195_4 Depth=1
	v_dual_mov_b32 v0, v1 :: v_dual_mov_b32 v3, v1
	v_mov_b32_e32 v2, v1
	ds_store_b128 v168, v[0:3]
; %bb.10:                               ;   in Loop: Header=BB195_4 Depth=1
	s_wait_alu 0xfffe
	s_and_not1_saveexec_b32 s65, s65
	s_cbranch_execz .LBB195_12
; %bb.11:                               ;   in Loop: Header=BB195_4 Depth=1
	flat_load_b128 v[6:9], v[40:41]
	s_wait_loadcnt_dscnt 0x0
	ds_store_2addr_b64 v168, v[6:7], v[8:9] offset1:1
.LBB195_12:                             ;   in Loop: Header=BB195_4 Depth=1
	s_wait_alu 0xfffe
	s_or_b32 exec_lo, exec_lo, s64
	s_wait_loadcnt 0x0
	v_add_co_u32 v0, vcc_lo, v4, s22
	s_wait_alu 0xfffd
	v_add_co_ci_u32_e64 v2, null, s23, v5, vcc_lo
	s_mov_b32 s64, -1
	v_add_co_u32 v0, vcc_lo, v0, s52
	s_wait_alu 0xfffd
	v_add_co_ci_u32_e64 v2, null, s53, v2, vcc_lo
	s_delay_alu instid0(VALU_DEP_2) | instskip(SKIP_1) | instid1(VALU_DEP_2)
	v_add_co_u32 v0, vcc_lo, v0, v154
	s_wait_alu 0xfffd
	v_add_co_ci_u32_e64 v2, null, v2, v155, vcc_lo
	s_delay_alu instid0(VALU_DEP_2) | instskip(SKIP_1) | instid1(VALU_DEP_2)
	v_add_co_u32 v8, vcc_lo, v0, s54
	s_wait_alu 0xfffd
	v_add_co_ci_u32_e64 v9, null, s55, v2, vcc_lo
	s_and_not1_b32 vcc_lo, exec_lo, s69
	s_wait_alu 0xfffe
	s_cbranch_vccnz .LBB195_14
; %bb.13:                               ;   in Loop: Header=BB195_4 Depth=1
	flat_load_b128 v[2:5], v[8:9]
	s_lshl_b64 s[64:65], s[38:39], 4
	s_wait_alu 0xfffe
	v_add_co_u32 v6, vcc_lo, v8, s64
	s_wait_alu 0xfffd
	v_add_co_ci_u32_e64 v7, null, s65, v9, vcc_lo
	s_mov_b32 s64, 0
	s_wait_loadcnt_dscnt 0x0
	ds_store_2addr_b64 v169, v[2:3], v[4:5] offset1:1
	flat_load_b128 v[2:5], v[6:7]
	v_add_co_u32 v6, vcc_lo, v6, s44
	s_wait_alu 0xfffd
	v_add_co_ci_u32_e64 v7, null, s45, v7, vcc_lo
	s_wait_loadcnt_dscnt 0x0
	ds_store_2addr_b64 v170, v[2:3], v[4:5] offset1:1
	flat_load_b128 v[2:5], v[6:7]
	v_add_co_u32 v6, vcc_lo, v6, s44
	s_wait_alu 0xfffd
	v_add_co_ci_u32_e64 v7, null, s45, v7, vcc_lo
	s_wait_loadcnt_dscnt 0x0
	ds_store_2addr_b64 v171, v[2:3], v[4:5] offset1:1
	flat_load_b128 v[2:5], v[6:7]
	s_wait_loadcnt_dscnt 0x0
	ds_store_2addr_b64 v172, v[2:3], v[4:5] offset1:1
.LBB195_14:                             ;   in Loop: Header=BB195_4 Depth=1
	s_wait_alu 0xfffe
	s_and_not1_b32 vcc_lo, exec_lo, s64
	s_wait_alu 0xfffe
	s_cbranch_vccnz .LBB195_26
; %bb.15:                               ;   in Loop: Header=BB195_4 Depth=1
	s_and_saveexec_b32 s64, s3
	s_wait_alu 0xfffe
	s_xor_b32 s64, exec_lo, s64
; %bb.16:                               ;   in Loop: Header=BB195_4 Depth=1
	v_dual_mov_b32 v0, v1 :: v_dual_mov_b32 v3, v1
	v_mov_b32_e32 v2, v1
	ds_store_b128 v169, v[0:3]
; %bb.17:                               ;   in Loop: Header=BB195_4 Depth=1
	s_wait_alu 0xfffe
	s_or_saveexec_b32 s64, s64
	v_add_co_u32 v0, vcc_lo, v8, v156
	s_wait_alu 0xfffd
	v_add_co_ci_u32_e64 v2, null, v9, v157, vcc_lo
	s_lshl_b64 s[66:67], s[36:37], 4
	s_wait_alu 0xfffe
	v_add_co_u32 v0, vcc_lo, v0, s66
	s_wait_alu 0xfffd
	v_add_co_ci_u32_e64 v2, null, s67, v2, vcc_lo
	s_delay_alu instid0(VALU_DEP_2) | instskip(SKIP_1) | instid1(VALU_DEP_2)
	v_add_co_u32 v0, vcc_lo, v0, -16
	s_wait_alu 0xfffd
	v_add_co_ci_u32_e64 v2, null, -1, v2, vcc_lo
	s_delay_alu instid0(VALU_DEP_2) | instskip(NEXT) | instid1(VALU_DEP_2)
	v_cndmask_b32_e64 v4, v0, v8, s1
	v_cndmask_b32_e64 v5, v2, v9, s1
	s_xor_b32 exec_lo, exec_lo, s64
	s_cbranch_execnz .LBB195_87
; %bb.18:                               ;   in Loop: Header=BB195_4 Depth=1
	s_or_b32 exec_lo, exec_lo, s64
	s_and_saveexec_b32 s64, s4
	s_wait_alu 0xfffe
	s_xor_b32 s64, exec_lo, s64
	s_cbranch_execnz .LBB195_88
.LBB195_19:                             ;   in Loop: Header=BB195_4 Depth=1
	s_wait_alu 0xfffe
	s_and_not1_saveexec_b32 s64, s64
	s_cbranch_execnz .LBB195_89
.LBB195_20:                             ;   in Loop: Header=BB195_4 Depth=1
	s_wait_alu 0xfffe
	s_or_b32 exec_lo, exec_lo, s64
	s_and_saveexec_b32 s64, s5
	s_wait_alu 0xfffe
	s_xor_b32 s64, exec_lo, s64
	s_cbranch_execnz .LBB195_90
.LBB195_21:                             ;   in Loop: Header=BB195_4 Depth=1
	s_wait_alu 0xfffe
	s_and_not1_saveexec_b32 s64, s64
	s_cbranch_execnz .LBB195_91
.LBB195_22:                             ;   in Loop: Header=BB195_4 Depth=1
	s_wait_alu 0xfffe
	s_or_b32 exec_lo, exec_lo, s64
	s_and_saveexec_b32 s64, s6
	s_wait_alu 0xfffe
	s_xor_b32 s64, exec_lo, s64
	s_cbranch_execnz .LBB195_92
.LBB195_23:                             ;   in Loop: Header=BB195_4 Depth=1
	s_wait_alu 0xfffe
	s_and_not1_saveexec_b32 s64, s64
	s_cbranch_execz .LBB195_25
.LBB195_24:                             ;   in Loop: Header=BB195_4 Depth=1
	s_lshl_b64 s[66:67], s[30:31], 4
	s_wait_alu 0xfffe
	v_add_co_u32 v2, vcc_lo, v4, s66
	s_wait_alu 0xfffd
	v_add_co_ci_u32_e64 v3, null, s67, v5, vcc_lo
	flat_load_b128 v[10:13], v[2:3]
	s_wait_loadcnt_dscnt 0x0
	ds_store_2addr_b64 v172, v[10:11], v[12:13] offset1:1
.LBB195_25:                             ;   in Loop: Header=BB195_4 Depth=1
	s_wait_alu 0xfffe
	s_or_b32 exec_lo, exec_lo, s64
	v_add_co_u32 v0, vcc_lo, v4, v199
	s_wait_alu 0xfffd
	v_add_co_ci_u32_e64 v2, null, 0, v5, vcc_lo
	s_lshl_b64 s[64:65], s[46:47], 4
	s_wait_alu 0xfffe
	v_add_co_u32 v0, vcc_lo, v0, s64
	s_wait_alu 0xfffd
	v_add_co_ci_u32_e64 v2, null, s65, v2, vcc_lo
	s_delay_alu instid0(VALU_DEP_2) | instskip(SKIP_1) | instid1(VALU_DEP_2)
	v_add_co_u32 v0, vcc_lo, v0, 16
	s_wait_alu 0xfffd
	v_add_co_ci_u32_e64 v2, null, 0, v2, vcc_lo
	s_delay_alu instid0(VALU_DEP_2) | instskip(NEXT) | instid1(VALU_DEP_2)
	v_cndmask_b32_e64 v8, v0, v8, s1
	v_cndmask_b32_e64 v9, v2, v9, s1
.LBB195_26:                             ;   in Loop: Header=BB195_4 Depth=1
	s_wait_dscnt 0x0
	s_barrier_signal -1
	s_barrier_wait -1
	global_inv scope:SCOPE_SE
	s_and_saveexec_b32 s64, s7
	s_cbranch_execnz .LBB195_81
; %bb.27:                               ;   in Loop: Header=BB195_4 Depth=1
	s_wait_alu 0xfffe
	s_or_b32 exec_lo, exec_lo, s64
	s_and_saveexec_b32 s64, s8
	s_cbranch_execnz .LBB195_82
.LBB195_28:                             ;   in Loop: Header=BB195_4 Depth=1
	s_wait_alu 0xfffe
	s_or_b32 exec_lo, exec_lo, s64
	s_and_saveexec_b32 s64, s9
	s_cbranch_execnz .LBB195_83
.LBB195_29:                             ;   in Loop: Header=BB195_4 Depth=1
	s_wait_alu 0xfffe
	s_or_b32 exec_lo, exec_lo, s64
	s_and_saveexec_b32 s64, s10
	s_cbranch_execz .LBB195_31
.LBB195_30:                             ;   in Loop: Header=BB195_4 Depth=1
	ds_load_b128 v[2:5], v181
	s_wait_dscnt 0x0
	ds_store_b128 v180, v[2:5]
.LBB195_31:                             ;   in Loop: Header=BB195_4 Depth=1
	s_wait_alu 0xfffe
	s_or_b32 exec_lo, exec_lo, s64
	s_wait_loadcnt_dscnt 0x0
	s_barrier_signal -1
	s_barrier_wait -1
	global_inv scope:SCOPE_SE
	ds_load_b128 v[2:5], v174
	ds_load_b128 v[10:13], v182
	ds_load_b128 v[14:17], v182 offset:16
	ds_load_b128 v[18:21], v176
	s_wait_dscnt 0x2
	v_mul_f64_e32 v[6:7], v[12:13], v[4:5]
	v_mul_f64_e32 v[4:5], v[10:11], v[4:5]
	s_wait_dscnt 0x0
	v_mul_f64_e32 v[28:29], v[16:17], v[20:21]
	v_mul_f64_e32 v[30:31], v[14:15], v[20:21]
	s_delay_alu instid0(VALU_DEP_4) | instskip(NEXT) | instid1(VALU_DEP_4)
	v_fma_f64 v[6:7], v[10:11], v[2:3], -v[6:7]
	v_fma_f64 v[32:33], v[12:13], v[2:3], v[4:5]
	ds_load_b128 v[2:5], v178
	ds_load_b128 v[10:13], v182 offset:32
	ds_load_b128 v[20:23], v182 offset:48
	ds_load_b128 v[24:27], v181
	v_fma_f64 v[14:15], v[14:15], v[18:19], -v[28:29]
	v_fma_f64 v[16:17], v[16:17], v[18:19], v[30:31]
	s_wait_loadcnt_dscnt 0x0
	s_barrier_signal -1
	s_barrier_wait -1
	global_inv scope:SCOPE_SE
	v_mul_f64_e32 v[34:35], v[12:13], v[4:5]
	v_mul_f64_e32 v[4:5], v[10:11], v[4:5]
	;; [unrolled: 1-line block ×4, first 2 shown]
	v_add_f64_e32 v[6:7], 0, v[6:7]
	v_add_f64_e32 v[18:19], 0, v[32:33]
	v_fma_f64 v[10:11], v[10:11], v[2:3], -v[34:35]
	v_fma_f64 v[2:3], v[12:13], v[2:3], v[4:5]
	v_fma_f64 v[12:13], v[20:21], v[24:25], -v[28:29]
	v_add_f64_e32 v[4:5], v[6:7], v[14:15]
	v_add_f64_e32 v[6:7], v[18:19], v[16:17]
	v_fma_f64 v[14:15], v[22:23], v[24:25], v[26:27]
	s_delay_alu instid0(VALU_DEP_3) | instskip(NEXT) | instid1(VALU_DEP_3)
	v_add_f64_e32 v[4:5], v[4:5], v[10:11]
	v_add_f64_e32 v[2:3], v[6:7], v[2:3]
	v_mov_b32_e32 v6, 0
	v_mov_b32_e32 v7, 0
	s_delay_alu instid0(VALU_DEP_4) | instskip(NEXT) | instid1(VALU_DEP_4)
	v_add_f64_e32 v[10:11], v[4:5], v[12:13]
	v_add_f64_e32 v[12:13], v[2:3], v[14:15]
	v_mov_b32_e32 v4, 0
	v_mov_b32_e32 v5, 0
	ds_store_b128 v183, v[10:13]
	s_wait_loadcnt_dscnt 0x0
	s_barrier_signal -1
	s_barrier_wait -1
	global_inv scope:SCOPE_SE
	s_and_saveexec_b32 s64, s11
	s_cbranch_execz .LBB195_33
; %bb.32:                               ;   in Loop: Header=BB195_4 Depth=1
	ds_load_b128 v[2:5], v179
	ds_load_b128 v[10:13], v179 offset:16
	s_wait_dscnt 0x0
	v_add_f64_e32 v[6:7], v[10:11], v[2:3]
	v_add_f64_e32 v[14:15], v[12:13], v[4:5]
	ds_load_b128 v[2:5], v179 offset:32
	ds_load_b128 v[10:13], v179 offset:48
	s_wait_dscnt 0x1
	v_add_f64_e32 v[2:3], v[6:7], v[2:3]
	v_add_f64_e32 v[4:5], v[14:15], v[4:5]
	s_wait_dscnt 0x0
	s_delay_alu instid0(VALU_DEP_2) | instskip(NEXT) | instid1(VALU_DEP_2)
	v_add_f64_e32 v[6:7], v[2:3], v[10:11]
	v_add_f64_e32 v[14:15], v[4:5], v[12:13]
	ds_load_b128 v[2:5], v179 offset:64
	ds_load_b128 v[10:13], v179 offset:80
	s_wait_dscnt 0x1
	v_add_f64_e32 v[2:3], v[6:7], v[2:3]
	v_add_f64_e32 v[4:5], v[14:15], v[4:5]
	s_wait_dscnt 0x0
	s_delay_alu instid0(VALU_DEP_2) | instskip(NEXT) | instid1(VALU_DEP_2)
	;; [unrolled: 9-line block ×3, first 2 shown]
	v_add_f64_e32 v[4:5], v[2:3], v[10:11]
	v_add_f64_e32 v[6:7], v[6:7], v[12:13]
.LBB195_33:                             ;   in Loop: Header=BB195_4 Depth=1
	s_wait_alu 0xfffe
	s_or_b32 exec_lo, exec_lo, s64
	v_add_co_u32 v10, vcc_lo, v8, s56
	s_wait_alu 0xfffd
	v_add_co_ci_u32_e64 v11, null, s57, v9, vcc_lo
	s_mov_b32 s64, -1
	v_add_co_u32 v8, vcc_lo, 0x200, v10
	s_wait_alu 0xfffd
	v_add_co_ci_u32_e64 v9, null, 0, v11, vcc_lo
	s_and_not1_b32 vcc_lo, exec_lo, s69
	s_wait_loadcnt 0x0
	s_barrier_signal -1
	s_barrier_wait -1
	global_inv scope:SCOPE_SE
	s_wait_alu 0xfffe
	s_cbranch_vccnz .LBB195_35
; %bb.34:                               ;   in Loop: Header=BB195_4 Depth=1
	flat_load_b128 v[12:15], v[8:9]
	s_lshl_b64 s[64:65], s[38:39], 4
	s_wait_alu 0xfffe
	v_add_co_u32 v2, vcc_lo, v10, s64
	s_wait_alu 0xfffd
	v_add_co_ci_u32_e64 v3, null, s65, v11, vcc_lo
	s_mov_b32 s64, 0
	s_wait_loadcnt_dscnt 0x0
	ds_store_2addr_b64 v169, v[12:13], v[14:15] offset1:1
	flat_load_b128 v[12:15], v[2:3] offset:512
	v_add_co_u32 v2, vcc_lo, v2, s44
	s_wait_alu 0xfffd
	v_add_co_ci_u32_e64 v3, null, s45, v3, vcc_lo
	s_wait_loadcnt_dscnt 0x0
	ds_store_2addr_b64 v170, v[12:13], v[14:15] offset1:1
	flat_load_b128 v[12:15], v[2:3] offset:512
	v_add_co_u32 v2, vcc_lo, v2, s44
	s_wait_alu 0xfffd
	v_add_co_ci_u32_e64 v3, null, s45, v3, vcc_lo
	s_wait_loadcnt_dscnt 0x0
	ds_store_2addr_b64 v171, v[12:13], v[14:15] offset1:1
	flat_load_b128 v[12:15], v[2:3] offset:512
	s_wait_loadcnt_dscnt 0x0
	ds_store_2addr_b64 v172, v[12:13], v[14:15] offset1:1
.LBB195_35:                             ;   in Loop: Header=BB195_4 Depth=1
	s_wait_alu 0xfffe
	s_and_not1_b32 vcc_lo, exec_lo, s64
	s_wait_alu 0xfffe
	s_cbranch_vccnz .LBB195_47
; %bb.36:                               ;   in Loop: Header=BB195_4 Depth=1
	s_and_saveexec_b32 s64, s13
	s_wait_alu 0xfffe
	s_xor_b32 s64, exec_lo, s64
; %bb.37:                               ;   in Loop: Header=BB195_4 Depth=1
	v_dual_mov_b32 v0, v1 :: v_dual_mov_b32 v3, v1
	v_mov_b32_e32 v2, v1
	ds_store_b128 v169, v[0:3]
; %bb.38:                               ;   in Loop: Header=BB195_4 Depth=1
	s_wait_alu 0xfffe
	s_or_saveexec_b32 s64, s64
	v_add_co_u32 v0, vcc_lo, v10, v156
	s_wait_alu 0xfffd
	v_add_co_ci_u32_e64 v2, null, v11, v157, vcc_lo
	s_lshl_b64 s[66:67], s[36:37], 4
	s_wait_alu 0xfffe
	v_add_co_u32 v0, vcc_lo, v0, s66
	s_wait_alu 0xfffd
	v_add_co_ci_u32_e64 v2, null, s67, v2, vcc_lo
	s_delay_alu instid0(VALU_DEP_2) | instskip(SKIP_1) | instid1(VALU_DEP_2)
	v_add_co_u32 v0, vcc_lo, v0, -16
	s_wait_alu 0xfffd
	v_add_co_ci_u32_e64 v2, null, -1, v2, vcc_lo
	s_delay_alu instid0(VALU_DEP_2) | instskip(NEXT) | instid1(VALU_DEP_2)
	v_cndmask_b32_e64 v10, v0, v8, s12
	v_cndmask_b32_e64 v11, v2, v9, s12
	s_xor_b32 exec_lo, exec_lo, s64
	s_cbranch_execnz .LBB195_93
; %bb.39:                               ;   in Loop: Header=BB195_4 Depth=1
	s_or_b32 exec_lo, exec_lo, s64
	s_and_saveexec_b32 s64, s14
	s_wait_alu 0xfffe
	s_xor_b32 s64, exec_lo, s64
	s_cbranch_execnz .LBB195_94
.LBB195_40:                             ;   in Loop: Header=BB195_4 Depth=1
	s_wait_alu 0xfffe
	s_and_not1_saveexec_b32 s64, s64
	s_cbranch_execnz .LBB195_95
.LBB195_41:                             ;   in Loop: Header=BB195_4 Depth=1
	s_wait_alu 0xfffe
	s_or_b32 exec_lo, exec_lo, s64
	s_and_saveexec_b32 s64, s15
	s_wait_alu 0xfffe
	s_xor_b32 s64, exec_lo, s64
	s_cbranch_execnz .LBB195_96
.LBB195_42:                             ;   in Loop: Header=BB195_4 Depth=1
	s_wait_alu 0xfffe
	s_and_not1_saveexec_b32 s64, s64
	s_cbranch_execnz .LBB195_97
.LBB195_43:                             ;   in Loop: Header=BB195_4 Depth=1
	s_wait_alu 0xfffe
	s_or_b32 exec_lo, exec_lo, s64
	s_and_saveexec_b32 s64, s16
	s_wait_alu 0xfffe
	s_xor_b32 s64, exec_lo, s64
	s_cbranch_execnz .LBB195_98
.LBB195_44:                             ;   in Loop: Header=BB195_4 Depth=1
	s_wait_alu 0xfffe
	s_and_not1_saveexec_b32 s64, s64
	s_cbranch_execz .LBB195_46
.LBB195_45:                             ;   in Loop: Header=BB195_4 Depth=1
	s_lshl_b64 s[66:67], s[30:31], 4
	s_wait_alu 0xfffe
	v_add_co_u32 v2, vcc_lo, v10, s66
	s_wait_alu 0xfffd
	v_add_co_ci_u32_e64 v3, null, s67, v11, vcc_lo
	flat_load_b128 v[12:15], v[2:3]
	s_wait_loadcnt_dscnt 0x0
	ds_store_2addr_b64 v172, v[12:13], v[14:15] offset1:1
.LBB195_46:                             ;   in Loop: Header=BB195_4 Depth=1
	s_wait_alu 0xfffe
	s_or_b32 exec_lo, exec_lo, s64
	v_add_co_u32 v0, vcc_lo, v10, v199
	s_wait_alu 0xfffd
	v_add_co_ci_u32_e64 v2, null, 0, v11, vcc_lo
	s_lshl_b64 s[64:65], s[46:47], 4
	s_wait_alu 0xfffe
	v_add_co_u32 v0, vcc_lo, v0, s64
	s_wait_alu 0xfffd
	v_add_co_ci_u32_e64 v2, null, s65, v2, vcc_lo
	s_delay_alu instid0(VALU_DEP_2) | instskip(SKIP_1) | instid1(VALU_DEP_2)
	v_add_co_u32 v0, vcc_lo, 0x210, v0
	s_wait_alu 0xfffd
	v_add_co_ci_u32_e64 v2, null, 0, v2, vcc_lo
	s_delay_alu instid0(VALU_DEP_2) | instskip(NEXT) | instid1(VALU_DEP_2)
	v_cndmask_b32_e64 v8, v0, v8, s12
	v_cndmask_b32_e64 v9, v2, v9, s12
.LBB195_47:                             ;   in Loop: Header=BB195_4 Depth=1
	s_wait_loadcnt_dscnt 0x0
	s_barrier_signal -1
	s_barrier_wait -1
	global_inv scope:SCOPE_SE
	s_and_saveexec_b32 s64, s7
	s_cbranch_execnz .LBB195_84
; %bb.48:                               ;   in Loop: Header=BB195_4 Depth=1
	s_wait_alu 0xfffe
	s_or_b32 exec_lo, exec_lo, s64
	s_and_saveexec_b32 s64, s8
	s_cbranch_execnz .LBB195_85
.LBB195_49:                             ;   in Loop: Header=BB195_4 Depth=1
	s_wait_alu 0xfffe
	s_or_b32 exec_lo, exec_lo, s64
	s_and_saveexec_b32 s64, s9
	s_cbranch_execnz .LBB195_86
.LBB195_50:                             ;   in Loop: Header=BB195_4 Depth=1
	s_wait_alu 0xfffe
	s_or_b32 exec_lo, exec_lo, s64
	s_and_saveexec_b32 s64, s10
	s_cbranch_execz .LBB195_52
.LBB195_51:                             ;   in Loop: Header=BB195_4 Depth=1
	ds_load_b128 v[10:13], v181
	s_wait_dscnt 0x0
	ds_store_b128 v187, v[10:13]
.LBB195_52:                             ;   in Loop: Header=BB195_4 Depth=1
	s_wait_alu 0xfffe
	s_or_b32 exec_lo, exec_lo, s64
	s_wait_loadcnt_dscnt 0x0
	s_barrier_signal -1
	s_barrier_wait -1
	global_inv scope:SCOPE_SE
	ds_load_b128 v[10:13], v174
	ds_load_b128 v[14:17], v182 offset:512
	ds_load_b128 v[18:21], v182 offset:528
	ds_load_b128 v[22:25], v176
	s_wait_dscnt 0x2
	v_mul_f64_e32 v[2:3], v[16:17], v[12:13]
	v_mul_f64_e32 v[12:13], v[14:15], v[12:13]
	s_wait_dscnt 0x0
	v_mul_f64_e32 v[32:33], v[20:21], v[24:25]
	v_mul_f64_e32 v[34:35], v[18:19], v[24:25]
	s_delay_alu instid0(VALU_DEP_4) | instskip(NEXT) | instid1(VALU_DEP_4)
	v_fma_f64 v[2:3], v[14:15], v[10:11], -v[2:3]
	v_fma_f64 v[36:37], v[16:17], v[10:11], v[12:13]
	ds_load_b128 v[10:13], v178
	ds_load_b128 v[14:17], v182 offset:544
	ds_load_b128 v[24:27], v182 offset:560
	ds_load_b128 v[28:31], v181
	v_fma_f64 v[18:19], v[18:19], v[22:23], -v[32:33]
	v_fma_f64 v[20:21], v[20:21], v[22:23], v[34:35]
	s_wait_loadcnt_dscnt 0x0
	s_barrier_signal -1
	s_barrier_wait -1
	global_inv scope:SCOPE_SE
	v_mul_f64_e32 v[38:39], v[16:17], v[12:13]
	v_mul_f64_e32 v[12:13], v[14:15], v[12:13]
	;; [unrolled: 1-line block ×4, first 2 shown]
	v_add_f64_e32 v[2:3], 0, v[2:3]
	v_add_f64_e32 v[22:23], 0, v[36:37]
	v_fma_f64 v[14:15], v[14:15], v[10:11], -v[38:39]
	v_fma_f64 v[10:11], v[16:17], v[10:11], v[12:13]
	v_fma_f64 v[16:17], v[24:25], v[28:29], -v[32:33]
	v_add_f64_e32 v[2:3], v[2:3], v[18:19]
	v_add_f64_e32 v[12:13], v[22:23], v[20:21]
	v_fma_f64 v[18:19], v[26:27], v[28:29], v[30:31]
	s_delay_alu instid0(VALU_DEP_3) | instskip(NEXT) | instid1(VALU_DEP_3)
	v_add_f64_e32 v[2:3], v[2:3], v[14:15]
	v_add_f64_e32 v[12:13], v[12:13], v[10:11]
	s_delay_alu instid0(VALU_DEP_2) | instskip(NEXT) | instid1(VALU_DEP_2)
	v_add_f64_e32 v[10:11], v[2:3], v[16:17]
	v_add_f64_e32 v[12:13], v[12:13], v[18:19]
	ds_store_b128 v183, v[10:13]
	s_wait_loadcnt_dscnt 0x0
	s_barrier_signal -1
	s_barrier_wait -1
	global_inv scope:SCOPE_SE
	s_and_saveexec_b32 s64, s17
	s_cbranch_execz .LBB195_54
; %bb.53:                               ;   in Loop: Header=BB195_4 Depth=1
	ds_load_b128 v[2:5], v179
	ds_load_b128 v[10:13], v179 offset:16
	s_wait_dscnt 0x0
	v_add_f64_e32 v[6:7], v[10:11], v[2:3]
	v_add_f64_e32 v[14:15], v[12:13], v[4:5]
	ds_load_b128 v[2:5], v179 offset:32
	ds_load_b128 v[10:13], v179 offset:48
	s_wait_dscnt 0x1
	v_add_f64_e32 v[2:3], v[6:7], v[2:3]
	v_add_f64_e32 v[4:5], v[14:15], v[4:5]
	s_wait_dscnt 0x0
	s_delay_alu instid0(VALU_DEP_2) | instskip(NEXT) | instid1(VALU_DEP_2)
	v_add_f64_e32 v[6:7], v[2:3], v[10:11]
	v_add_f64_e32 v[14:15], v[4:5], v[12:13]
	ds_load_b128 v[2:5], v179 offset:64
	ds_load_b128 v[10:13], v179 offset:80
	s_wait_dscnt 0x1
	v_add_f64_e32 v[2:3], v[6:7], v[2:3]
	v_add_f64_e32 v[4:5], v[14:15], v[4:5]
	s_wait_dscnt 0x0
	s_delay_alu instid0(VALU_DEP_2) | instskip(NEXT) | instid1(VALU_DEP_2)
	;; [unrolled: 9-line block ×3, first 2 shown]
	v_add_f64_e32 v[4:5], v[2:3], v[10:11]
	v_add_f64_e32 v[6:7], v[6:7], v[12:13]
.LBB195_54:                             ;   in Loop: Header=BB195_4 Depth=1
	s_wait_alu 0xfffe
	s_or_b32 exec_lo, exec_lo, s64
	v_add_co_u32 v42, vcc_lo, v8, s58
	s_wait_alu 0xfffd
	v_add_co_ci_u32_e64 v43, null, s59, v9, vcc_lo
	s_and_not1_b32 vcc_lo, exec_lo, s69
	s_mov_b32 s64, -1
	s_wait_loadcnt 0x0
	s_barrier_signal -1
	s_barrier_wait -1
	global_inv scope:SCOPE_SE
	s_wait_alu 0xfffe
	s_cbranch_vccnz .LBB195_56
; %bb.55:                               ;   in Loop: Header=BB195_4 Depth=1
	flat_load_b128 v[8:11], v[42:43]
	s_lshl_b64 s[64:65], s[38:39], 4
	s_wait_alu 0xfffe
	v_add_co_u32 v2, vcc_lo, v42, s64
	s_wait_alu 0xfffd
	v_add_co_ci_u32_e64 v3, null, s65, v43, vcc_lo
	s_mov_b32 s64, 0
	s_wait_loadcnt_dscnt 0x0
	ds_store_2addr_b64 v169, v[8:9], v[10:11] offset1:1
	flat_load_b128 v[8:11], v[2:3]
	v_add_co_u32 v2, vcc_lo, v2, s44
	s_wait_alu 0xfffd
	v_add_co_ci_u32_e64 v3, null, s45, v3, vcc_lo
	s_wait_loadcnt_dscnt 0x0
	ds_store_2addr_b64 v170, v[8:9], v[10:11] offset1:1
	flat_load_b128 v[8:11], v[2:3]
	v_add_co_u32 v2, vcc_lo, v2, s44
	s_wait_alu 0xfffd
	v_add_co_ci_u32_e64 v3, null, s45, v3, vcc_lo
	s_wait_loadcnt_dscnt 0x0
	ds_store_2addr_b64 v171, v[8:9], v[10:11] offset1:1
	flat_load_b128 v[8:11], v[2:3]
	s_wait_loadcnt_dscnt 0x0
	ds_store_2addr_b64 v172, v[8:9], v[10:11] offset1:1
.LBB195_56:                             ;   in Loop: Header=BB195_4 Depth=1
	s_wait_alu 0xfffe
	s_and_not1_b32 vcc_lo, exec_lo, s64
	s_wait_alu 0xfffe
	s_cbranch_vccnz .LBB195_68
; %bb.57:                               ;   in Loop: Header=BB195_4 Depth=1
	s_and_saveexec_b32 s64, s3
	s_wait_alu 0xfffe
	s_xor_b32 s64, exec_lo, s64
; %bb.58:                               ;   in Loop: Header=BB195_4 Depth=1
	v_dual_mov_b32 v0, v1 :: v_dual_mov_b32 v3, v1
	v_mov_b32_e32 v2, v1
	ds_store_b128 v169, v[0:3]
; %bb.59:                               ;   in Loop: Header=BB195_4 Depth=1
	s_wait_alu 0xfffe
	s_or_saveexec_b32 s64, s64
	v_add_co_u32 v0, vcc_lo, v42, v156
	s_wait_alu 0xfffd
	v_add_co_ci_u32_e64 v2, null, v43, v157, vcc_lo
	s_lshl_b64 s[66:67], s[36:37], 4
	s_wait_alu 0xfffe
	v_add_co_u32 v0, vcc_lo, v0, s66
	s_wait_alu 0xfffd
	v_add_co_ci_u32_e64 v2, null, s67, v2, vcc_lo
	s_delay_alu instid0(VALU_DEP_2) | instskip(SKIP_1) | instid1(VALU_DEP_2)
	v_add_co_u32 v0, vcc_lo, 0xfffffdf0, v0
	s_wait_alu 0xfffd
	v_add_co_ci_u32_e64 v2, null, -1, v2, vcc_lo
	s_delay_alu instid0(VALU_DEP_2) | instskip(NEXT) | instid1(VALU_DEP_2)
	v_cndmask_b32_e64 v8, v0, v42, s12
	v_cndmask_b32_e64 v9, v2, v43, s12
	s_xor_b32 exec_lo, exec_lo, s64
	s_cbranch_execnz .LBB195_99
; %bb.60:                               ;   in Loop: Header=BB195_4 Depth=1
	s_or_b32 exec_lo, exec_lo, s64
	s_and_saveexec_b32 s64, s4
	s_wait_alu 0xfffe
	s_xor_b32 s64, exec_lo, s64
	s_cbranch_execnz .LBB195_100
.LBB195_61:                             ;   in Loop: Header=BB195_4 Depth=1
	s_wait_alu 0xfffe
	s_and_not1_saveexec_b32 s64, s64
	s_cbranch_execnz .LBB195_101
.LBB195_62:                             ;   in Loop: Header=BB195_4 Depth=1
	s_wait_alu 0xfffe
	s_or_b32 exec_lo, exec_lo, s64
	s_and_saveexec_b32 s64, s5
	s_wait_alu 0xfffe
	s_xor_b32 s64, exec_lo, s64
	s_cbranch_execnz .LBB195_102
.LBB195_63:                             ;   in Loop: Header=BB195_4 Depth=1
	s_wait_alu 0xfffe
	s_and_not1_saveexec_b32 s64, s64
	s_cbranch_execnz .LBB195_103
.LBB195_64:                             ;   in Loop: Header=BB195_4 Depth=1
	s_wait_alu 0xfffe
	s_or_b32 exec_lo, exec_lo, s64
	s_and_saveexec_b32 s64, s6
	s_wait_alu 0xfffe
	s_xor_b32 s64, exec_lo, s64
	s_cbranch_execnz .LBB195_104
.LBB195_65:                             ;   in Loop: Header=BB195_4 Depth=1
	s_wait_alu 0xfffe
	s_and_not1_saveexec_b32 s64, s64
	s_cbranch_execz .LBB195_67
.LBB195_66:                             ;   in Loop: Header=BB195_4 Depth=1
	s_lshl_b64 s[66:67], s[30:31], 4
	s_wait_alu 0xfffe
	v_add_co_u32 v2, vcc_lo, v8, s66
	s_wait_alu 0xfffd
	v_add_co_ci_u32_e64 v3, null, s67, v9, vcc_lo
	flat_load_b128 v[10:13], v[2:3]
	s_wait_loadcnt_dscnt 0x0
	ds_store_2addr_b64 v172, v[10:11], v[12:13] offset1:1
.LBB195_67:                             ;   in Loop: Header=BB195_4 Depth=1
	s_wait_alu 0xfffe
	s_or_b32 exec_lo, exec_lo, s64
	v_add_co_u32 v0, vcc_lo, v8, v199
	s_wait_alu 0xfffd
	v_add_co_ci_u32_e64 v2, null, 0, v9, vcc_lo
	s_lshl_b64 s[64:65], s[46:47], 4
	s_wait_alu 0xfffe
	v_add_co_u32 v0, vcc_lo, v0, s64
	s_wait_alu 0xfffd
	v_add_co_ci_u32_e64 v2, null, s65, v2, vcc_lo
	s_delay_alu instid0(VALU_DEP_2) | instskip(SKIP_1) | instid1(VALU_DEP_2)
	v_add_co_u32 v0, vcc_lo, 0x210, v0
	s_wait_alu 0xfffd
	v_add_co_ci_u32_e64 v2, null, 0, v2, vcc_lo
	s_delay_alu instid0(VALU_DEP_2) | instskip(NEXT) | instid1(VALU_DEP_2)
	v_cndmask_b32_e64 v42, v0, v42, s12
	v_cndmask_b32_e64 v43, v2, v43, s12
.LBB195_68:                             ;   in Loop: Header=BB195_4 Depth=1
	s_wait_loadcnt_dscnt 0x0
	s_barrier_signal -1
	s_barrier_wait -1
	global_inv scope:SCOPE_SE
	ds_load_b128 v[8:11], v197
	ds_load_b128 v[12:15], v169
	;; [unrolled: 1-line block ×3, first 2 shown]
	ds_load_b128 v[20:23], v196 offset:384
	ds_load_b128 v[24:27], v196 offset:128
	;; [unrolled: 1-line block ×3, first 2 shown]
	s_wait_dscnt 0x4
	v_mul_f64_e32 v[2:3], v[10:11], v[14:15]
	v_mul_f64_e32 v[14:15], v[8:9], v[14:15]
	s_wait_dscnt 0x1
	v_mul_f64_e32 v[32:33], v[26:27], v[18:19]
	v_mul_f64_e32 v[18:19], v[24:25], v[18:19]
	s_delay_alu instid0(VALU_DEP_4) | instskip(NEXT) | instid1(VALU_DEP_4)
	v_fma_f64 v[2:3], v[8:9], v[12:13], -v[2:3]
	v_fma_f64 v[34:35], v[10:11], v[12:13], v[14:15]
	ds_load_b128 v[8:11], v171
	ds_load_b128 v[12:15], v172
	v_fma_f64 v[24:25], v[24:25], v[16:17], -v[32:33]
	v_fma_f64 v[16:17], v[26:27], v[16:17], v[18:19]
	s_wait_dscnt 0x1
	v_mul_f64_e32 v[36:37], v[30:31], v[10:11]
	v_mul_f64_e32 v[10:11], v[28:29], v[10:11]
	s_wait_dscnt 0x0
	v_mul_f64_e32 v[26:27], v[22:23], v[14:15]
	v_mul_f64_e32 v[14:15], v[20:21], v[14:15]
	v_add_f64_e32 v[2:3], 0, v[2:3]
	v_add_f64_e32 v[18:19], 0, v[34:35]
	v_fma_f64 v[28:29], v[28:29], v[8:9], -v[36:37]
	v_fma_f64 v[8:9], v[30:31], v[8:9], v[10:11]
	s_delay_alu instid0(VALU_DEP_4) | instskip(NEXT) | instid1(VALU_DEP_4)
	v_add_f64_e32 v[2:3], v[2:3], v[24:25]
	v_add_f64_e32 v[10:11], v[18:19], v[16:17]
	v_fma_f64 v[16:17], v[20:21], v[12:13], -v[26:27]
	v_fma_f64 v[12:13], v[22:23], v[12:13], v[14:15]
	s_delay_alu instid0(VALU_DEP_4) | instskip(NEXT) | instid1(VALU_DEP_4)
	v_add_f64_e32 v[2:3], v[2:3], v[28:29]
	v_add_f64_e32 v[8:9], v[10:11], v[8:9]
	s_delay_alu instid0(VALU_DEP_2) | instskip(NEXT) | instid1(VALU_DEP_2)
	v_add_f64_e32 v[44:45], v[2:3], v[16:17]
	v_add_f64_e32 v[46:47], v[8:9], v[12:13]
	ds_load_b128 v[32:35], v188
	ds_load_b128 v[24:27], v188 offset:16
	ds_load_b128 v[12:15], v188 offset:32
	ds_load_b128 v[8:11], v188 offset:48
	ds_load_b128 v[36:39], v182 offset:512
	ds_load_b128 v[28:31], v182 offset:528
	ds_load_b128 v[20:23], v182 offset:544
	ds_load_b128 v[16:19], v182 offset:560
	s_wait_loadcnt_dscnt 0x0
	s_barrier_signal -1
	s_barrier_wait -1
	global_inv scope:SCOPE_SE
	ds_store_b128 v183, v[44:47]
	s_wait_loadcnt_dscnt 0x0
	s_barrier_signal -1
	s_barrier_wait -1
	global_inv scope:SCOPE_SE
	s_and_saveexec_b32 s64, s17
	s_cbranch_execz .LBB195_70
; %bb.69:                               ;   in Loop: Header=BB195_4 Depth=1
	ds_load_b128 v[44:47], v179
	ds_load_b128 v[48:51], v179 offset:16
	s_wait_dscnt 0x1
	v_add_f64_e32 v[2:3], v[4:5], v[44:45]
	v_add_f64_e32 v[4:5], v[6:7], v[46:47]
	s_wait_dscnt 0x0
	s_delay_alu instid0(VALU_DEP_2) | instskip(NEXT) | instid1(VALU_DEP_2)
	v_add_f64_e32 v[6:7], v[2:3], v[48:49]
	v_add_f64_e32 v[48:49], v[4:5], v[50:51]
	ds_load_b128 v[2:5], v179 offset:32
	ds_load_b128 v[44:47], v179 offset:48
	s_wait_dscnt 0x1
	v_add_f64_e32 v[2:3], v[6:7], v[2:3]
	v_add_f64_e32 v[4:5], v[48:49], v[4:5]
	s_wait_dscnt 0x0
	s_delay_alu instid0(VALU_DEP_2) | instskip(NEXT) | instid1(VALU_DEP_2)
	v_add_f64_e32 v[6:7], v[2:3], v[44:45]
	v_add_f64_e32 v[48:49], v[4:5], v[46:47]
	ds_load_b128 v[2:5], v179 offset:64
	;; [unrolled: 9-line block ×3, first 2 shown]
	ds_load_b128 v[44:47], v179 offset:112
	s_wait_dscnt 0x1
	v_add_f64_e32 v[2:3], v[6:7], v[2:3]
	v_add_f64_e32 v[6:7], v[48:49], v[4:5]
	s_wait_dscnt 0x0
	s_delay_alu instid0(VALU_DEP_2) | instskip(NEXT) | instid1(VALU_DEP_2)
	v_add_f64_e32 v[4:5], v[2:3], v[44:45]
	v_add_f64_e32 v[6:7], v[6:7], v[46:47]
.LBB195_70:                             ;   in Loop: Header=BB195_4 Depth=1
	s_wait_alu 0xfffe
	s_or_b32 exec_lo, exec_lo, s64
	v_mul_f64_e32 v[2:3], v[34:35], v[38:39]
	v_mul_f64_e32 v[38:39], v[32:33], v[38:39]
	;; [unrolled: 1-line block ×4, first 2 shown]
	s_wait_loadcnt 0x0
	s_barrier_signal -1
	s_barrier_wait -1
	global_inv scope:SCOPE_SE
	v_fma_f64 v[2:3], v[32:33], v[36:37], -v[2:3]
	v_fma_f64 v[32:33], v[34:35], v[36:37], v[38:39]
	v_mul_f64_e32 v[34:35], v[14:15], v[22:23]
	v_mul_f64_e32 v[22:23], v[12:13], v[22:23]
	v_fma_f64 v[24:25], v[24:25], v[28:29], -v[44:45]
	v_fma_f64 v[26:27], v[26:27], v[28:29], v[30:31]
	v_mul_f64_e32 v[30:31], v[10:11], v[18:19]
	v_mul_f64_e32 v[18:19], v[8:9], v[18:19]
	v_add_f64_e32 v[2:3], 0, v[2:3]
	v_add_f64_e32 v[28:29], 0, v[32:33]
	v_fma_f64 v[12:13], v[12:13], v[20:21], -v[34:35]
	v_fma_f64 v[14:15], v[14:15], v[20:21], v[22:23]
	v_fma_f64 v[8:9], v[8:9], v[16:17], -v[30:31]
	v_fma_f64 v[10:11], v[10:11], v[16:17], v[18:19]
	v_add_f64_e32 v[2:3], v[2:3], v[24:25]
	v_add_f64_e32 v[20:21], v[28:29], v[26:27]
	s_delay_alu instid0(VALU_DEP_2) | instskip(NEXT) | instid1(VALU_DEP_2)
	v_add_f64_e32 v[2:3], v[2:3], v[12:13]
	v_add_f64_e32 v[12:13], v[20:21], v[14:15]
	s_delay_alu instid0(VALU_DEP_2) | instskip(NEXT) | instid1(VALU_DEP_2)
	v_add_f64_e32 v[8:9], v[2:3], v[8:9]
	v_add_f64_e32 v[10:11], v[12:13], v[10:11]
	ds_store_b128 v183, v[8:11]
	s_wait_loadcnt_dscnt 0x0
	s_barrier_signal -1
	s_barrier_wait -1
	global_inv scope:SCOPE_SE
	s_and_saveexec_b32 s64, s11
	s_cbranch_execz .LBB195_72
; %bb.71:                               ;   in Loop: Header=BB195_4 Depth=1
	ds_load_b128 v[8:11], v179
	ds_load_b128 v[12:15], v179 offset:16
	s_wait_dscnt 0x1
	v_add_f64_e32 v[2:3], v[4:5], v[8:9]
	v_add_f64_e32 v[4:5], v[6:7], v[10:11]
	s_wait_dscnt 0x0
	s_delay_alu instid0(VALU_DEP_2) | instskip(NEXT) | instid1(VALU_DEP_2)
	v_add_f64_e32 v[10:11], v[2:3], v[12:13]
	v_add_f64_e32 v[12:13], v[4:5], v[14:15]
	ds_load_b128 v[2:5], v179 offset:32
	ds_load_b128 v[6:9], v179 offset:48
	s_wait_dscnt 0x1
	v_add_f64_e32 v[2:3], v[10:11], v[2:3]
	v_add_f64_e32 v[4:5], v[12:13], v[4:5]
	s_wait_dscnt 0x0
	s_delay_alu instid0(VALU_DEP_2) | instskip(NEXT) | instid1(VALU_DEP_2)
	v_add_f64_e32 v[10:11], v[2:3], v[6:7]
	v_add_f64_e32 v[12:13], v[4:5], v[8:9]
	ds_load_b128 v[2:5], v179 offset:64
	;; [unrolled: 9-line block ×3, first 2 shown]
	ds_load_b128 v[6:9], v179 offset:112
	s_wait_dscnt 0x1
	v_add_f64_e32 v[2:3], v[10:11], v[2:3]
	v_add_f64_e32 v[10:11], v[12:13], v[4:5]
	s_wait_dscnt 0x0
	s_delay_alu instid0(VALU_DEP_2) | instskip(NEXT) | instid1(VALU_DEP_2)
	v_add_f64_e32 v[4:5], v[2:3], v[6:7]
	v_add_f64_e32 v[6:7], v[10:11], v[8:9]
.LBB195_72:                             ;   in Loop: Header=BB195_4 Depth=1
	s_wait_alu 0xfffe
	s_or_b32 exec_lo, exec_lo, s64
	s_mul_u64 s[64:65], s[34:35], s[28:29]
	s_and_not1_b32 vcc_lo, exec_lo, s70
	s_wait_alu 0xfffe
	s_lshl_b64 s[64:65], s[64:65], 4
	s_wait_loadcnt 0x0
	s_wait_alu 0xfffe
	s_add_nc_u64 s[64:65], s[42:43], s[64:65]
	s_barrier_signal -1
	s_barrier_wait -1
	global_inv scope:SCOPE_SE
	s_cbranch_vccnz .LBB195_79
; %bb.73:                               ;   in Loop: Header=BB195_4 Depth=1
	v_add_co_u32 v0, vcc_lo, v42, s62
	s_wait_alu 0xfffd
	v_add_co_ci_u32_e64 v2, null, s63, v43, vcc_lo
	s_lshl_b64 s[66:67], s[36:37], 4
	v_add_co_u32 v0, vcc_lo, v0, v158
	s_wait_alu 0xfffd
	v_add_co_ci_u32_e64 v2, null, v2, v159, vcc_lo
	s_mov_b32 s73, ttmp9
	v_add_co_u32 v0, vcc_lo, v0, v160
	s_wait_alu 0xfffd
	v_add_co_ci_u32_e64 v2, null, v2, v161, vcc_lo
	s_delay_alu instid0(VALU_DEP_2) | instskip(SKIP_1) | instid1(VALU_DEP_2)
	v_add_co_u32 v3, vcc_lo, v0, v162
	s_wait_alu 0xfffd
	v_add_co_ci_u32_e64 v8, null, v2, v163, vcc_lo
	s_wait_alu 0xfffe
	s_delay_alu instid0(VALU_DEP_2) | instskip(SKIP_1) | instid1(VALU_DEP_2)
	v_add_co_u32 v3, vcc_lo, v3, s66
	s_wait_alu 0xfffd
	v_add_co_ci_u32_e64 v8, null, s67, v8, vcc_lo
	v_add_co_u32 v0, vcc_lo, 0xfffffe00, v0
	s_wait_alu 0xfffd
	v_add_co_ci_u32_e64 v2, null, -1, v2, vcc_lo
	v_add_co_u32 v9, vcc_lo, 0xfffffdf0, v3
	s_wait_alu 0xfffd
	v_add_co_ci_u32_e64 v3, null, -1, v8, vcc_lo
	v_add_co_u32 v200, vcc_lo, v40, s60
	s_wait_alu 0xfffd
	v_add_co_ci_u32_e64 v201, null, s61, v41, vcc_lo
	s_delay_alu instid0(VALU_DEP_3)
	v_cndmask_b32_e64 v3, v2, v3, s2
	v_cndmask_b32_e64 v2, v0, v9, s2
	v_mov_b32_e32 v0, v166
	s_mov_b32 s66, 0
	s_branch .LBB195_75
.LBB195_74:                             ;   in Loop: Header=BB195_75 Depth=2
	s_wait_alu 0xfffe
	s_or_b32 exec_lo, exec_lo, s67
	v_mul_f64_e32 v[88:89], v[18:19], v[26:27]
	v_mul_f64_e32 v[26:27], v[16:17], v[26:27]
	;; [unrolled: 1-line block ×4, first 2 shown]
	v_add_co_u32 v2, vcc_lo, v2, s50
	v_add_nc_u32_e32 v0, 64, v0
	s_wait_alu 0xfffd
	v_add_co_ci_u32_e64 v3, null, s51, v3, vcc_lo
	s_add_co_i32 s73, s73, -1
	s_add_co_i32 s66, s66, s71
	s_cmp_eq_u32 s73, 0
	s_wait_loadcnt 0x0
	s_wait_storecnt 0x0
	s_barrier_signal -1
	s_barrier_wait -1
	global_inv scope:SCOPE_SE
	v_fma_f64 v[16:17], v[16:17], v[24:25], -v[88:89]
	v_fma_f64 v[18:19], v[18:19], v[24:25], v[26:27]
	v_mul_f64_e32 v[24:25], v[14:15], v[38:39]
	v_mul_f64_e32 v[26:27], v[12:13], v[38:39]
	v_fma_f64 v[20:21], v[20:21], v[40:41], -v[90:91]
	v_fma_f64 v[22:23], v[22:23], v[40:41], v[42:43]
	v_add_f64_e32 v[4:5], v[4:5], v[16:17]
	v_add_f64_e32 v[6:7], v[6:7], v[18:19]
	v_mul_f64_e32 v[16:17], v[10:11], v[34:35]
	v_mul_f64_e32 v[18:19], v[8:9], v[34:35]
	v_fma_f64 v[12:13], v[12:13], v[36:37], -v[24:25]
	v_fma_f64 v[14:15], v[14:15], v[36:37], v[26:27]
	v_add_f64_e32 v[4:5], v[4:5], v[20:21]
	v_add_f64_e32 v[6:7], v[6:7], v[22:23]
	;; [unrolled: 6-line block ×14, first 2 shown]
	v_fma_f64 v[8:9], v[132:133], v[140:141], -v[8:9]
	v_fma_f64 v[10:11], v[134:135], v[140:141], v[10:11]
	s_delay_alu instid0(VALU_DEP_4) | instskip(NEXT) | instid1(VALU_DEP_4)
	v_add_f64_e32 v[4:5], v[4:5], v[12:13]
	v_add_f64_e32 v[6:7], v[6:7], v[14:15]
	s_delay_alu instid0(VALU_DEP_2) | instskip(NEXT) | instid1(VALU_DEP_2)
	v_add_f64_e32 v[4:5], v[4:5], v[8:9]
	v_add_f64_e32 v[6:7], v[6:7], v[10:11]
	s_cbranch_scc1 .LBB195_79
.LBB195_75:                             ;   Parent Loop BB195_4 Depth=1
                                        ; =>  This Inner Loop Header: Depth=2
	s_and_saveexec_b32 s74, s0
	s_cbranch_execz .LBB195_77
; %bb.76:                               ;   in Loop: Header=BB195_75 Depth=2
	s_wait_alu 0xfffe
	s_ashr_i32 s67, s66, 31
	s_wait_alu 0xfffe
	s_lshl_b64 s[76:77], s[66:67], 4
	s_wait_alu 0xfffe
	v_add_co_u32 v8, vcc_lo, v200, s76
	s_wait_alu 0xfffd
	v_add_co_ci_u32_e64 v9, null, s77, v201, vcc_lo
	flat_load_b128 v[8:11], v[8:9]
	s_wait_loadcnt_dscnt 0x0
	ds_store_2addr_b64 v189, v[8:9], v[10:11] offset1:1
.LBB195_77:                             ;   in Loop: Header=BB195_75 Depth=2
	s_or_b32 exec_lo, exec_lo, s74
	v_add_co_u32 v8, vcc_lo, v2, s48
	s_wait_alu 0xfffd
	v_add_co_ci_u32_e64 v9, null, s49, v3, vcc_lo
	s_wait_loadcnt_dscnt 0x0
	s_delay_alu instid0(VALU_DEP_2) | instskip(SKIP_1) | instid1(VALU_DEP_2)
	v_add_co_u32 v10, vcc_lo, v8, s48
	s_wait_alu 0xfffd
	v_add_co_ci_u32_e64 v11, null, s49, v9, vcc_lo
	s_barrier_signal -1
	s_barrier_wait -1
	global_inv scope:SCOPE_SE
	flat_load_b128 v[16:19], v[2:3]
	v_add_co_u32 v2, vcc_lo, v10, s48
	s_wait_alu 0xfffd
	v_add_co_ci_u32_e64 v3, null, s49, v11, vcc_lo
	s_clause 0x2
	flat_load_b128 v[20:23], v[8:9]
	flat_load_b128 v[12:15], v[10:11]
	;; [unrolled: 1-line block ×3, first 2 shown]
	ds_load_b128 v[28:31], v168
	ds_load_b128 v[24:27], v190
	v_add_co_u32 v2, vcc_lo, v2, s50
	s_wait_alu 0xfffd
	v_add_co_ci_u32_e64 v3, null, s51, v3, vcc_lo
	s_delay_alu instid0(VALU_DEP_2) | instskip(SKIP_1) | instid1(VALU_DEP_2)
	v_add_co_u32 v60, vcc_lo, v2, s48
	s_wait_alu 0xfffd
	v_add_co_ci_u32_e64 v61, null, s49, v3, vcc_lo
	s_delay_alu instid0(VALU_DEP_2) | instskip(SKIP_1) | instid1(VALU_DEP_2)
	v_add_co_u32 v62, vcc_lo, v60, s48
	s_wait_alu 0xfffd
	v_add_co_ci_u32_e64 v63, null, s49, v61, vcc_lo
	s_wait_loadcnt_dscnt 0x301
	v_mul_f64_e32 v[32:33], v[18:19], v[30:31]
	v_mul_f64_e32 v[34:35], v[16:17], v[30:31]
	s_wait_loadcnt 0x2
	v_mul_f64_e32 v[36:37], v[22:23], v[30:31]
	v_mul_f64_e32 v[38:39], v[20:21], v[30:31]
	s_wait_loadcnt 0x1
	;; [unrolled: 3-line block ×3, first 2 shown]
	v_mul_f64_e32 v[56:57], v[10:11], v[30:31]
	v_mul_f64_e32 v[30:31], v[8:9], v[30:31]
	v_fma_f64 v[44:45], v[16:17], v[28:29], -v[32:33]
	v_fma_f64 v[46:47], v[18:19], v[28:29], v[34:35]
	v_fma_f64 v[48:49], v[20:21], v[28:29], -v[36:37]
	v_fma_f64 v[50:51], v[22:23], v[28:29], v[38:39]
	;; [unrolled: 2-line block ×4, first 2 shown]
	ds_load_b128 v[40:43], v190 offset:16
	ds_load_b128 v[36:39], v190 offset:32
	;; [unrolled: 1-line block ×3, first 2 shown]
	ds_store_b128 v191, v[44:47]
	ds_store_b128 v191, v[48:51] offset:1072
	ds_store_b128 v191, v[52:55] offset:2144
	;; [unrolled: 1-line block ×3, first 2 shown]
	s_wait_dscnt 0x0
	s_barrier_signal -1
	s_barrier_wait -1
	global_inv scope:SCOPE_SE
	ds_load_b128 v[104:107], v192
	ds_load_b128 v[100:103], v192 offset:16
	ds_load_b128 v[96:99], v192 offset:32
	;; [unrolled: 1-line block ×3, first 2 shown]
	s_wait_loadcnt_dscnt 0x0
	s_barrier_signal -1
	s_barrier_wait -1
	global_inv scope:SCOPE_SE
	flat_load_b128 v[28:31], v[2:3]
	v_add_co_u32 v2, vcc_lo, v62, s48
	s_wait_alu 0xfffd
	v_add_co_ci_u32_e64 v3, null, s49, v63, vcc_lo
	s_clause 0x2
	flat_load_b128 v[52:55], v[60:61]
	flat_load_b128 v[48:51], v[62:63]
	;; [unrolled: 1-line block ×3, first 2 shown]
	ds_load_b128 v[60:63], v168
	ds_load_b128 v[56:59], v190 offset:256
	v_add_co_u32 v2, vcc_lo, v2, s50
	s_wait_alu 0xfffd
	v_add_co_ci_u32_e64 v3, null, s51, v3, vcc_lo
	s_delay_alu instid0(VALU_DEP_2) | instskip(SKIP_1) | instid1(VALU_DEP_2)
	v_add_co_u32 v108, vcc_lo, v2, s48
	s_wait_alu 0xfffd
	v_add_co_ci_u32_e64 v109, null, s49, v3, vcc_lo
	s_delay_alu instid0(VALU_DEP_2) | instskip(SKIP_1) | instid1(VALU_DEP_2)
	v_add_co_u32 v110, vcc_lo, v108, s48
	s_wait_alu 0xfffd
	v_add_co_ci_u32_e64 v111, null, s49, v109, vcc_lo
	s_wait_loadcnt_dscnt 0x301
	v_mul_f64_e32 v[64:65], v[30:31], v[62:63]
	v_mul_f64_e32 v[66:67], v[28:29], v[62:63]
	s_wait_loadcnt 0x2
	v_mul_f64_e32 v[68:69], v[54:55], v[62:63]
	v_mul_f64_e32 v[70:71], v[52:53], v[62:63]
	s_wait_loadcnt 0x1
	;; [unrolled: 3-line block ×3, first 2 shown]
	v_mul_f64_e32 v[92:93], v[46:47], v[62:63]
	v_mul_f64_e32 v[62:63], v[44:45], v[62:63]
	v_fma_f64 v[76:77], v[28:29], v[60:61], -v[64:65]
	v_fma_f64 v[78:79], v[30:31], v[60:61], v[66:67]
	v_fma_f64 v[80:81], v[52:53], v[60:61], -v[68:69]
	v_fma_f64 v[82:83], v[54:55], v[60:61], v[70:71]
	;; [unrolled: 2-line block ×4, first 2 shown]
	ds_load_b128 v[72:75], v190 offset:272
	ds_load_b128 v[68:71], v190 offset:288
	;; [unrolled: 1-line block ×3, first 2 shown]
	ds_store_b128 v191, v[76:79]
	ds_store_b128 v191, v[80:83] offset:1072
	ds_store_b128 v191, v[84:87] offset:2144
	;; [unrolled: 1-line block ×3, first 2 shown]
	s_wait_dscnt 0x0
	s_barrier_signal -1
	s_barrier_wait -1
	global_inv scope:SCOPE_SE
	ds_load_b128 v[202:205], v192
	ds_load_b128 v[206:209], v192 offset:16
	ds_load_b128 v[210:213], v192 offset:32
	;; [unrolled: 1-line block ×3, first 2 shown]
	s_wait_loadcnt_dscnt 0x0
	s_barrier_signal -1
	s_barrier_wait -1
	global_inv scope:SCOPE_SE
	flat_load_b128 v[60:63], v[2:3]
	v_add_co_u32 v2, vcc_lo, v110, s48
	s_wait_alu 0xfffd
	v_add_co_ci_u32_e64 v3, null, s49, v111, vcc_lo
	s_clause 0x1
	flat_load_b128 v[84:87], v[108:109]
	flat_load_b128 v[76:79], v[110:111]
	;; [unrolled: 1-line block ×3, first 2 shown]
	ds_load_b128 v[108:111], v168
	ds_load_b128 v[92:95], v190 offset:512
	v_add_co_u32 v2, vcc_lo, v2, s50
	s_wait_alu 0xfffd
	v_add_co_ci_u32_e64 v3, null, s51, v3, vcc_lo
	v_add_f64_e32 v[202:203], 0, v[202:203]
	s_delay_alu instid0(VALU_DEP_3) | instskip(SKIP_1) | instid1(VALU_DEP_3)
	v_add_co_u32 v140, vcc_lo, v2, s48
	s_wait_alu 0xfffd
	v_add_co_ci_u32_e64 v141, null, s49, v3, vcc_lo
	v_add_f64_e32 v[204:205], 0, v[204:205]
	s_delay_alu instid0(VALU_DEP_3) | instskip(SKIP_1) | instid1(VALU_DEP_3)
	v_add_co_u32 v142, vcc_lo, v140, s48
	s_wait_alu 0xfffd
	v_add_co_ci_u32_e64 v143, null, s49, v141, vcc_lo
	v_add_f64_e32 v[202:203], v[202:203], v[206:207]
	s_delay_alu instid0(VALU_DEP_4) | instskip(NEXT) | instid1(VALU_DEP_2)
	v_add_f64_e32 v[204:205], v[204:205], v[208:209]
	v_add_f64_e32 v[202:203], v[202:203], v[210:211]
	s_delay_alu instid0(VALU_DEP_2)
	v_add_f64_e32 v[204:205], v[204:205], v[212:213]
	s_wait_loadcnt_dscnt 0x301
	v_mul_f64_e32 v[112:113], v[62:63], v[110:111]
	v_mul_f64_e32 v[114:115], v[60:61], v[110:111]
	s_wait_loadcnt 0x2
	v_mul_f64_e32 v[116:117], v[86:87], v[110:111]
	v_mul_f64_e32 v[118:119], v[84:85], v[110:111]
	s_wait_loadcnt 0x1
	;; [unrolled: 3-line block ×3, first 2 shown]
	v_mul_f64_e32 v[136:137], v[82:83], v[110:111]
	v_mul_f64_e32 v[110:111], v[80:81], v[110:111]
	v_fma_f64 v[120:121], v[60:61], v[108:109], -v[112:113]
	v_fma_f64 v[122:123], v[62:63], v[108:109], v[114:115]
	v_fma_f64 v[128:129], v[84:85], v[108:109], -v[116:117]
	v_fma_f64 v[130:131], v[86:87], v[108:109], v[118:119]
	;; [unrolled: 2-line block ×4, first 2 shown]
	ds_load_b128 v[124:127], v190 offset:528
	ds_load_b128 v[116:119], v190 offset:544
	;; [unrolled: 1-line block ×3, first 2 shown]
	ds_store_b128 v191, v[120:123]
	ds_store_b128 v191, v[128:131] offset:1072
	ds_store_b128 v191, v[132:135] offset:2144
	;; [unrolled: 1-line block ×3, first 2 shown]
	s_wait_dscnt 0x0
	s_barrier_signal -1
	s_barrier_wait -1
	global_inv scope:SCOPE_SE
	ds_load_b128 v[218:221], v192
	ds_load_b128 v[222:225], v192 offset:16
	ds_load_b128 v[226:229], v192 offset:32
	;; [unrolled: 1-line block ×3, first 2 shown]
	s_wait_loadcnt_dscnt 0x0
	s_barrier_signal -1
	s_barrier_wait -1
	global_inv scope:SCOPE_SE
	flat_load_b128 v[108:111], v[2:3]
	v_add_co_u32 v2, vcc_lo, v142, s48
	s_wait_alu 0xfffd
	v_add_co_ci_u32_e64 v3, null, s49, v143, vcc_lo
	flat_load_b128 v[128:131], v[140:141]
	flat_load_b128 v[120:123], v[142:143]
	;; [unrolled: 1-line block ×3, first 2 shown]
	ds_load_b128 v[140:143], v168
	ds_load_b128 v[136:139], v190 offset:768
	v_add_f64_e32 v[218:219], 0, v[218:219]
	v_add_f64_e32 v[220:221], 0, v[220:221]
	s_delay_alu instid0(VALU_DEP_2) | instskip(NEXT) | instid1(VALU_DEP_2)
	v_add_f64_e32 v[206:207], v[218:219], v[222:223]
	v_add_f64_e32 v[208:209], v[220:221], v[224:225]
	s_delay_alu instid0(VALU_DEP_2) | instskip(NEXT) | instid1(VALU_DEP_2)
	v_add_f64_e32 v[206:207], v[206:207], v[226:227]
	v_add_f64_e32 v[208:209], v[208:209], v[228:229]
	s_wait_loadcnt_dscnt 0x301
	v_mul_f64_e32 v[144:145], v[110:111], v[142:143]
	v_mul_f64_e32 v[146:147], v[108:109], v[142:143]
	s_wait_loadcnt 0x2
	v_mul_f64_e32 v[148:149], v[130:131], v[142:143]
	v_mul_f64_e32 v[150:151], v[128:129], v[142:143]
	s_wait_loadcnt 0x1
	;; [unrolled: 3-line block ×3, first 2 shown]
	v_mul_f64_e32 v[246:247], v[134:135], v[142:143]
	v_mul_f64_e32 v[142:143], v[132:133], v[142:143]
	v_fma_f64 v[234:235], v[108:109], v[140:141], -v[144:145]
	v_fma_f64 v[236:237], v[110:111], v[140:141], v[146:147]
	v_fma_f64 v[238:239], v[128:129], v[140:141], -v[148:149]
	v_fma_f64 v[240:241], v[130:131], v[140:141], v[150:151]
	;; [unrolled: 2-line block ×4, first 2 shown]
	ds_load_b128 v[148:151], v190 offset:784
	ds_load_b128 v[144:147], v190 offset:800
	;; [unrolled: 1-line block ×3, first 2 shown]
	ds_store_b128 v191, v[234:237]
	ds_store_b128 v191, v[238:241] offset:1072
	ds_store_b128 v191, v[242:245] offset:2144
	;; [unrolled: 1-line block ×3, first 2 shown]
	s_wait_dscnt 0x0
	s_barrier_signal -1
	s_barrier_wait -1
	global_inv scope:SCOPE_SE
	ds_load_b128 v[234:237], v192
	v_add_f64_e32 v[238:239], 0, v[104:105]
	v_add_f64_e32 v[240:241], 0, v[106:107]
	ds_load_b128 v[104:107], v192 offset:16
	s_wait_dscnt 0x1
	v_add_f64_e32 v[234:235], 0, v[234:235]
	v_add_f64_e32 v[236:237], 0, v[236:237]
	;; [unrolled: 1-line block ×4, first 2 shown]
	ds_load_b128 v[100:103], v192 offset:32
	s_wait_dscnt 0x1
	v_add_f64_e32 v[104:105], v[234:235], v[104:105]
	v_add_f64_e32 v[106:107], v[236:237], v[106:107]
	;; [unrolled: 1-line block ×4, first 2 shown]
	ds_load_b128 v[96:99], v192 offset:48
	s_wait_loadcnt_dscnt 0x0
	s_barrier_signal -1
	s_barrier_wait -1
	global_inv scope:SCOPE_SE
	v_add_f64_e32 v[210:211], v[104:105], v[100:101]
	v_add_f64_e32 v[212:213], v[106:107], v[102:103]
	;; [unrolled: 1-line block ×10, first 2 shown]
	ds_store_b128 v198, v[88:91]
	ds_store_b128 v198, v[100:103] offset:256
	ds_store_b128 v198, v[104:107] offset:512
	;; [unrolled: 1-line block ×3, first 2 shown]
	s_wait_loadcnt_dscnt 0x0
	s_barrier_signal -1
	s_barrier_wait -1
	global_inv scope:SCOPE_SE
	s_and_saveexec_b32 s67, s18
	s_cbranch_execz .LBB195_74
; %bb.78:                               ;   in Loop: Header=BB195_75 Depth=2
	ds_load_b128 v[88:91], v193
	ds_load_b128 v[96:99], v193 offset:16
	s_wait_dscnt 0x0
	v_add_f64_e32 v[100:101], v[96:97], v[88:89]
	v_add_f64_e32 v[102:103], v[98:99], v[90:91]
	ds_load_b128 v[88:91], v193 offset:32
	ds_load_b128 v[96:99], v193 offset:48
	s_wait_dscnt 0x1
	v_add_f64_e32 v[88:89], v[100:101], v[88:89]
	v_add_f64_e32 v[90:91], v[102:103], v[90:91]
	s_wait_dscnt 0x0
	s_delay_alu instid0(VALU_DEP_2) | instskip(NEXT) | instid1(VALU_DEP_2)
	v_add_f64_e32 v[100:101], v[88:89], v[96:97]
	v_add_f64_e32 v[102:103], v[90:91], v[98:99]
	ds_load_b128 v[88:91], v193 offset:64
	ds_load_b128 v[96:99], v193 offset:80
	s_wait_dscnt 0x1
	v_add_f64_e32 v[88:89], v[100:101], v[88:89]
	v_add_f64_e32 v[90:91], v[102:103], v[90:91]
	s_wait_dscnt 0x0
	s_delay_alu instid0(VALU_DEP_2) | instskip(NEXT) | instid1(VALU_DEP_2)
	;; [unrolled: 9-line block ×6, first 2 shown]
	v_add_f64_e32 v[100:101], v[88:89], v[96:97]
	v_add_f64_e32 v[102:103], v[90:91], v[98:99]
	ds_load_b128 v[88:91], v193 offset:224
	ds_load_b128 v[96:99], v194
	s_wait_dscnt 0x1
	v_add_f64_e32 v[88:89], v[100:101], v[88:89]
	v_add_f64_e32 v[90:91], v[102:103], v[90:91]
	s_wait_dscnt 0x0
	s_delay_alu instid0(VALU_DEP_2) | instskip(NEXT) | instid1(VALU_DEP_2)
	v_add_f64_e32 v[88:89], v[88:89], v[96:97]
	v_add_f64_e32 v[90:91], v[90:91], v[98:99]
	v_lshlrev_b64_e32 v[96:97], 4, v[0:1]
	s_delay_alu instid0(VALU_DEP_1) | instskip(SKIP_1) | instid1(VALU_DEP_2)
	v_add_co_u32 v96, vcc_lo, s64, v96
	s_wait_alu 0xfffd
	v_add_co_ci_u32_e64 v97, null, s65, v97, vcc_lo
	global_store_b128 v[96:97], v[88:91], off
	s_branch .LBB195_74
.LBB195_79:                             ;   in Loop: Header=BB195_4 Depth=1
	ds_store_b128 v195, v[4:7]
	s_wait_loadcnt_dscnt 0x0
	s_barrier_signal -1
	s_barrier_wait -1
	global_inv scope:SCOPE_SE
	s_and_saveexec_b32 s66, s72
	s_cbranch_execz .LBB195_2
; %bb.80:                               ;   in Loop: Header=BB195_4 Depth=1
	ds_load_b128 v[2:5], v167 offset:1072
	ds_load_b128 v[6:9], v167
	s_wait_dscnt 0x0
	v_add_f64_e32 v[10:11], v[2:3], v[6:7]
	v_add_f64_e32 v[12:13], v[4:5], v[8:9]
	ds_load_b128 v[2:5], v167 offset:2144
	ds_load_b128 v[6:9], v167 offset:3216
	s_wait_dscnt 0x1
	v_add_f64_e32 v[2:3], v[10:11], v[2:3]
	v_add_f64_e32 v[4:5], v[12:13], v[4:5]
	s_wait_dscnt 0x0
	s_delay_alu instid0(VALU_DEP_2) | instskip(NEXT) | instid1(VALU_DEP_2)
	v_add_f64_e32 v[2:3], v[2:3], v[6:7]
	v_add_f64_e32 v[4:5], v[4:5], v[8:9]
	s_wait_alu 0xfffe
	v_add_co_u32 v6, vcc_lo, s64, v164
	s_wait_alu 0xfffd
	v_add_co_ci_u32_e64 v7, null, s65, v165, vcc_lo
	global_store_b128 v[6:7], v[2:5], off
	s_branch .LBB195_2
.LBB195_81:                             ;   in Loop: Header=BB195_4 Depth=1
	ds_load_b128 v[2:5], v174
	s_wait_dscnt 0x0
	ds_store_b128 v173, v[2:5]
	s_wait_alu 0xfffe
	s_or_b32 exec_lo, exec_lo, s64
	s_and_saveexec_b32 s64, s8
	s_cbranch_execz .LBB195_28
.LBB195_82:                             ;   in Loop: Header=BB195_4 Depth=1
	ds_load_b128 v[2:5], v176
	s_wait_dscnt 0x0
	ds_store_b128 v175, v[2:5]
	s_wait_alu 0xfffe
	s_or_b32 exec_lo, exec_lo, s64
	s_and_saveexec_b32 s64, s9
	s_cbranch_execz .LBB195_29
.LBB195_83:                             ;   in Loop: Header=BB195_4 Depth=1
	ds_load_b128 v[2:5], v178
	s_wait_dscnt 0x0
	ds_store_b128 v177, v[2:5]
	s_wait_alu 0xfffe
	s_or_b32 exec_lo, exec_lo, s64
	s_and_saveexec_b32 s64, s10
	s_cbranch_execnz .LBB195_30
	s_branch .LBB195_31
.LBB195_84:                             ;   in Loop: Header=BB195_4 Depth=1
	ds_load_b128 v[10:13], v174
	s_wait_dscnt 0x0
	ds_store_b128 v184, v[10:13]
	s_wait_alu 0xfffe
	s_or_b32 exec_lo, exec_lo, s64
	s_and_saveexec_b32 s64, s8
	s_cbranch_execz .LBB195_49
.LBB195_85:                             ;   in Loop: Header=BB195_4 Depth=1
	ds_load_b128 v[10:13], v176
	s_wait_dscnt 0x0
	ds_store_b128 v185, v[10:13]
	s_wait_alu 0xfffe
	s_or_b32 exec_lo, exec_lo, s64
	s_and_saveexec_b32 s64, s9
	s_cbranch_execz .LBB195_50
.LBB195_86:                             ;   in Loop: Header=BB195_4 Depth=1
	ds_load_b128 v[10:13], v178
	s_wait_dscnt 0x0
	ds_store_b128 v186, v[10:13]
	s_wait_alu 0xfffe
	s_or_b32 exec_lo, exec_lo, s64
	s_and_saveexec_b32 s64, s10
	s_cbranch_execnz .LBB195_51
	s_branch .LBB195_52
.LBB195_87:                             ;   in Loop: Header=BB195_4 Depth=1
	flat_load_b128 v[10:13], v[4:5]
	s_wait_loadcnt_dscnt 0x0
	ds_store_2addr_b64 v169, v[10:11], v[12:13] offset1:1
	s_or_b32 exec_lo, exec_lo, s64
	s_and_saveexec_b32 s64, s4
	s_wait_alu 0xfffe
	s_xor_b32 s64, exec_lo, s64
	s_cbranch_execz .LBB195_19
.LBB195_88:                             ;   in Loop: Header=BB195_4 Depth=1
	v_dual_mov_b32 v0, v1 :: v_dual_mov_b32 v3, v1
	v_mov_b32_e32 v2, v1
	ds_store_b128 v170, v[0:3]
	s_wait_alu 0xfffe
	s_and_not1_saveexec_b32 s64, s64
	s_cbranch_execz .LBB195_20
.LBB195_89:                             ;   in Loop: Header=BB195_4 Depth=1
	s_lshl_b64 s[66:67], s[38:39], 4
	s_wait_alu 0xfffe
	v_add_co_u32 v2, vcc_lo, v4, s66
	s_wait_alu 0xfffd
	v_add_co_ci_u32_e64 v3, null, s67, v5, vcc_lo
	flat_load_b128 v[10:13], v[2:3]
	s_wait_loadcnt_dscnt 0x0
	ds_store_2addr_b64 v170, v[10:11], v[12:13] offset1:1
	s_or_b32 exec_lo, exec_lo, s64
	s_and_saveexec_b32 s64, s5
	s_wait_alu 0xfffe
	s_xor_b32 s64, exec_lo, s64
	s_cbranch_execz .LBB195_21
.LBB195_90:                             ;   in Loop: Header=BB195_4 Depth=1
	v_dual_mov_b32 v0, v1 :: v_dual_mov_b32 v3, v1
	v_mov_b32_e32 v2, v1
	ds_store_b128 v171, v[0:3]
	s_wait_alu 0xfffe
	s_and_not1_saveexec_b32 s64, s64
	s_cbranch_execz .LBB195_22
.LBB195_91:                             ;   in Loop: Header=BB195_4 Depth=1
	s_lshl_b64 s[66:67], s[40:41], 4
	s_wait_alu 0xfffe
	v_add_co_u32 v2, vcc_lo, v4, s66
	s_wait_alu 0xfffd
	v_add_co_ci_u32_e64 v3, null, s67, v5, vcc_lo
	flat_load_b128 v[10:13], v[2:3]
	s_wait_loadcnt_dscnt 0x0
	ds_store_2addr_b64 v171, v[10:11], v[12:13] offset1:1
	s_or_b32 exec_lo, exec_lo, s64
	s_and_saveexec_b32 s64, s6
	s_wait_alu 0xfffe
	s_xor_b32 s64, exec_lo, s64
	s_cbranch_execz .LBB195_23
.LBB195_92:                             ;   in Loop: Header=BB195_4 Depth=1
	v_dual_mov_b32 v0, v1 :: v_dual_mov_b32 v3, v1
	v_mov_b32_e32 v2, v1
	ds_store_b128 v172, v[0:3]
	s_wait_alu 0xfffe
	s_and_not1_saveexec_b32 s64, s64
	s_cbranch_execnz .LBB195_24
	s_branch .LBB195_25
.LBB195_93:                             ;   in Loop: Header=BB195_4 Depth=1
	flat_load_b128 v[12:15], v[10:11]
	s_wait_loadcnt_dscnt 0x0
	ds_store_2addr_b64 v169, v[12:13], v[14:15] offset1:1
	s_or_b32 exec_lo, exec_lo, s64
	s_and_saveexec_b32 s64, s14
	s_wait_alu 0xfffe
	s_xor_b32 s64, exec_lo, s64
	s_cbranch_execz .LBB195_40
.LBB195_94:                             ;   in Loop: Header=BB195_4 Depth=1
	v_dual_mov_b32 v0, v1 :: v_dual_mov_b32 v3, v1
	v_mov_b32_e32 v2, v1
	ds_store_b128 v170, v[0:3]
	s_wait_alu 0xfffe
	s_and_not1_saveexec_b32 s64, s64
	s_cbranch_execz .LBB195_41
.LBB195_95:                             ;   in Loop: Header=BB195_4 Depth=1
	s_lshl_b64 s[66:67], s[38:39], 4
	s_wait_alu 0xfffe
	v_add_co_u32 v2, vcc_lo, v10, s66
	s_wait_alu 0xfffd
	v_add_co_ci_u32_e64 v3, null, s67, v11, vcc_lo
	flat_load_b128 v[12:15], v[2:3]
	s_wait_loadcnt_dscnt 0x0
	ds_store_2addr_b64 v170, v[12:13], v[14:15] offset1:1
	s_or_b32 exec_lo, exec_lo, s64
	s_and_saveexec_b32 s64, s15
	s_wait_alu 0xfffe
	s_xor_b32 s64, exec_lo, s64
	s_cbranch_execz .LBB195_42
.LBB195_96:                             ;   in Loop: Header=BB195_4 Depth=1
	v_dual_mov_b32 v0, v1 :: v_dual_mov_b32 v3, v1
	v_mov_b32_e32 v2, v1
	ds_store_b128 v171, v[0:3]
	s_wait_alu 0xfffe
	s_and_not1_saveexec_b32 s64, s64
	s_cbranch_execz .LBB195_43
.LBB195_97:                             ;   in Loop: Header=BB195_4 Depth=1
	s_lshl_b64 s[66:67], s[40:41], 4
	s_wait_alu 0xfffe
	v_add_co_u32 v2, vcc_lo, v10, s66
	s_wait_alu 0xfffd
	v_add_co_ci_u32_e64 v3, null, s67, v11, vcc_lo
	flat_load_b128 v[12:15], v[2:3]
	s_wait_loadcnt_dscnt 0x0
	ds_store_2addr_b64 v171, v[12:13], v[14:15] offset1:1
	s_or_b32 exec_lo, exec_lo, s64
	s_and_saveexec_b32 s64, s16
	s_wait_alu 0xfffe
	s_xor_b32 s64, exec_lo, s64
	s_cbranch_execz .LBB195_44
.LBB195_98:                             ;   in Loop: Header=BB195_4 Depth=1
	v_dual_mov_b32 v0, v1 :: v_dual_mov_b32 v3, v1
	v_mov_b32_e32 v2, v1
	ds_store_b128 v172, v[0:3]
	s_wait_alu 0xfffe
	s_and_not1_saveexec_b32 s64, s64
	s_cbranch_execnz .LBB195_45
	s_branch .LBB195_46
.LBB195_99:                             ;   in Loop: Header=BB195_4 Depth=1
	flat_load_b128 v[10:13], v[8:9]
	s_wait_loadcnt_dscnt 0x0
	ds_store_2addr_b64 v169, v[10:11], v[12:13] offset1:1
	s_or_b32 exec_lo, exec_lo, s64
	s_and_saveexec_b32 s64, s4
	s_wait_alu 0xfffe
	s_xor_b32 s64, exec_lo, s64
	s_cbranch_execz .LBB195_61
.LBB195_100:                            ;   in Loop: Header=BB195_4 Depth=1
	v_dual_mov_b32 v0, v1 :: v_dual_mov_b32 v3, v1
	v_mov_b32_e32 v2, v1
	ds_store_b128 v170, v[0:3]
	s_wait_alu 0xfffe
	s_and_not1_saveexec_b32 s64, s64
	s_cbranch_execz .LBB195_62
.LBB195_101:                            ;   in Loop: Header=BB195_4 Depth=1
	s_lshl_b64 s[66:67], s[38:39], 4
	s_wait_alu 0xfffe
	v_add_co_u32 v2, vcc_lo, v8, s66
	s_wait_alu 0xfffd
	v_add_co_ci_u32_e64 v3, null, s67, v9, vcc_lo
	flat_load_b128 v[10:13], v[2:3]
	s_wait_loadcnt_dscnt 0x0
	ds_store_2addr_b64 v170, v[10:11], v[12:13] offset1:1
	s_or_b32 exec_lo, exec_lo, s64
	s_and_saveexec_b32 s64, s5
	s_wait_alu 0xfffe
	s_xor_b32 s64, exec_lo, s64
	s_cbranch_execz .LBB195_63
.LBB195_102:                            ;   in Loop: Header=BB195_4 Depth=1
	v_dual_mov_b32 v0, v1 :: v_dual_mov_b32 v3, v1
	v_mov_b32_e32 v2, v1
	ds_store_b128 v171, v[0:3]
	s_wait_alu 0xfffe
	s_and_not1_saveexec_b32 s64, s64
	s_cbranch_execz .LBB195_64
.LBB195_103:                            ;   in Loop: Header=BB195_4 Depth=1
	s_lshl_b64 s[66:67], s[40:41], 4
	s_wait_alu 0xfffe
	v_add_co_u32 v2, vcc_lo, v8, s66
	s_wait_alu 0xfffd
	v_add_co_ci_u32_e64 v3, null, s67, v9, vcc_lo
	flat_load_b128 v[10:13], v[2:3]
	s_wait_loadcnt_dscnt 0x0
	ds_store_2addr_b64 v171, v[10:11], v[12:13] offset1:1
	s_or_b32 exec_lo, exec_lo, s64
	s_and_saveexec_b32 s64, s6
	s_wait_alu 0xfffe
	s_xor_b32 s64, exec_lo, s64
	s_cbranch_execz .LBB195_65
.LBB195_104:                            ;   in Loop: Header=BB195_4 Depth=1
	v_dual_mov_b32 v0, v1 :: v_dual_mov_b32 v3, v1
	v_mov_b32_e32 v2, v1
	ds_store_b128 v172, v[0:3]
	s_wait_alu 0xfffe
	s_and_not1_saveexec_b32 s64, s64
	s_cbranch_execnz .LBB195_66
	s_branch .LBB195_67
.LBB195_105:
	s_nop 0
	s_sendmsg sendmsg(MSG_DEALLOC_VGPRS)
	s_endpgm
	.section	.rodata,"a",@progbits
	.p2align	6, 0x0
	.amdhsa_kernel _ZL26rocblas_hemvn_kernel_lowerILb0ELi64ELi4ELi33ELi32ELi16Ei19rocblas_complex_numIdEPKPKS1_PS1_EviT6_lT7_lT5_lS8_lS9_lS7_lT8_i
		.amdhsa_group_segment_fixed_size 19200
		.amdhsa_private_segment_fixed_size 0
		.amdhsa_kernarg_size 392
		.amdhsa_user_sgpr_count 2
		.amdhsa_user_sgpr_dispatch_ptr 0
		.amdhsa_user_sgpr_queue_ptr 0
		.amdhsa_user_sgpr_kernarg_segment_ptr 1
		.amdhsa_user_sgpr_dispatch_id 0
		.amdhsa_user_sgpr_private_segment_size 0
		.amdhsa_wavefront_size32 1
		.amdhsa_uses_dynamic_stack 0
		.amdhsa_enable_private_segment 0
		.amdhsa_system_sgpr_workgroup_id_x 1
		.amdhsa_system_sgpr_workgroup_id_y 0
		.amdhsa_system_sgpr_workgroup_id_z 1
		.amdhsa_system_sgpr_workgroup_info 0
		.amdhsa_system_vgpr_workitem_id 1
		.amdhsa_next_free_vgpr 250
		.amdhsa_next_free_sgpr 78
		.amdhsa_reserve_vcc 1
		.amdhsa_float_round_mode_32 0
		.amdhsa_float_round_mode_16_64 0
		.amdhsa_float_denorm_mode_32 3
		.amdhsa_float_denorm_mode_16_64 3
		.amdhsa_fp16_overflow 0
		.amdhsa_workgroup_processor_mode 1
		.amdhsa_memory_ordered 1
		.amdhsa_forward_progress 1
		.amdhsa_inst_pref_size 78
		.amdhsa_round_robin_scheduling 0
		.amdhsa_exception_fp_ieee_invalid_op 0
		.amdhsa_exception_fp_denorm_src 0
		.amdhsa_exception_fp_ieee_div_zero 0
		.amdhsa_exception_fp_ieee_overflow 0
		.amdhsa_exception_fp_ieee_underflow 0
		.amdhsa_exception_fp_ieee_inexact 0
		.amdhsa_exception_int_div_zero 0
	.end_amdhsa_kernel
	.section	.text._ZL26rocblas_hemvn_kernel_lowerILb0ELi64ELi4ELi33ELi32ELi16Ei19rocblas_complex_numIdEPKPKS1_PS1_EviT6_lT7_lT5_lS8_lS9_lS7_lT8_i,"axG",@progbits,_ZL26rocblas_hemvn_kernel_lowerILb0ELi64ELi4ELi33ELi32ELi16Ei19rocblas_complex_numIdEPKPKS1_PS1_EviT6_lT7_lT5_lS8_lS9_lS7_lT8_i,comdat
.Lfunc_end195:
	.size	_ZL26rocblas_hemvn_kernel_lowerILb0ELi64ELi4ELi33ELi32ELi16Ei19rocblas_complex_numIdEPKPKS1_PS1_EviT6_lT7_lT5_lS8_lS9_lS7_lT8_i, .Lfunc_end195-_ZL26rocblas_hemvn_kernel_lowerILb0ELi64ELi4ELi33ELi32ELi16Ei19rocblas_complex_numIdEPKPKS1_PS1_EviT6_lT7_lT5_lS8_lS9_lS7_lT8_i
                                        ; -- End function
	.set _ZL26rocblas_hemvn_kernel_lowerILb0ELi64ELi4ELi33ELi32ELi16Ei19rocblas_complex_numIdEPKPKS1_PS1_EviT6_lT7_lT5_lS8_lS9_lS7_lT8_i.num_vgpr, 250
	.set _ZL26rocblas_hemvn_kernel_lowerILb0ELi64ELi4ELi33ELi32ELi16Ei19rocblas_complex_numIdEPKPKS1_PS1_EviT6_lT7_lT5_lS8_lS9_lS7_lT8_i.num_agpr, 0
	.set _ZL26rocblas_hemvn_kernel_lowerILb0ELi64ELi4ELi33ELi32ELi16Ei19rocblas_complex_numIdEPKPKS1_PS1_EviT6_lT7_lT5_lS8_lS9_lS7_lT8_i.numbered_sgpr, 78
	.set _ZL26rocblas_hemvn_kernel_lowerILb0ELi64ELi4ELi33ELi32ELi16Ei19rocblas_complex_numIdEPKPKS1_PS1_EviT6_lT7_lT5_lS8_lS9_lS7_lT8_i.num_named_barrier, 0
	.set _ZL26rocblas_hemvn_kernel_lowerILb0ELi64ELi4ELi33ELi32ELi16Ei19rocblas_complex_numIdEPKPKS1_PS1_EviT6_lT7_lT5_lS8_lS9_lS7_lT8_i.private_seg_size, 0
	.set _ZL26rocblas_hemvn_kernel_lowerILb0ELi64ELi4ELi33ELi32ELi16Ei19rocblas_complex_numIdEPKPKS1_PS1_EviT6_lT7_lT5_lS8_lS9_lS7_lT8_i.uses_vcc, 1
	.set _ZL26rocblas_hemvn_kernel_lowerILb0ELi64ELi4ELi33ELi32ELi16Ei19rocblas_complex_numIdEPKPKS1_PS1_EviT6_lT7_lT5_lS8_lS9_lS7_lT8_i.uses_flat_scratch, 1
	.set _ZL26rocblas_hemvn_kernel_lowerILb0ELi64ELi4ELi33ELi32ELi16Ei19rocblas_complex_numIdEPKPKS1_PS1_EviT6_lT7_lT5_lS8_lS9_lS7_lT8_i.has_dyn_sized_stack, 0
	.set _ZL26rocblas_hemvn_kernel_lowerILb0ELi64ELi4ELi33ELi32ELi16Ei19rocblas_complex_numIdEPKPKS1_PS1_EviT6_lT7_lT5_lS8_lS9_lS7_lT8_i.has_recursion, 0
	.set _ZL26rocblas_hemvn_kernel_lowerILb0ELi64ELi4ELi33ELi32ELi16Ei19rocblas_complex_numIdEPKPKS1_PS1_EviT6_lT7_lT5_lS8_lS9_lS7_lT8_i.has_indirect_call, 0
	.section	.AMDGPU.csdata,"",@progbits
; Kernel info:
; codeLenInByte = 9900
; TotalNumSgprs: 80
; NumVgprs: 250
; ScratchSize: 0
; MemoryBound: 0
; FloatMode: 240
; IeeeMode: 1
; LDSByteSize: 19200 bytes/workgroup (compile time only)
; SGPRBlocks: 0
; VGPRBlocks: 31
; NumSGPRsForWavesPerEU: 80
; NumVGPRsForWavesPerEU: 250
; Occupancy: 5
; WaveLimiterHint : 1
; COMPUTE_PGM_RSRC2:SCRATCH_EN: 0
; COMPUTE_PGM_RSRC2:USER_SGPR: 2
; COMPUTE_PGM_RSRC2:TRAP_HANDLER: 0
; COMPUTE_PGM_RSRC2:TGID_X_EN: 1
; COMPUTE_PGM_RSRC2:TGID_Y_EN: 0
; COMPUTE_PGM_RSRC2:TGID_Z_EN: 1
; COMPUTE_PGM_RSRC2:TIDIG_COMP_CNT: 1
	.section	.AMDGPU.gpr_maximums,"",@progbits
	.set amdgpu.max_num_vgpr, 0
	.set amdgpu.max_num_agpr, 0
	.set amdgpu.max_num_sgpr, 0
	.section	.AMDGPU.csdata,"",@progbits
	.type	__hip_cuid_a5964cd54e2f8686,@object ; @__hip_cuid_a5964cd54e2f8686
	.section	.bss,"aw",@nobits
	.globl	__hip_cuid_a5964cd54e2f8686
__hip_cuid_a5964cd54e2f8686:
	.byte	0                               ; 0x0
	.size	__hip_cuid_a5964cd54e2f8686, 1

	.ident	"AMD clang version 22.0.0git (https://github.com/RadeonOpenCompute/llvm-project roc-7.2.4 26084 f58b06dce1f9c15707c5f808fd002e18c2accf7e)"
	.section	".note.GNU-stack","",@progbits
	.addrsig
	.addrsig_sym __hip_cuid_a5964cd54e2f8686
	.amdgpu_metadata
---
amdhsa.kernels:
  - .args:
      - .offset:         0
        .size:           4
        .value_kind:     by_value
      - .address_space:  global
        .offset:         8
        .size:           8
        .value_kind:     global_buffer
      - .offset:         16
        .size:           8
        .value_kind:     by_value
      - .address_space:  global
        .offset:         24
        .size:           8
        .value_kind:     global_buffer
      - .offset:         32
        .size:           8
        .value_kind:     by_value
      - .offset:         40
        .size:           8
        .value_kind:     by_value
      - .offset:         48
        .size:           8
        .value_kind:     by_value
      - .address_space:  global
        .offset:         56
        .size:           8
        .value_kind:     global_buffer
      - .offset:         64
        .size:           8
        .value_kind:     by_value
      - .offset:         72
        .size:           8
        .value_kind:     by_value
      - .offset:         80
        .size:           8
        .value_kind:     by_value
      - .address_space:  global
        .offset:         88
        .size:           8
        .value_kind:     global_buffer
      - .offset:         96
        .size:           8
        .value_kind:     by_value
      - .address_space:  global
        .offset:         104
        .size:           8
        .value_kind:     global_buffer
      - .offset:         112
        .size:           4
        .value_kind:     by_value
      - .offset:         120
        .size:           4
        .value_kind:     hidden_block_count_x
      - .offset:         124
        .size:           4
        .value_kind:     hidden_block_count_y
      - .offset:         128
        .size:           4
        .value_kind:     hidden_block_count_z
      - .offset:         132
        .size:           2
        .value_kind:     hidden_group_size_x
      - .offset:         134
        .size:           2
        .value_kind:     hidden_group_size_y
      - .offset:         136
        .size:           2
        .value_kind:     hidden_group_size_z
      - .offset:         138
        .size:           2
        .value_kind:     hidden_remainder_x
      - .offset:         140
        .size:           2
        .value_kind:     hidden_remainder_y
      - .offset:         142
        .size:           2
        .value_kind:     hidden_remainder_z
      - .offset:         160
        .size:           8
        .value_kind:     hidden_global_offset_x
      - .offset:         168
        .size:           8
        .value_kind:     hidden_global_offset_y
      - .offset:         176
        .size:           8
        .value_kind:     hidden_global_offset_z
      - .offset:         184
        .size:           2
        .value_kind:     hidden_grid_dims
    .group_segment_fixed_size: 9600
    .kernarg_segment_align: 8
    .kernarg_segment_size: 376
    .language:       OpenCL C
    .language_version:
      - 2
      - 0
    .max_flat_workgroup_size: 256
    .name:           _ZL26rocblas_hemvn_kernel_upperILb1ELi64ELi4ELi33ELi32ELi16ElPK19rocblas_complex_numIfES3_PS1_EviT6_lT7_lT5_lS6_lS7_lS5_lT8_i
    .private_segment_fixed_size: 0
    .sgpr_count:     80
    .sgpr_spill_count: 0
    .symbol:         _ZL26rocblas_hemvn_kernel_upperILb1ELi64ELi4ELi33ELi32ELi16ElPK19rocblas_complex_numIfES3_PS1_EviT6_lT7_lT5_lS6_lS7_lS5_lT8_i.kd
    .uniform_work_group_size: 1
    .uses_dynamic_stack: false
    .vgpr_count:     215
    .vgpr_spill_count: 0
    .wavefront_size: 32
    .workgroup_processor_mode: 1
  - .args:
      - .offset:         0
        .size:           4
        .value_kind:     by_value
      - .address_space:  global
        .offset:         8
        .size:           8
        .value_kind:     global_buffer
      - .offset:         16
        .size:           8
        .value_kind:     by_value
      - .address_space:  global
        .offset:         24
        .size:           8
        .value_kind:     global_buffer
      - .offset:         32
        .size:           8
        .value_kind:     by_value
      - .address_space:  global
        .offset:         40
        .size:           8
        .value_kind:     global_buffer
      - .offset:         48
        .size:           8
        .value_kind:     by_value
      - .offset:         56
        .size:           8
        .value_kind:     by_value
      - .offset:         64
        .size:           8
        .value_kind:     by_value
      - .address_space:  global
        .offset:         72
        .size:           8
        .value_kind:     global_buffer
      - .offset:         80
        .size:           4
        .value_kind:     by_value
      - .offset:         88
        .size:           4
        .value_kind:     hidden_block_count_x
      - .offset:         92
        .size:           4
        .value_kind:     hidden_block_count_y
      - .offset:         96
        .size:           4
        .value_kind:     hidden_block_count_z
      - .offset:         100
        .size:           2
        .value_kind:     hidden_group_size_x
      - .offset:         102
        .size:           2
        .value_kind:     hidden_group_size_y
      - .offset:         104
        .size:           2
        .value_kind:     hidden_group_size_z
      - .offset:         106
        .size:           2
        .value_kind:     hidden_remainder_x
      - .offset:         108
        .size:           2
        .value_kind:     hidden_remainder_y
      - .offset:         110
        .size:           2
        .value_kind:     hidden_remainder_z
      - .offset:         128
        .size:           8
        .value_kind:     hidden_global_offset_x
      - .offset:         136
        .size:           8
        .value_kind:     hidden_global_offset_y
      - .offset:         144
        .size:           8
        .value_kind:     hidden_global_offset_z
      - .offset:         152
        .size:           2
        .value_kind:     hidden_grid_dims
    .group_segment_fixed_size: 0
    .kernarg_segment_align: 8
    .kernarg_segment_size: 344
    .language:       OpenCL C
    .language_version:
      - 2
      - 0
    .max_flat_workgroup_size: 64
    .name:           _ZL36rocblas_hemvn_kernel_upper_block_sumILi64ElPK19rocblas_complex_numIfEPS1_S1_EviT1_lS5_lT2_lT0_lPT3_i
    .private_segment_fixed_size: 0
    .sgpr_count:     34
    .sgpr_spill_count: 0
    .symbol:         _ZL36rocblas_hemvn_kernel_upper_block_sumILi64ElPK19rocblas_complex_numIfEPS1_S1_EviT1_lS5_lT2_lT0_lPT3_i.kd
    .uniform_work_group_size: 1
    .uses_dynamic_stack: false
    .vgpr_count:     10
    .vgpr_spill_count: 0
    .wavefront_size: 32
    .workgroup_processor_mode: 1
  - .args:
      - .offset:         0
        .size:           4
        .value_kind:     by_value
      - .address_space:  global
        .offset:         8
        .size:           8
        .value_kind:     global_buffer
      - .offset:         16
        .size:           8
        .value_kind:     by_value
      - .address_space:  global
        .offset:         24
        .size:           8
        .value_kind:     global_buffer
      - .offset:         32
        .size:           8
        .value_kind:     by_value
      - .offset:         40
        .size:           4
        .value_kind:     by_value
      - .offset:         48
        .size:           8
        .value_kind:     by_value
      - .address_space:  global
        .offset:         56
        .size:           8
        .value_kind:     global_buffer
      - .offset:         64
        .size:           8
        .value_kind:     by_value
      - .offset:         72
        .size:           4
        .value_kind:     by_value
      - .offset:         80
        .size:           8
        .value_kind:     by_value
      - .address_space:  global
        .offset:         88
        .size:           8
        .value_kind:     global_buffer
      - .offset:         96
        .size:           8
        .value_kind:     by_value
      - .address_space:  global
        .offset:         104
        .size:           8
        .value_kind:     global_buffer
      - .offset:         112
        .size:           4
        .value_kind:     by_value
      - .offset:         120
        .size:           4
        .value_kind:     hidden_block_count_x
      - .offset:         124
        .size:           4
        .value_kind:     hidden_block_count_y
      - .offset:         128
        .size:           4
        .value_kind:     hidden_block_count_z
      - .offset:         132
        .size:           2
        .value_kind:     hidden_group_size_x
      - .offset:         134
        .size:           2
        .value_kind:     hidden_group_size_y
      - .offset:         136
        .size:           2
        .value_kind:     hidden_group_size_z
      - .offset:         138
        .size:           2
        .value_kind:     hidden_remainder_x
      - .offset:         140
        .size:           2
        .value_kind:     hidden_remainder_y
      - .offset:         142
        .size:           2
        .value_kind:     hidden_remainder_z
      - .offset:         160
        .size:           8
        .value_kind:     hidden_global_offset_x
      - .offset:         168
        .size:           8
        .value_kind:     hidden_global_offset_y
      - .offset:         176
        .size:           8
        .value_kind:     hidden_global_offset_z
      - .offset:         184
        .size:           2
        .value_kind:     hidden_grid_dims
    .group_segment_fixed_size: 9600
    .kernarg_segment_align: 8
    .kernarg_segment_size: 376
    .language:       OpenCL C
    .language_version:
      - 2
      - 0
    .max_flat_workgroup_size: 256
    .name:           _ZL26rocblas_hemvn_kernel_upperILb1ELi64ELi4ELi33ELi32ELi16EiPK19rocblas_complex_numIfES3_PS1_EviT6_lT7_lT5_lS6_lS7_lS5_lT8_i
    .private_segment_fixed_size: 0
    .sgpr_count:     89
    .sgpr_spill_count: 0
    .symbol:         _ZL26rocblas_hemvn_kernel_upperILb1ELi64ELi4ELi33ELi32ELi16EiPK19rocblas_complex_numIfES3_PS1_EviT6_lT7_lT5_lS6_lS7_lS5_lT8_i.kd
    .uniform_work_group_size: 1
    .uses_dynamic_stack: false
    .vgpr_count:     236
    .vgpr_spill_count: 0
    .wavefront_size: 32
    .workgroup_processor_mode: 1
  - .args:
      - .offset:         0
        .size:           4
        .value_kind:     by_value
      - .address_space:  global
        .offset:         8
        .size:           8
        .value_kind:     global_buffer
      - .offset:         16
        .size:           8
        .value_kind:     by_value
      - .address_space:  global
        .offset:         24
        .size:           8
        .value_kind:     global_buffer
      - .offset:         32
        .size:           8
        .value_kind:     by_value
      - .address_space:  global
        .offset:         40
        .size:           8
        .value_kind:     global_buffer
      - .offset:         48
        .size:           8
        .value_kind:     by_value
      - .offset:         56
        .size:           4
        .value_kind:     by_value
      - .offset:         64
        .size:           8
        .value_kind:     by_value
      - .address_space:  global
        .offset:         72
        .size:           8
        .value_kind:     global_buffer
      - .offset:         80
        .size:           4
        .value_kind:     by_value
      - .offset:         88
        .size:           4
        .value_kind:     hidden_block_count_x
      - .offset:         92
        .size:           4
        .value_kind:     hidden_block_count_y
      - .offset:         96
        .size:           4
        .value_kind:     hidden_block_count_z
      - .offset:         100
        .size:           2
        .value_kind:     hidden_group_size_x
      - .offset:         102
        .size:           2
        .value_kind:     hidden_group_size_y
      - .offset:         104
        .size:           2
        .value_kind:     hidden_group_size_z
      - .offset:         106
        .size:           2
        .value_kind:     hidden_remainder_x
      - .offset:         108
        .size:           2
        .value_kind:     hidden_remainder_y
      - .offset:         110
        .size:           2
        .value_kind:     hidden_remainder_z
      - .offset:         128
        .size:           8
        .value_kind:     hidden_global_offset_x
      - .offset:         136
        .size:           8
        .value_kind:     hidden_global_offset_y
      - .offset:         144
        .size:           8
        .value_kind:     hidden_global_offset_z
      - .offset:         152
        .size:           2
        .value_kind:     hidden_grid_dims
    .group_segment_fixed_size: 0
    .kernarg_segment_align: 8
    .kernarg_segment_size: 344
    .language:       OpenCL C
    .language_version:
      - 2
      - 0
    .max_flat_workgroup_size: 64
    .name:           _ZL36rocblas_hemvn_kernel_upper_block_sumILi64EiPK19rocblas_complex_numIfEPS1_S1_EviT1_lS5_lT2_lT0_lPT3_i
    .private_segment_fixed_size: 0
    .sgpr_count:     34
    .sgpr_spill_count: 0
    .symbol:         _ZL36rocblas_hemvn_kernel_upper_block_sumILi64EiPK19rocblas_complex_numIfEPS1_S1_EviT1_lS5_lT2_lT0_lPT3_i.kd
    .uniform_work_group_size: 1
    .uses_dynamic_stack: false
    .vgpr_count:     10
    .vgpr_spill_count: 0
    .wavefront_size: 32
    .workgroup_processor_mode: 1
  - .args:
      - .offset:         0
        .size:           4
        .value_kind:     by_value
      - .offset:         4
        .size:           8
        .value_kind:     by_value
      - .offset:         16
        .size:           8
        .value_kind:     by_value
      - .address_space:  global
        .offset:         24
        .size:           8
        .value_kind:     global_buffer
      - .offset:         32
        .size:           8
        .value_kind:     by_value
      - .offset:         40
        .size:           8
        .value_kind:     by_value
      - .offset:         48
        .size:           8
        .value_kind:     by_value
      - .address_space:  global
        .offset:         56
        .size:           8
        .value_kind:     global_buffer
      - .offset:         64
        .size:           8
        .value_kind:     by_value
      - .offset:         72
        .size:           8
        .value_kind:     by_value
      - .offset:         80
        .size:           8
        .value_kind:     by_value
      - .offset:         88
        .size:           8
        .value_kind:     by_value
      - .offset:         96
        .size:           8
        .value_kind:     by_value
      - .address_space:  global
        .offset:         104
        .size:           8
        .value_kind:     global_buffer
      - .offset:         112
        .size:           4
        .value_kind:     by_value
      - .offset:         120
        .size:           4
        .value_kind:     hidden_block_count_x
      - .offset:         124
        .size:           4
        .value_kind:     hidden_block_count_y
      - .offset:         128
        .size:           4
        .value_kind:     hidden_block_count_z
      - .offset:         132
        .size:           2
        .value_kind:     hidden_group_size_x
      - .offset:         134
        .size:           2
        .value_kind:     hidden_group_size_y
      - .offset:         136
        .size:           2
        .value_kind:     hidden_group_size_z
      - .offset:         138
        .size:           2
        .value_kind:     hidden_remainder_x
      - .offset:         140
        .size:           2
        .value_kind:     hidden_remainder_y
      - .offset:         142
        .size:           2
        .value_kind:     hidden_remainder_z
      - .offset:         160
        .size:           8
        .value_kind:     hidden_global_offset_x
      - .offset:         168
        .size:           8
        .value_kind:     hidden_global_offset_y
      - .offset:         176
        .size:           8
        .value_kind:     hidden_global_offset_z
      - .offset:         184
        .size:           2
        .value_kind:     hidden_grid_dims
    .group_segment_fixed_size: 9600
    .kernarg_segment_align: 8
    .kernarg_segment_size: 376
    .language:       OpenCL C
    .language_version:
      - 2
      - 0
    .max_flat_workgroup_size: 256
    .name:           _ZL26rocblas_hemvn_kernel_upperILb1ELi64ELi4ELi33ELi32ELi16El19rocblas_complex_numIfEPKS1_PS1_EviT6_lT7_lT5_lS6_lS7_lS5_lT8_i
    .private_segment_fixed_size: 0
    .sgpr_count:     72
    .sgpr_spill_count: 0
    .symbol:         _ZL26rocblas_hemvn_kernel_upperILb1ELi64ELi4ELi33ELi32ELi16El19rocblas_complex_numIfEPKS1_PS1_EviT6_lT7_lT5_lS6_lS7_lS5_lT8_i.kd
    .uniform_work_group_size: 1
    .uses_dynamic_stack: false
    .vgpr_count:     216
    .vgpr_spill_count: 0
    .wavefront_size: 32
    .workgroup_processor_mode: 1
  - .args:
      - .offset:         0
        .size:           4
        .value_kind:     by_value
      - .offset:         4
        .size:           8
        .value_kind:     by_value
      - .offset:         16
        .size:           8
        .value_kind:     by_value
      - .offset:         24
        .size:           8
        .value_kind:     by_value
      - .offset:         32
        .size:           8
        .value_kind:     by_value
      - .address_space:  global
        .offset:         40
        .size:           8
        .value_kind:     global_buffer
      - .offset:         48
        .size:           8
        .value_kind:     by_value
      - .offset:         56
        .size:           8
        .value_kind:     by_value
      - .offset:         64
        .size:           8
        .value_kind:     by_value
      - .address_space:  global
        .offset:         72
        .size:           8
        .value_kind:     global_buffer
      - .offset:         80
        .size:           4
        .value_kind:     by_value
      - .offset:         88
        .size:           4
        .value_kind:     hidden_block_count_x
      - .offset:         92
        .size:           4
        .value_kind:     hidden_block_count_y
      - .offset:         96
        .size:           4
        .value_kind:     hidden_block_count_z
      - .offset:         100
        .size:           2
        .value_kind:     hidden_group_size_x
      - .offset:         102
        .size:           2
        .value_kind:     hidden_group_size_y
      - .offset:         104
        .size:           2
        .value_kind:     hidden_group_size_z
      - .offset:         106
        .size:           2
        .value_kind:     hidden_remainder_x
      - .offset:         108
        .size:           2
        .value_kind:     hidden_remainder_y
      - .offset:         110
        .size:           2
        .value_kind:     hidden_remainder_z
      - .offset:         128
        .size:           8
        .value_kind:     hidden_global_offset_x
      - .offset:         136
        .size:           8
        .value_kind:     hidden_global_offset_y
      - .offset:         144
        .size:           8
        .value_kind:     hidden_global_offset_z
      - .offset:         152
        .size:           2
        .value_kind:     hidden_grid_dims
    .group_segment_fixed_size: 0
    .kernarg_segment_align: 8
    .kernarg_segment_size: 344
    .language:       OpenCL C
    .language_version:
      - 2
      - 0
    .max_flat_workgroup_size: 64
    .name:           _ZL36rocblas_hemvn_kernel_upper_block_sumILi64El19rocblas_complex_numIfEPS1_S1_EviT1_lS3_lT2_lT0_lPT3_i
    .private_segment_fixed_size: 0
    .sgpr_count:     28
    .sgpr_spill_count: 0
    .symbol:         _ZL36rocblas_hemvn_kernel_upper_block_sumILi64El19rocblas_complex_numIfEPS1_S1_EviT1_lS3_lT2_lT0_lPT3_i.kd
    .uniform_work_group_size: 1
    .uses_dynamic_stack: false
    .vgpr_count:     11
    .vgpr_spill_count: 0
    .wavefront_size: 32
    .workgroup_processor_mode: 1
  - .args:
      - .offset:         0
        .size:           4
        .value_kind:     by_value
      - .offset:         4
        .size:           8
        .value_kind:     by_value
      - .offset:         16
        .size:           8
        .value_kind:     by_value
      - .address_space:  global
        .offset:         24
        .size:           8
        .value_kind:     global_buffer
      - .offset:         32
        .size:           8
        .value_kind:     by_value
      - .offset:         40
        .size:           4
        .value_kind:     by_value
      - .offset:         48
        .size:           8
        .value_kind:     by_value
      - .address_space:  global
        .offset:         56
        .size:           8
        .value_kind:     global_buffer
      - .offset:         64
        .size:           8
        .value_kind:     by_value
      - .offset:         72
        .size:           4
        .value_kind:     by_value
      - .offset:         80
        .size:           8
        .value_kind:     by_value
      - .offset:         88
        .size:           8
        .value_kind:     by_value
      - .offset:         96
        .size:           8
        .value_kind:     by_value
      - .address_space:  global
        .offset:         104
        .size:           8
        .value_kind:     global_buffer
      - .offset:         112
        .size:           4
        .value_kind:     by_value
      - .offset:         120
        .size:           4
        .value_kind:     hidden_block_count_x
      - .offset:         124
        .size:           4
        .value_kind:     hidden_block_count_y
      - .offset:         128
        .size:           4
        .value_kind:     hidden_block_count_z
      - .offset:         132
        .size:           2
        .value_kind:     hidden_group_size_x
      - .offset:         134
        .size:           2
        .value_kind:     hidden_group_size_y
      - .offset:         136
        .size:           2
        .value_kind:     hidden_group_size_z
      - .offset:         138
        .size:           2
        .value_kind:     hidden_remainder_x
      - .offset:         140
        .size:           2
        .value_kind:     hidden_remainder_y
      - .offset:         142
        .size:           2
        .value_kind:     hidden_remainder_z
      - .offset:         160
        .size:           8
        .value_kind:     hidden_global_offset_x
      - .offset:         168
        .size:           8
        .value_kind:     hidden_global_offset_y
      - .offset:         176
        .size:           8
        .value_kind:     hidden_global_offset_z
      - .offset:         184
        .size:           2
        .value_kind:     hidden_grid_dims
    .group_segment_fixed_size: 9600
    .kernarg_segment_align: 8
    .kernarg_segment_size: 376
    .language:       OpenCL C
    .language_version:
      - 2
      - 0
    .max_flat_workgroup_size: 256
    .name:           _ZL26rocblas_hemvn_kernel_upperILb1ELi64ELi4ELi33ELi32ELi16Ei19rocblas_complex_numIfEPKS1_PS1_EviT6_lT7_lT5_lS6_lS7_lS5_lT8_i
    .private_segment_fixed_size: 0
    .sgpr_count:     84
    .sgpr_spill_count: 0
    .symbol:         _ZL26rocblas_hemvn_kernel_upperILb1ELi64ELi4ELi33ELi32ELi16Ei19rocblas_complex_numIfEPKS1_PS1_EviT6_lT7_lT5_lS6_lS7_lS5_lT8_i.kd
    .uniform_work_group_size: 1
    .uses_dynamic_stack: false
    .vgpr_count:     237
    .vgpr_spill_count: 0
    .wavefront_size: 32
    .workgroup_processor_mode: 1
  - .args:
      - .offset:         0
        .size:           4
        .value_kind:     by_value
      - .offset:         4
        .size:           8
        .value_kind:     by_value
      - .offset:         16
        .size:           8
        .value_kind:     by_value
      - .offset:         24
        .size:           8
        .value_kind:     by_value
      - .offset:         32
        .size:           8
        .value_kind:     by_value
      - .address_space:  global
        .offset:         40
        .size:           8
        .value_kind:     global_buffer
      - .offset:         48
        .size:           8
        .value_kind:     by_value
      - .offset:         56
        .size:           4
        .value_kind:     by_value
      - .offset:         64
        .size:           8
        .value_kind:     by_value
      - .address_space:  global
        .offset:         72
        .size:           8
        .value_kind:     global_buffer
      - .offset:         80
        .size:           4
        .value_kind:     by_value
      - .offset:         88
        .size:           4
        .value_kind:     hidden_block_count_x
      - .offset:         92
        .size:           4
        .value_kind:     hidden_block_count_y
      - .offset:         96
        .size:           4
        .value_kind:     hidden_block_count_z
      - .offset:         100
        .size:           2
        .value_kind:     hidden_group_size_x
      - .offset:         102
        .size:           2
        .value_kind:     hidden_group_size_y
      - .offset:         104
        .size:           2
        .value_kind:     hidden_group_size_z
      - .offset:         106
        .size:           2
        .value_kind:     hidden_remainder_x
      - .offset:         108
        .size:           2
        .value_kind:     hidden_remainder_y
      - .offset:         110
        .size:           2
        .value_kind:     hidden_remainder_z
      - .offset:         128
        .size:           8
        .value_kind:     hidden_global_offset_x
      - .offset:         136
        .size:           8
        .value_kind:     hidden_global_offset_y
      - .offset:         144
        .size:           8
        .value_kind:     hidden_global_offset_z
      - .offset:         152
        .size:           2
        .value_kind:     hidden_grid_dims
    .group_segment_fixed_size: 0
    .kernarg_segment_align: 8
    .kernarg_segment_size: 344
    .language:       OpenCL C
    .language_version:
      - 2
      - 0
    .max_flat_workgroup_size: 64
    .name:           _ZL36rocblas_hemvn_kernel_upper_block_sumILi64Ei19rocblas_complex_numIfEPS1_S1_EviT1_lS3_lT2_lT0_lPT3_i
    .private_segment_fixed_size: 0
    .sgpr_count:     28
    .sgpr_spill_count: 0
    .symbol:         _ZL36rocblas_hemvn_kernel_upper_block_sumILi64Ei19rocblas_complex_numIfEPS1_S1_EviT1_lS3_lT2_lT0_lPT3_i.kd
    .uniform_work_group_size: 1
    .uses_dynamic_stack: false
    .vgpr_count:     11
    .vgpr_spill_count: 0
    .wavefront_size: 32
    .workgroup_processor_mode: 1
  - .args:
      - .offset:         0
        .size:           4
        .value_kind:     by_value
      - .address_space:  global
        .offset:         8
        .size:           8
        .value_kind:     global_buffer
      - .offset:         16
        .size:           8
        .value_kind:     by_value
      - .address_space:  global
        .offset:         24
        .size:           8
        .value_kind:     global_buffer
      - .offset:         32
        .size:           8
        .value_kind:     by_value
      - .offset:         40
        .size:           8
        .value_kind:     by_value
      - .offset:         48
        .size:           8
        .value_kind:     by_value
      - .address_space:  global
        .offset:         56
        .size:           8
        .value_kind:     global_buffer
      - .offset:         64
        .size:           8
        .value_kind:     by_value
      - .offset:         72
        .size:           8
        .value_kind:     by_value
      - .offset:         80
        .size:           8
        .value_kind:     by_value
      - .address_space:  global
        .offset:         88
        .size:           8
        .value_kind:     global_buffer
      - .offset:         96
        .size:           8
        .value_kind:     by_value
      - .address_space:  global
        .offset:         104
        .size:           8
        .value_kind:     global_buffer
      - .offset:         112
        .size:           4
        .value_kind:     by_value
      - .offset:         120
        .size:           4
        .value_kind:     hidden_block_count_x
      - .offset:         124
        .size:           4
        .value_kind:     hidden_block_count_y
      - .offset:         128
        .size:           4
        .value_kind:     hidden_block_count_z
      - .offset:         132
        .size:           2
        .value_kind:     hidden_group_size_x
      - .offset:         134
        .size:           2
        .value_kind:     hidden_group_size_y
      - .offset:         136
        .size:           2
        .value_kind:     hidden_group_size_z
      - .offset:         138
        .size:           2
        .value_kind:     hidden_remainder_x
      - .offset:         140
        .size:           2
        .value_kind:     hidden_remainder_y
      - .offset:         142
        .size:           2
        .value_kind:     hidden_remainder_z
      - .offset:         160
        .size:           8
        .value_kind:     hidden_global_offset_x
      - .offset:         168
        .size:           8
        .value_kind:     hidden_global_offset_y
      - .offset:         176
        .size:           8
        .value_kind:     hidden_global_offset_z
      - .offset:         184
        .size:           2
        .value_kind:     hidden_grid_dims
    .group_segment_fixed_size: 9600
    .kernarg_segment_align: 8
    .kernarg_segment_size: 376
    .language:       OpenCL C
    .language_version:
      - 2
      - 0
    .max_flat_workgroup_size: 256
    .name:           _ZL26rocblas_hemvn_kernel_lowerILb1ELi64ELi4ELi33ELi32ELi16ElPK19rocblas_complex_numIfES3_PS1_EviT6_lT7_lT5_lS6_lS7_lS5_lT8_i
    .private_segment_fixed_size: 0
    .sgpr_count:     80
    .sgpr_spill_count: 0
    .symbol:         _ZL26rocblas_hemvn_kernel_lowerILb1ELi64ELi4ELi33ELi32ELi16ElPK19rocblas_complex_numIfES3_PS1_EviT6_lT7_lT5_lS6_lS7_lS5_lT8_i.kd
    .uniform_work_group_size: 1
    .uses_dynamic_stack: false
    .vgpr_count:     142
    .vgpr_spill_count: 0
    .wavefront_size: 32
    .workgroup_processor_mode: 1
  - .args:
      - .offset:         0
        .size:           4
        .value_kind:     by_value
      - .address_space:  global
        .offset:         8
        .size:           8
        .value_kind:     global_buffer
      - .offset:         16
        .size:           8
        .value_kind:     by_value
      - .address_space:  global
        .offset:         24
        .size:           8
        .value_kind:     global_buffer
      - .offset:         32
        .size:           8
        .value_kind:     by_value
      - .address_space:  global
        .offset:         40
        .size:           8
        .value_kind:     global_buffer
      - .offset:         48
        .size:           8
        .value_kind:     by_value
      - .offset:         56
        .size:           8
        .value_kind:     by_value
      - .offset:         64
        .size:           8
        .value_kind:     by_value
      - .actual_access:  read_only
        .address_space:  global
        .offset:         72
        .size:           8
        .value_kind:     global_buffer
      - .offset:         80
        .size:           4
        .value_kind:     by_value
      - .offset:         88
        .size:           4
        .value_kind:     hidden_block_count_x
      - .offset:         92
        .size:           4
        .value_kind:     hidden_block_count_y
      - .offset:         96
        .size:           4
        .value_kind:     hidden_block_count_z
      - .offset:         100
        .size:           2
        .value_kind:     hidden_group_size_x
      - .offset:         102
        .size:           2
        .value_kind:     hidden_group_size_y
      - .offset:         104
        .size:           2
        .value_kind:     hidden_group_size_z
      - .offset:         106
        .size:           2
        .value_kind:     hidden_remainder_x
      - .offset:         108
        .size:           2
        .value_kind:     hidden_remainder_y
      - .offset:         110
        .size:           2
        .value_kind:     hidden_remainder_z
      - .offset:         128
        .size:           8
        .value_kind:     hidden_global_offset_x
      - .offset:         136
        .size:           8
        .value_kind:     hidden_global_offset_y
      - .offset:         144
        .size:           8
        .value_kind:     hidden_global_offset_z
      - .offset:         152
        .size:           2
        .value_kind:     hidden_grid_dims
    .group_segment_fixed_size: 0
    .kernarg_segment_align: 8
    .kernarg_segment_size: 344
    .language:       OpenCL C
    .language_version:
      - 2
      - 0
    .max_flat_workgroup_size: 64
    .name:           _ZL36rocblas_hemvn_kernel_lower_block_sumILi64ElPK19rocblas_complex_numIfEPS1_S1_EviT1_lS5_lT2_lT0_lPT3_i
    .private_segment_fixed_size: 0
    .sgpr_count:     34
    .sgpr_spill_count: 0
    .symbol:         _ZL36rocblas_hemvn_kernel_lower_block_sumILi64ElPK19rocblas_complex_numIfEPS1_S1_EviT1_lS5_lT2_lT0_lPT3_i.kd
    .uniform_work_group_size: 1
    .uses_dynamic_stack: false
    .vgpr_count:     10
    .vgpr_spill_count: 0
    .wavefront_size: 32
    .workgroup_processor_mode: 1
  - .args:
      - .offset:         0
        .size:           4
        .value_kind:     by_value
      - .address_space:  global
        .offset:         8
        .size:           8
        .value_kind:     global_buffer
      - .offset:         16
        .size:           8
        .value_kind:     by_value
      - .address_space:  global
        .offset:         24
        .size:           8
        .value_kind:     global_buffer
      - .offset:         32
        .size:           8
        .value_kind:     by_value
      - .offset:         40
        .size:           4
        .value_kind:     by_value
      - .offset:         48
        .size:           8
        .value_kind:     by_value
      - .address_space:  global
        .offset:         56
        .size:           8
        .value_kind:     global_buffer
      - .offset:         64
        .size:           8
        .value_kind:     by_value
      - .offset:         72
        .size:           4
        .value_kind:     by_value
      - .offset:         80
        .size:           8
        .value_kind:     by_value
      - .address_space:  global
        .offset:         88
        .size:           8
        .value_kind:     global_buffer
      - .offset:         96
        .size:           8
        .value_kind:     by_value
      - .address_space:  global
        .offset:         104
        .size:           8
        .value_kind:     global_buffer
      - .offset:         112
        .size:           4
        .value_kind:     by_value
      - .offset:         120
        .size:           4
        .value_kind:     hidden_block_count_x
      - .offset:         124
        .size:           4
        .value_kind:     hidden_block_count_y
      - .offset:         128
        .size:           4
        .value_kind:     hidden_block_count_z
      - .offset:         132
        .size:           2
        .value_kind:     hidden_group_size_x
      - .offset:         134
        .size:           2
        .value_kind:     hidden_group_size_y
      - .offset:         136
        .size:           2
        .value_kind:     hidden_group_size_z
      - .offset:         138
        .size:           2
        .value_kind:     hidden_remainder_x
      - .offset:         140
        .size:           2
        .value_kind:     hidden_remainder_y
      - .offset:         142
        .size:           2
        .value_kind:     hidden_remainder_z
      - .offset:         160
        .size:           8
        .value_kind:     hidden_global_offset_x
      - .offset:         168
        .size:           8
        .value_kind:     hidden_global_offset_y
      - .offset:         176
        .size:           8
        .value_kind:     hidden_global_offset_z
      - .offset:         184
        .size:           2
        .value_kind:     hidden_grid_dims
    .group_segment_fixed_size: 9600
    .kernarg_segment_align: 8
    .kernarg_segment_size: 376
    .language:       OpenCL C
    .language_version:
      - 2
      - 0
    .max_flat_workgroup_size: 256
    .name:           _ZL26rocblas_hemvn_kernel_lowerILb1ELi64ELi4ELi33ELi32ELi16EiPK19rocblas_complex_numIfES3_PS1_EviT6_lT7_lT5_lS6_lS7_lS5_lT8_i
    .private_segment_fixed_size: 0
    .sgpr_count:     82
    .sgpr_spill_count: 0
    .symbol:         _ZL26rocblas_hemvn_kernel_lowerILb1ELi64ELi4ELi33ELi32ELi16EiPK19rocblas_complex_numIfES3_PS1_EviT6_lT7_lT5_lS6_lS7_lS5_lT8_i.kd
    .uniform_work_group_size: 1
    .uses_dynamic_stack: false
    .vgpr_count:     135
    .vgpr_spill_count: 0
    .wavefront_size: 32
    .workgroup_processor_mode: 1
  - .args:
      - .offset:         0
        .size:           4
        .value_kind:     by_value
      - .address_space:  global
        .offset:         8
        .size:           8
        .value_kind:     global_buffer
      - .offset:         16
        .size:           8
        .value_kind:     by_value
      - .address_space:  global
        .offset:         24
        .size:           8
        .value_kind:     global_buffer
      - .offset:         32
        .size:           8
        .value_kind:     by_value
      - .address_space:  global
        .offset:         40
        .size:           8
        .value_kind:     global_buffer
      - .offset:         48
        .size:           8
        .value_kind:     by_value
      - .offset:         56
        .size:           4
        .value_kind:     by_value
      - .offset:         64
        .size:           8
        .value_kind:     by_value
      - .actual_access:  read_only
        .address_space:  global
        .offset:         72
        .size:           8
        .value_kind:     global_buffer
      - .offset:         80
        .size:           4
        .value_kind:     by_value
      - .offset:         88
        .size:           4
        .value_kind:     hidden_block_count_x
      - .offset:         92
        .size:           4
        .value_kind:     hidden_block_count_y
      - .offset:         96
        .size:           4
        .value_kind:     hidden_block_count_z
      - .offset:         100
        .size:           2
        .value_kind:     hidden_group_size_x
      - .offset:         102
        .size:           2
        .value_kind:     hidden_group_size_y
      - .offset:         104
        .size:           2
        .value_kind:     hidden_group_size_z
      - .offset:         106
        .size:           2
        .value_kind:     hidden_remainder_x
      - .offset:         108
        .size:           2
        .value_kind:     hidden_remainder_y
      - .offset:         110
        .size:           2
        .value_kind:     hidden_remainder_z
      - .offset:         128
        .size:           8
        .value_kind:     hidden_global_offset_x
      - .offset:         136
        .size:           8
        .value_kind:     hidden_global_offset_y
      - .offset:         144
        .size:           8
        .value_kind:     hidden_global_offset_z
      - .offset:         152
        .size:           2
        .value_kind:     hidden_grid_dims
    .group_segment_fixed_size: 0
    .kernarg_segment_align: 8
    .kernarg_segment_size: 344
    .language:       OpenCL C
    .language_version:
      - 2
      - 0
    .max_flat_workgroup_size: 64
    .name:           _ZL36rocblas_hemvn_kernel_lower_block_sumILi64EiPK19rocblas_complex_numIfEPS1_S1_EviT1_lS5_lT2_lT0_lPT3_i
    .private_segment_fixed_size: 0
    .sgpr_count:     34
    .sgpr_spill_count: 0
    .symbol:         _ZL36rocblas_hemvn_kernel_lower_block_sumILi64EiPK19rocblas_complex_numIfEPS1_S1_EviT1_lS5_lT2_lT0_lPT3_i.kd
    .uniform_work_group_size: 1
    .uses_dynamic_stack: false
    .vgpr_count:     10
    .vgpr_spill_count: 0
    .wavefront_size: 32
    .workgroup_processor_mode: 1
  - .args:
      - .offset:         0
        .size:           4
        .value_kind:     by_value
      - .offset:         4
        .size:           8
        .value_kind:     by_value
      - .offset:         16
        .size:           8
        .value_kind:     by_value
      - .address_space:  global
        .offset:         24
        .size:           8
        .value_kind:     global_buffer
      - .offset:         32
        .size:           8
        .value_kind:     by_value
      - .offset:         40
        .size:           8
        .value_kind:     by_value
      - .offset:         48
        .size:           8
        .value_kind:     by_value
      - .address_space:  global
        .offset:         56
        .size:           8
        .value_kind:     global_buffer
      - .offset:         64
        .size:           8
        .value_kind:     by_value
      - .offset:         72
        .size:           8
        .value_kind:     by_value
      - .offset:         80
        .size:           8
        .value_kind:     by_value
      - .offset:         88
        .size:           8
        .value_kind:     by_value
      - .offset:         96
        .size:           8
        .value_kind:     by_value
      - .address_space:  global
        .offset:         104
        .size:           8
        .value_kind:     global_buffer
      - .offset:         112
        .size:           4
        .value_kind:     by_value
      - .offset:         120
        .size:           4
        .value_kind:     hidden_block_count_x
      - .offset:         124
        .size:           4
        .value_kind:     hidden_block_count_y
      - .offset:         128
        .size:           4
        .value_kind:     hidden_block_count_z
      - .offset:         132
        .size:           2
        .value_kind:     hidden_group_size_x
      - .offset:         134
        .size:           2
        .value_kind:     hidden_group_size_y
      - .offset:         136
        .size:           2
        .value_kind:     hidden_group_size_z
      - .offset:         138
        .size:           2
        .value_kind:     hidden_remainder_x
      - .offset:         140
        .size:           2
        .value_kind:     hidden_remainder_y
      - .offset:         142
        .size:           2
        .value_kind:     hidden_remainder_z
      - .offset:         160
        .size:           8
        .value_kind:     hidden_global_offset_x
      - .offset:         168
        .size:           8
        .value_kind:     hidden_global_offset_y
      - .offset:         176
        .size:           8
        .value_kind:     hidden_global_offset_z
      - .offset:         184
        .size:           2
        .value_kind:     hidden_grid_dims
    .group_segment_fixed_size: 9600
    .kernarg_segment_align: 8
    .kernarg_segment_size: 376
    .language:       OpenCL C
    .language_version:
      - 2
      - 0
    .max_flat_workgroup_size: 256
    .name:           _ZL26rocblas_hemvn_kernel_lowerILb1ELi64ELi4ELi33ELi32ELi16El19rocblas_complex_numIfEPKS1_PS1_EviT6_lT7_lT5_lS6_lS7_lS5_lT8_i
    .private_segment_fixed_size: 0
    .sgpr_count:     72
    .sgpr_spill_count: 0
    .symbol:         _ZL26rocblas_hemvn_kernel_lowerILb1ELi64ELi4ELi33ELi32ELi16El19rocblas_complex_numIfEPKS1_PS1_EviT6_lT7_lT5_lS6_lS7_lS5_lT8_i.kd
    .uniform_work_group_size: 1
    .uses_dynamic_stack: false
    .vgpr_count:     143
    .vgpr_spill_count: 0
    .wavefront_size: 32
    .workgroup_processor_mode: 1
  - .args:
      - .offset:         0
        .size:           4
        .value_kind:     by_value
      - .offset:         4
        .size:           8
        .value_kind:     by_value
      - .offset:         16
        .size:           8
        .value_kind:     by_value
      - .offset:         24
        .size:           8
        .value_kind:     by_value
      - .offset:         32
        .size:           8
        .value_kind:     by_value
      - .address_space:  global
        .offset:         40
        .size:           8
        .value_kind:     global_buffer
      - .offset:         48
        .size:           8
        .value_kind:     by_value
      - .offset:         56
        .size:           8
        .value_kind:     by_value
      - .offset:         64
        .size:           8
        .value_kind:     by_value
      - .actual_access:  read_only
        .address_space:  global
        .offset:         72
        .size:           8
        .value_kind:     global_buffer
      - .offset:         80
        .size:           4
        .value_kind:     by_value
      - .offset:         88
        .size:           4
        .value_kind:     hidden_block_count_x
      - .offset:         92
        .size:           4
        .value_kind:     hidden_block_count_y
      - .offset:         96
        .size:           4
        .value_kind:     hidden_block_count_z
      - .offset:         100
        .size:           2
        .value_kind:     hidden_group_size_x
      - .offset:         102
        .size:           2
        .value_kind:     hidden_group_size_y
      - .offset:         104
        .size:           2
        .value_kind:     hidden_group_size_z
      - .offset:         106
        .size:           2
        .value_kind:     hidden_remainder_x
      - .offset:         108
        .size:           2
        .value_kind:     hidden_remainder_y
      - .offset:         110
        .size:           2
        .value_kind:     hidden_remainder_z
      - .offset:         128
        .size:           8
        .value_kind:     hidden_global_offset_x
      - .offset:         136
        .size:           8
        .value_kind:     hidden_global_offset_y
      - .offset:         144
        .size:           8
        .value_kind:     hidden_global_offset_z
      - .offset:         152
        .size:           2
        .value_kind:     hidden_grid_dims
    .group_segment_fixed_size: 0
    .kernarg_segment_align: 8
    .kernarg_segment_size: 344
    .language:       OpenCL C
    .language_version:
      - 2
      - 0
    .max_flat_workgroup_size: 64
    .name:           _ZL36rocblas_hemvn_kernel_lower_block_sumILi64El19rocblas_complex_numIfEPS1_S1_EviT1_lS3_lT2_lT0_lPT3_i
    .private_segment_fixed_size: 0
    .sgpr_count:     30
    .sgpr_spill_count: 0
    .symbol:         _ZL36rocblas_hemvn_kernel_lower_block_sumILi64El19rocblas_complex_numIfEPS1_S1_EviT1_lS3_lT2_lT0_lPT3_i.kd
    .uniform_work_group_size: 1
    .uses_dynamic_stack: false
    .vgpr_count:     11
    .vgpr_spill_count: 0
    .wavefront_size: 32
    .workgroup_processor_mode: 1
  - .args:
      - .offset:         0
        .size:           4
        .value_kind:     by_value
      - .offset:         4
        .size:           8
        .value_kind:     by_value
      - .offset:         16
        .size:           8
        .value_kind:     by_value
      - .address_space:  global
        .offset:         24
        .size:           8
        .value_kind:     global_buffer
      - .offset:         32
        .size:           8
        .value_kind:     by_value
      - .offset:         40
        .size:           4
        .value_kind:     by_value
      - .offset:         48
        .size:           8
        .value_kind:     by_value
      - .address_space:  global
        .offset:         56
        .size:           8
        .value_kind:     global_buffer
      - .offset:         64
        .size:           8
        .value_kind:     by_value
      - .offset:         72
        .size:           4
        .value_kind:     by_value
      - .offset:         80
        .size:           8
        .value_kind:     by_value
      - .offset:         88
        .size:           8
        .value_kind:     by_value
      - .offset:         96
        .size:           8
        .value_kind:     by_value
      - .address_space:  global
        .offset:         104
        .size:           8
        .value_kind:     global_buffer
      - .offset:         112
        .size:           4
        .value_kind:     by_value
      - .offset:         120
        .size:           4
        .value_kind:     hidden_block_count_x
      - .offset:         124
        .size:           4
        .value_kind:     hidden_block_count_y
      - .offset:         128
        .size:           4
        .value_kind:     hidden_block_count_z
      - .offset:         132
        .size:           2
        .value_kind:     hidden_group_size_x
      - .offset:         134
        .size:           2
        .value_kind:     hidden_group_size_y
      - .offset:         136
        .size:           2
        .value_kind:     hidden_group_size_z
      - .offset:         138
        .size:           2
        .value_kind:     hidden_remainder_x
      - .offset:         140
        .size:           2
        .value_kind:     hidden_remainder_y
      - .offset:         142
        .size:           2
        .value_kind:     hidden_remainder_z
      - .offset:         160
        .size:           8
        .value_kind:     hidden_global_offset_x
      - .offset:         168
        .size:           8
        .value_kind:     hidden_global_offset_y
      - .offset:         176
        .size:           8
        .value_kind:     hidden_global_offset_z
      - .offset:         184
        .size:           2
        .value_kind:     hidden_grid_dims
    .group_segment_fixed_size: 9600
    .kernarg_segment_align: 8
    .kernarg_segment_size: 376
    .language:       OpenCL C
    .language_version:
      - 2
      - 0
    .max_flat_workgroup_size: 256
    .name:           _ZL26rocblas_hemvn_kernel_lowerILb1ELi64ELi4ELi33ELi32ELi16Ei19rocblas_complex_numIfEPKS1_PS1_EviT6_lT7_lT5_lS6_lS7_lS5_lT8_i
    .private_segment_fixed_size: 0
    .sgpr_count:     74
    .sgpr_spill_count: 0
    .symbol:         _ZL26rocblas_hemvn_kernel_lowerILb1ELi64ELi4ELi33ELi32ELi16Ei19rocblas_complex_numIfEPKS1_PS1_EviT6_lT7_lT5_lS6_lS7_lS5_lT8_i.kd
    .uniform_work_group_size: 1
    .uses_dynamic_stack: false
    .vgpr_count:     145
    .vgpr_spill_count: 0
    .wavefront_size: 32
    .workgroup_processor_mode: 1
  - .args:
      - .offset:         0
        .size:           4
        .value_kind:     by_value
      - .offset:         4
        .size:           8
        .value_kind:     by_value
      - .offset:         16
        .size:           8
        .value_kind:     by_value
      - .offset:         24
        .size:           8
        .value_kind:     by_value
      - .offset:         32
        .size:           8
        .value_kind:     by_value
      - .address_space:  global
        .offset:         40
        .size:           8
        .value_kind:     global_buffer
      - .offset:         48
        .size:           8
        .value_kind:     by_value
      - .offset:         56
        .size:           4
        .value_kind:     by_value
      - .offset:         64
        .size:           8
        .value_kind:     by_value
      - .actual_access:  read_only
        .address_space:  global
        .offset:         72
        .size:           8
        .value_kind:     global_buffer
      - .offset:         80
        .size:           4
        .value_kind:     by_value
      - .offset:         88
        .size:           4
        .value_kind:     hidden_block_count_x
      - .offset:         92
        .size:           4
        .value_kind:     hidden_block_count_y
      - .offset:         96
        .size:           4
        .value_kind:     hidden_block_count_z
      - .offset:         100
        .size:           2
        .value_kind:     hidden_group_size_x
      - .offset:         102
        .size:           2
        .value_kind:     hidden_group_size_y
      - .offset:         104
        .size:           2
        .value_kind:     hidden_group_size_z
      - .offset:         106
        .size:           2
        .value_kind:     hidden_remainder_x
      - .offset:         108
        .size:           2
        .value_kind:     hidden_remainder_y
      - .offset:         110
        .size:           2
        .value_kind:     hidden_remainder_z
      - .offset:         128
        .size:           8
        .value_kind:     hidden_global_offset_x
      - .offset:         136
        .size:           8
        .value_kind:     hidden_global_offset_y
      - .offset:         144
        .size:           8
        .value_kind:     hidden_global_offset_z
      - .offset:         152
        .size:           2
        .value_kind:     hidden_grid_dims
    .group_segment_fixed_size: 0
    .kernarg_segment_align: 8
    .kernarg_segment_size: 344
    .language:       OpenCL C
    .language_version:
      - 2
      - 0
    .max_flat_workgroup_size: 64
    .name:           _ZL36rocblas_hemvn_kernel_lower_block_sumILi64Ei19rocblas_complex_numIfEPS1_S1_EviT1_lS3_lT2_lT0_lPT3_i
    .private_segment_fixed_size: 0
    .sgpr_count:     30
    .sgpr_spill_count: 0
    .symbol:         _ZL36rocblas_hemvn_kernel_lower_block_sumILi64Ei19rocblas_complex_numIfEPS1_S1_EviT1_lS3_lT2_lT0_lPT3_i.kd
    .uniform_work_group_size: 1
    .uses_dynamic_stack: false
    .vgpr_count:     11
    .vgpr_spill_count: 0
    .wavefront_size: 32
    .workgroup_processor_mode: 1
  - .args:
      - .offset:         0
        .size:           4
        .value_kind:     by_value
      - .address_space:  global
        .offset:         8
        .size:           8
        .value_kind:     global_buffer
      - .offset:         16
        .size:           8
        .value_kind:     by_value
      - .address_space:  global
        .offset:         24
        .size:           8
        .value_kind:     global_buffer
      - .offset:         32
        .size:           8
        .value_kind:     by_value
      - .offset:         40
        .size:           8
        .value_kind:     by_value
      - .offset:         48
        .size:           8
        .value_kind:     by_value
      - .address_space:  global
        .offset:         56
        .size:           8
        .value_kind:     global_buffer
      - .offset:         64
        .size:           8
        .value_kind:     by_value
      - .offset:         72
        .size:           8
        .value_kind:     by_value
      - .offset:         80
        .size:           8
        .value_kind:     by_value
      - .address_space:  global
        .offset:         88
        .size:           8
        .value_kind:     global_buffer
      - .offset:         96
        .size:           8
        .value_kind:     by_value
      - .address_space:  global
        .offset:         104
        .size:           8
        .value_kind:     global_buffer
      - .offset:         112
        .size:           4
        .value_kind:     by_value
      - .offset:         120
        .size:           4
        .value_kind:     hidden_block_count_x
      - .offset:         124
        .size:           4
        .value_kind:     hidden_block_count_y
      - .offset:         128
        .size:           4
        .value_kind:     hidden_block_count_z
      - .offset:         132
        .size:           2
        .value_kind:     hidden_group_size_x
      - .offset:         134
        .size:           2
        .value_kind:     hidden_group_size_y
      - .offset:         136
        .size:           2
        .value_kind:     hidden_group_size_z
      - .offset:         138
        .size:           2
        .value_kind:     hidden_remainder_x
      - .offset:         140
        .size:           2
        .value_kind:     hidden_remainder_y
      - .offset:         142
        .size:           2
        .value_kind:     hidden_remainder_z
      - .offset:         160
        .size:           8
        .value_kind:     hidden_global_offset_x
      - .offset:         168
        .size:           8
        .value_kind:     hidden_global_offset_y
      - .offset:         176
        .size:           8
        .value_kind:     hidden_global_offset_z
      - .offset:         184
        .size:           2
        .value_kind:     hidden_grid_dims
    .group_segment_fixed_size: 19200
    .kernarg_segment_align: 8
    .kernarg_segment_size: 376
    .language:       OpenCL C
    .language_version:
      - 2
      - 0
    .max_flat_workgroup_size: 256
    .name:           _ZL26rocblas_hemvn_kernel_upperILb1ELi64ELi4ELi33ELi32ELi16ElPK19rocblas_complex_numIdES3_PS1_EviT6_lT7_lT5_lS6_lS7_lS5_lT8_i
    .private_segment_fixed_size: 144
    .sgpr_count:     80
    .sgpr_spill_count: 0
    .symbol:         _ZL26rocblas_hemvn_kernel_upperILb1ELi64ELi4ELi33ELi32ELi16ElPK19rocblas_complex_numIdES3_PS1_EviT6_lT7_lT5_lS6_lS7_lS5_lT8_i.kd
    .uniform_work_group_size: 1
    .uses_dynamic_stack: false
    .vgpr_count:     256
    .vgpr_spill_count: 35
    .wavefront_size: 32
    .workgroup_processor_mode: 1
  - .args:
      - .offset:         0
        .size:           4
        .value_kind:     by_value
      - .address_space:  global
        .offset:         8
        .size:           8
        .value_kind:     global_buffer
      - .offset:         16
        .size:           8
        .value_kind:     by_value
      - .address_space:  global
        .offset:         24
        .size:           8
        .value_kind:     global_buffer
      - .offset:         32
        .size:           8
        .value_kind:     by_value
      - .address_space:  global
        .offset:         40
        .size:           8
        .value_kind:     global_buffer
      - .offset:         48
        .size:           8
        .value_kind:     by_value
      - .offset:         56
        .size:           8
        .value_kind:     by_value
      - .offset:         64
        .size:           8
        .value_kind:     by_value
      - .address_space:  global
        .offset:         72
        .size:           8
        .value_kind:     global_buffer
      - .offset:         80
        .size:           4
        .value_kind:     by_value
      - .offset:         88
        .size:           4
        .value_kind:     hidden_block_count_x
      - .offset:         92
        .size:           4
        .value_kind:     hidden_block_count_y
      - .offset:         96
        .size:           4
        .value_kind:     hidden_block_count_z
      - .offset:         100
        .size:           2
        .value_kind:     hidden_group_size_x
      - .offset:         102
        .size:           2
        .value_kind:     hidden_group_size_y
      - .offset:         104
        .size:           2
        .value_kind:     hidden_group_size_z
      - .offset:         106
        .size:           2
        .value_kind:     hidden_remainder_x
      - .offset:         108
        .size:           2
        .value_kind:     hidden_remainder_y
      - .offset:         110
        .size:           2
        .value_kind:     hidden_remainder_z
      - .offset:         128
        .size:           8
        .value_kind:     hidden_global_offset_x
      - .offset:         136
        .size:           8
        .value_kind:     hidden_global_offset_y
      - .offset:         144
        .size:           8
        .value_kind:     hidden_global_offset_z
      - .offset:         152
        .size:           2
        .value_kind:     hidden_grid_dims
    .group_segment_fixed_size: 0
    .kernarg_segment_align: 8
    .kernarg_segment_size: 344
    .language:       OpenCL C
    .language_version:
      - 2
      - 0
    .max_flat_workgroup_size: 64
    .name:           _ZL36rocblas_hemvn_kernel_upper_block_sumILi64ElPK19rocblas_complex_numIdEPS1_S1_EviT1_lS5_lT2_lT0_lPT3_i
    .private_segment_fixed_size: 0
    .sgpr_count:     40
    .sgpr_spill_count: 0
    .symbol:         _ZL36rocblas_hemvn_kernel_upper_block_sumILi64ElPK19rocblas_complex_numIdEPS1_S1_EviT1_lS5_lT2_lT0_lPT3_i.kd
    .uniform_work_group_size: 1
    .uses_dynamic_stack: false
    .vgpr_count:     14
    .vgpr_spill_count: 0
    .wavefront_size: 32
    .workgroup_processor_mode: 1
  - .args:
      - .offset:         0
        .size:           4
        .value_kind:     by_value
      - .address_space:  global
        .offset:         8
        .size:           8
        .value_kind:     global_buffer
      - .offset:         16
        .size:           8
        .value_kind:     by_value
      - .address_space:  global
        .offset:         24
        .size:           8
        .value_kind:     global_buffer
      - .offset:         32
        .size:           8
        .value_kind:     by_value
      - .offset:         40
        .size:           4
        .value_kind:     by_value
      - .offset:         48
        .size:           8
        .value_kind:     by_value
      - .address_space:  global
        .offset:         56
        .size:           8
        .value_kind:     global_buffer
      - .offset:         64
        .size:           8
        .value_kind:     by_value
      - .offset:         72
        .size:           4
        .value_kind:     by_value
      - .offset:         80
        .size:           8
        .value_kind:     by_value
      - .address_space:  global
        .offset:         88
        .size:           8
        .value_kind:     global_buffer
      - .offset:         96
        .size:           8
        .value_kind:     by_value
      - .address_space:  global
        .offset:         104
        .size:           8
        .value_kind:     global_buffer
      - .offset:         112
        .size:           4
        .value_kind:     by_value
      - .offset:         120
        .size:           4
        .value_kind:     hidden_block_count_x
      - .offset:         124
        .size:           4
        .value_kind:     hidden_block_count_y
      - .offset:         128
        .size:           4
        .value_kind:     hidden_block_count_z
      - .offset:         132
        .size:           2
        .value_kind:     hidden_group_size_x
      - .offset:         134
        .size:           2
        .value_kind:     hidden_group_size_y
      - .offset:         136
        .size:           2
        .value_kind:     hidden_group_size_z
      - .offset:         138
        .size:           2
        .value_kind:     hidden_remainder_x
      - .offset:         140
        .size:           2
        .value_kind:     hidden_remainder_y
      - .offset:         142
        .size:           2
        .value_kind:     hidden_remainder_z
      - .offset:         160
        .size:           8
        .value_kind:     hidden_global_offset_x
      - .offset:         168
        .size:           8
        .value_kind:     hidden_global_offset_y
      - .offset:         176
        .size:           8
        .value_kind:     hidden_global_offset_z
      - .offset:         184
        .size:           2
        .value_kind:     hidden_grid_dims
    .group_segment_fixed_size: 19200
    .kernarg_segment_align: 8
    .kernarg_segment_size: 376
    .language:       OpenCL C
    .language_version:
      - 2
      - 0
    .max_flat_workgroup_size: 256
    .name:           _ZL26rocblas_hemvn_kernel_upperILb1ELi64ELi4ELi33ELi32ELi16EiPK19rocblas_complex_numIdES3_PS1_EviT6_lT7_lT5_lS6_lS7_lS5_lT8_i
    .private_segment_fixed_size: 204
    .sgpr_count:     90
    .sgpr_spill_count: 0
    .symbol:         _ZL26rocblas_hemvn_kernel_upperILb1ELi64ELi4ELi33ELi32ELi16EiPK19rocblas_complex_numIdES3_PS1_EviT6_lT7_lT5_lS6_lS7_lS5_lT8_i.kd
    .uniform_work_group_size: 1
    .uses_dynamic_stack: false
    .vgpr_count:     256
    .vgpr_spill_count: 50
    .wavefront_size: 32
    .workgroup_processor_mode: 1
  - .args:
      - .offset:         0
        .size:           4
        .value_kind:     by_value
      - .address_space:  global
        .offset:         8
        .size:           8
        .value_kind:     global_buffer
      - .offset:         16
        .size:           8
        .value_kind:     by_value
      - .address_space:  global
        .offset:         24
        .size:           8
        .value_kind:     global_buffer
      - .offset:         32
        .size:           8
        .value_kind:     by_value
      - .address_space:  global
        .offset:         40
        .size:           8
        .value_kind:     global_buffer
      - .offset:         48
        .size:           8
        .value_kind:     by_value
      - .offset:         56
        .size:           4
        .value_kind:     by_value
      - .offset:         64
        .size:           8
        .value_kind:     by_value
      - .address_space:  global
        .offset:         72
        .size:           8
        .value_kind:     global_buffer
      - .offset:         80
        .size:           4
        .value_kind:     by_value
      - .offset:         88
        .size:           4
        .value_kind:     hidden_block_count_x
      - .offset:         92
        .size:           4
        .value_kind:     hidden_block_count_y
      - .offset:         96
        .size:           4
        .value_kind:     hidden_block_count_z
      - .offset:         100
        .size:           2
        .value_kind:     hidden_group_size_x
      - .offset:         102
        .size:           2
        .value_kind:     hidden_group_size_y
      - .offset:         104
        .size:           2
        .value_kind:     hidden_group_size_z
      - .offset:         106
        .size:           2
        .value_kind:     hidden_remainder_x
      - .offset:         108
        .size:           2
        .value_kind:     hidden_remainder_y
      - .offset:         110
        .size:           2
        .value_kind:     hidden_remainder_z
      - .offset:         128
        .size:           8
        .value_kind:     hidden_global_offset_x
      - .offset:         136
        .size:           8
        .value_kind:     hidden_global_offset_y
      - .offset:         144
        .size:           8
        .value_kind:     hidden_global_offset_z
      - .offset:         152
        .size:           2
        .value_kind:     hidden_grid_dims
    .group_segment_fixed_size: 0
    .kernarg_segment_align: 8
    .kernarg_segment_size: 344
    .language:       OpenCL C
    .language_version:
      - 2
      - 0
    .max_flat_workgroup_size: 64
    .name:           _ZL36rocblas_hemvn_kernel_upper_block_sumILi64EiPK19rocblas_complex_numIdEPS1_S1_EviT1_lS5_lT2_lT0_lPT3_i
    .private_segment_fixed_size: 0
    .sgpr_count:     40
    .sgpr_spill_count: 0
    .symbol:         _ZL36rocblas_hemvn_kernel_upper_block_sumILi64EiPK19rocblas_complex_numIdEPS1_S1_EviT1_lS5_lT2_lT0_lPT3_i.kd
    .uniform_work_group_size: 1
    .uses_dynamic_stack: false
    .vgpr_count:     14
    .vgpr_spill_count: 0
    .wavefront_size: 32
    .workgroup_processor_mode: 1
  - .args:
      - .offset:         0
        .size:           4
        .value_kind:     by_value
      - .offset:         8
        .size:           16
        .value_kind:     by_value
      - .offset:         24
        .size:           8
        .value_kind:     by_value
      - .address_space:  global
        .offset:         32
        .size:           8
        .value_kind:     global_buffer
      - .offset:         40
        .size:           8
        .value_kind:     by_value
      - .offset:         48
        .size:           8
        .value_kind:     by_value
      - .offset:         56
        .size:           8
        .value_kind:     by_value
      - .address_space:  global
        .offset:         64
        .size:           8
        .value_kind:     global_buffer
      - .offset:         72
        .size:           8
        .value_kind:     by_value
      - .offset:         80
        .size:           8
        .value_kind:     by_value
      - .offset:         88
        .size:           8
        .value_kind:     by_value
      - .offset:         96
        .size:           16
        .value_kind:     by_value
      - .offset:         112
        .size:           8
        .value_kind:     by_value
      - .address_space:  global
        .offset:         120
        .size:           8
        .value_kind:     global_buffer
      - .offset:         128
        .size:           4
        .value_kind:     by_value
      - .offset:         136
        .size:           4
        .value_kind:     hidden_block_count_x
      - .offset:         140
        .size:           4
        .value_kind:     hidden_block_count_y
      - .offset:         144
        .size:           4
        .value_kind:     hidden_block_count_z
      - .offset:         148
        .size:           2
        .value_kind:     hidden_group_size_x
      - .offset:         150
        .size:           2
        .value_kind:     hidden_group_size_y
      - .offset:         152
        .size:           2
        .value_kind:     hidden_group_size_z
      - .offset:         154
        .size:           2
        .value_kind:     hidden_remainder_x
      - .offset:         156
        .size:           2
        .value_kind:     hidden_remainder_y
      - .offset:         158
        .size:           2
        .value_kind:     hidden_remainder_z
      - .offset:         176
        .size:           8
        .value_kind:     hidden_global_offset_x
      - .offset:         184
        .size:           8
        .value_kind:     hidden_global_offset_y
      - .offset:         192
        .size:           8
        .value_kind:     hidden_global_offset_z
      - .offset:         200
        .size:           2
        .value_kind:     hidden_grid_dims
    .group_segment_fixed_size: 19200
    .kernarg_segment_align: 8
    .kernarg_segment_size: 392
    .language:       OpenCL C
    .language_version:
      - 2
      - 0
    .max_flat_workgroup_size: 256
    .name:           _ZL26rocblas_hemvn_kernel_upperILb1ELi64ELi4ELi33ELi32ELi16El19rocblas_complex_numIdEPKS1_PS1_EviT6_lT7_lT5_lS6_lS7_lS5_lT8_i
    .private_segment_fixed_size: 148
    .sgpr_count:     72
    .sgpr_spill_count: 0
    .symbol:         _ZL26rocblas_hemvn_kernel_upperILb1ELi64ELi4ELi33ELi32ELi16El19rocblas_complex_numIdEPKS1_PS1_EviT6_lT7_lT5_lS6_lS7_lS5_lT8_i.kd
    .uniform_work_group_size: 1
    .uses_dynamic_stack: false
    .vgpr_count:     256
    .vgpr_spill_count: 36
    .wavefront_size: 32
    .workgroup_processor_mode: 1
  - .args:
      - .offset:         0
        .size:           4
        .value_kind:     by_value
      - .offset:         8
        .size:           16
        .value_kind:     by_value
      - .offset:         24
        .size:           8
        .value_kind:     by_value
      - .offset:         32
        .size:           16
        .value_kind:     by_value
      - .offset:         48
        .size:           8
        .value_kind:     by_value
      - .address_space:  global
        .offset:         56
        .size:           8
        .value_kind:     global_buffer
      - .offset:         64
        .size:           8
        .value_kind:     by_value
      - .offset:         72
        .size:           8
        .value_kind:     by_value
      - .offset:         80
        .size:           8
        .value_kind:     by_value
      - .address_space:  global
        .offset:         88
        .size:           8
        .value_kind:     global_buffer
      - .offset:         96
        .size:           4
        .value_kind:     by_value
      - .offset:         104
        .size:           4
        .value_kind:     hidden_block_count_x
      - .offset:         108
        .size:           4
        .value_kind:     hidden_block_count_y
      - .offset:         112
        .size:           4
        .value_kind:     hidden_block_count_z
      - .offset:         116
        .size:           2
        .value_kind:     hidden_group_size_x
      - .offset:         118
        .size:           2
        .value_kind:     hidden_group_size_y
      - .offset:         120
        .size:           2
        .value_kind:     hidden_group_size_z
      - .offset:         122
        .size:           2
        .value_kind:     hidden_remainder_x
      - .offset:         124
        .size:           2
        .value_kind:     hidden_remainder_y
      - .offset:         126
        .size:           2
        .value_kind:     hidden_remainder_z
      - .offset:         144
        .size:           8
        .value_kind:     hidden_global_offset_x
      - .offset:         152
        .size:           8
        .value_kind:     hidden_global_offset_y
      - .offset:         160
        .size:           8
        .value_kind:     hidden_global_offset_z
      - .offset:         168
        .size:           2
        .value_kind:     hidden_grid_dims
    .group_segment_fixed_size: 0
    .kernarg_segment_align: 8
    .kernarg_segment_size: 360
    .language:       OpenCL C
    .language_version:
      - 2
      - 0
    .max_flat_workgroup_size: 64
    .name:           _ZL36rocblas_hemvn_kernel_upper_block_sumILi64El19rocblas_complex_numIdEPS1_S1_EviT1_lS3_lT2_lT0_lPT3_i
    .private_segment_fixed_size: 0
    .sgpr_count:     34
    .sgpr_spill_count: 0
    .symbol:         _ZL36rocblas_hemvn_kernel_upper_block_sumILi64El19rocblas_complex_numIdEPS1_S1_EviT1_lS3_lT2_lT0_lPT3_i.kd
    .uniform_work_group_size: 1
    .uses_dynamic_stack: false
    .vgpr_count:     15
    .vgpr_spill_count: 0
    .wavefront_size: 32
    .workgroup_processor_mode: 1
  - .args:
      - .offset:         0
        .size:           4
        .value_kind:     by_value
      - .offset:         8
        .size:           16
        .value_kind:     by_value
      - .offset:         24
        .size:           8
        .value_kind:     by_value
      - .address_space:  global
        .offset:         32
        .size:           8
        .value_kind:     global_buffer
      - .offset:         40
        .size:           8
        .value_kind:     by_value
      - .offset:         48
        .size:           4
        .value_kind:     by_value
      - .offset:         56
        .size:           8
        .value_kind:     by_value
      - .address_space:  global
        .offset:         64
        .size:           8
        .value_kind:     global_buffer
      - .offset:         72
        .size:           8
        .value_kind:     by_value
      - .offset:         80
        .size:           4
        .value_kind:     by_value
      - .offset:         88
        .size:           8
        .value_kind:     by_value
      - .offset:         96
        .size:           16
        .value_kind:     by_value
      - .offset:         112
        .size:           8
        .value_kind:     by_value
      - .address_space:  global
        .offset:         120
        .size:           8
        .value_kind:     global_buffer
      - .offset:         128
        .size:           4
        .value_kind:     by_value
      - .offset:         136
        .size:           4
        .value_kind:     hidden_block_count_x
      - .offset:         140
        .size:           4
        .value_kind:     hidden_block_count_y
      - .offset:         144
        .size:           4
        .value_kind:     hidden_block_count_z
      - .offset:         148
        .size:           2
        .value_kind:     hidden_group_size_x
      - .offset:         150
        .size:           2
        .value_kind:     hidden_group_size_y
      - .offset:         152
        .size:           2
        .value_kind:     hidden_group_size_z
      - .offset:         154
        .size:           2
        .value_kind:     hidden_remainder_x
      - .offset:         156
        .size:           2
        .value_kind:     hidden_remainder_y
      - .offset:         158
        .size:           2
        .value_kind:     hidden_remainder_z
      - .offset:         176
        .size:           8
        .value_kind:     hidden_global_offset_x
      - .offset:         184
        .size:           8
        .value_kind:     hidden_global_offset_y
      - .offset:         192
        .size:           8
        .value_kind:     hidden_global_offset_z
      - .offset:         200
        .size:           2
        .value_kind:     hidden_grid_dims
    .group_segment_fixed_size: 19200
    .kernarg_segment_align: 8
    .kernarg_segment_size: 392
    .language:       OpenCL C
    .language_version:
      - 2
      - 0
    .max_flat_workgroup_size: 256
    .name:           _ZL26rocblas_hemvn_kernel_upperILb1ELi64ELi4ELi33ELi32ELi16Ei19rocblas_complex_numIdEPKS1_PS1_EviT6_lT7_lT5_lS6_lS7_lS5_lT8_i
    .private_segment_fixed_size: 212
    .sgpr_count:     84
    .sgpr_spill_count: 0
    .symbol:         _ZL26rocblas_hemvn_kernel_upperILb1ELi64ELi4ELi33ELi32ELi16Ei19rocblas_complex_numIdEPKS1_PS1_EviT6_lT7_lT5_lS6_lS7_lS5_lT8_i.kd
    .uniform_work_group_size: 1
    .uses_dynamic_stack: false
    .vgpr_count:     256
    .vgpr_spill_count: 52
    .wavefront_size: 32
    .workgroup_processor_mode: 1
  - .args:
      - .offset:         0
        .size:           4
        .value_kind:     by_value
      - .offset:         8
        .size:           16
        .value_kind:     by_value
      - .offset:         24
        .size:           8
        .value_kind:     by_value
      - .offset:         32
        .size:           16
        .value_kind:     by_value
      - .offset:         48
        .size:           8
        .value_kind:     by_value
      - .address_space:  global
        .offset:         56
        .size:           8
        .value_kind:     global_buffer
      - .offset:         64
        .size:           8
        .value_kind:     by_value
      - .offset:         72
        .size:           4
        .value_kind:     by_value
      - .offset:         80
        .size:           8
        .value_kind:     by_value
      - .address_space:  global
        .offset:         88
        .size:           8
        .value_kind:     global_buffer
      - .offset:         96
        .size:           4
        .value_kind:     by_value
      - .offset:         104
        .size:           4
        .value_kind:     hidden_block_count_x
      - .offset:         108
        .size:           4
        .value_kind:     hidden_block_count_y
      - .offset:         112
        .size:           4
        .value_kind:     hidden_block_count_z
      - .offset:         116
        .size:           2
        .value_kind:     hidden_group_size_x
      - .offset:         118
        .size:           2
        .value_kind:     hidden_group_size_y
      - .offset:         120
        .size:           2
        .value_kind:     hidden_group_size_z
      - .offset:         122
        .size:           2
        .value_kind:     hidden_remainder_x
      - .offset:         124
        .size:           2
        .value_kind:     hidden_remainder_y
      - .offset:         126
        .size:           2
        .value_kind:     hidden_remainder_z
      - .offset:         144
        .size:           8
        .value_kind:     hidden_global_offset_x
      - .offset:         152
        .size:           8
        .value_kind:     hidden_global_offset_y
      - .offset:         160
        .size:           8
        .value_kind:     hidden_global_offset_z
      - .offset:         168
        .size:           2
        .value_kind:     hidden_grid_dims
    .group_segment_fixed_size: 0
    .kernarg_segment_align: 8
    .kernarg_segment_size: 360
    .language:       OpenCL C
    .language_version:
      - 2
      - 0
    .max_flat_workgroup_size: 64
    .name:           _ZL36rocblas_hemvn_kernel_upper_block_sumILi64Ei19rocblas_complex_numIdEPS1_S1_EviT1_lS3_lT2_lT0_lPT3_i
    .private_segment_fixed_size: 0
    .sgpr_count:     34
    .sgpr_spill_count: 0
    .symbol:         _ZL36rocblas_hemvn_kernel_upper_block_sumILi64Ei19rocblas_complex_numIdEPS1_S1_EviT1_lS3_lT2_lT0_lPT3_i.kd
    .uniform_work_group_size: 1
    .uses_dynamic_stack: false
    .vgpr_count:     15
    .vgpr_spill_count: 0
    .wavefront_size: 32
    .workgroup_processor_mode: 1
  - .args:
      - .offset:         0
        .size:           4
        .value_kind:     by_value
      - .address_space:  global
        .offset:         8
        .size:           8
        .value_kind:     global_buffer
      - .offset:         16
        .size:           8
        .value_kind:     by_value
      - .address_space:  global
        .offset:         24
        .size:           8
        .value_kind:     global_buffer
      - .offset:         32
        .size:           8
        .value_kind:     by_value
      - .offset:         40
        .size:           8
        .value_kind:     by_value
      - .offset:         48
        .size:           8
        .value_kind:     by_value
      - .address_space:  global
        .offset:         56
        .size:           8
        .value_kind:     global_buffer
      - .offset:         64
        .size:           8
        .value_kind:     by_value
      - .offset:         72
        .size:           8
        .value_kind:     by_value
      - .offset:         80
        .size:           8
        .value_kind:     by_value
      - .address_space:  global
        .offset:         88
        .size:           8
        .value_kind:     global_buffer
      - .offset:         96
        .size:           8
        .value_kind:     by_value
      - .address_space:  global
        .offset:         104
        .size:           8
        .value_kind:     global_buffer
      - .offset:         112
        .size:           4
        .value_kind:     by_value
      - .offset:         120
        .size:           4
        .value_kind:     hidden_block_count_x
      - .offset:         124
        .size:           4
        .value_kind:     hidden_block_count_y
      - .offset:         128
        .size:           4
        .value_kind:     hidden_block_count_z
      - .offset:         132
        .size:           2
        .value_kind:     hidden_group_size_x
      - .offset:         134
        .size:           2
        .value_kind:     hidden_group_size_y
      - .offset:         136
        .size:           2
        .value_kind:     hidden_group_size_z
      - .offset:         138
        .size:           2
        .value_kind:     hidden_remainder_x
      - .offset:         140
        .size:           2
        .value_kind:     hidden_remainder_y
      - .offset:         142
        .size:           2
        .value_kind:     hidden_remainder_z
      - .offset:         160
        .size:           8
        .value_kind:     hidden_global_offset_x
      - .offset:         168
        .size:           8
        .value_kind:     hidden_global_offset_y
      - .offset:         176
        .size:           8
        .value_kind:     hidden_global_offset_z
      - .offset:         184
        .size:           2
        .value_kind:     hidden_grid_dims
    .group_segment_fixed_size: 19200
    .kernarg_segment_align: 8
    .kernarg_segment_size: 376
    .language:       OpenCL C
    .language_version:
      - 2
      - 0
    .max_flat_workgroup_size: 256
    .name:           _ZL26rocblas_hemvn_kernel_lowerILb1ELi64ELi4ELi33ELi32ELi16ElPK19rocblas_complex_numIdES3_PS1_EviT6_lT7_lT5_lS6_lS7_lS5_lT8_i
    .private_segment_fixed_size: 0
    .sgpr_count:     80
    .sgpr_spill_count: 0
    .symbol:         _ZL26rocblas_hemvn_kernel_lowerILb1ELi64ELi4ELi33ELi32ELi16ElPK19rocblas_complex_numIdES3_PS1_EviT6_lT7_lT5_lS6_lS7_lS5_lT8_i.kd
    .uniform_work_group_size: 1
    .uses_dynamic_stack: false
    .vgpr_count:     210
    .vgpr_spill_count: 0
    .wavefront_size: 32
    .workgroup_processor_mode: 1
  - .args:
      - .offset:         0
        .size:           4
        .value_kind:     by_value
      - .address_space:  global
        .offset:         8
        .size:           8
        .value_kind:     global_buffer
      - .offset:         16
        .size:           8
        .value_kind:     by_value
      - .address_space:  global
        .offset:         24
        .size:           8
        .value_kind:     global_buffer
      - .offset:         32
        .size:           8
        .value_kind:     by_value
      - .address_space:  global
        .offset:         40
        .size:           8
        .value_kind:     global_buffer
      - .offset:         48
        .size:           8
        .value_kind:     by_value
      - .offset:         56
        .size:           8
        .value_kind:     by_value
      - .offset:         64
        .size:           8
        .value_kind:     by_value
      - .actual_access:  read_only
        .address_space:  global
        .offset:         72
        .size:           8
        .value_kind:     global_buffer
      - .offset:         80
        .size:           4
        .value_kind:     by_value
      - .offset:         88
        .size:           4
        .value_kind:     hidden_block_count_x
      - .offset:         92
        .size:           4
        .value_kind:     hidden_block_count_y
      - .offset:         96
        .size:           4
        .value_kind:     hidden_block_count_z
      - .offset:         100
        .size:           2
        .value_kind:     hidden_group_size_x
      - .offset:         102
        .size:           2
        .value_kind:     hidden_group_size_y
      - .offset:         104
        .size:           2
        .value_kind:     hidden_group_size_z
      - .offset:         106
        .size:           2
        .value_kind:     hidden_remainder_x
      - .offset:         108
        .size:           2
        .value_kind:     hidden_remainder_y
      - .offset:         110
        .size:           2
        .value_kind:     hidden_remainder_z
      - .offset:         128
        .size:           8
        .value_kind:     hidden_global_offset_x
      - .offset:         136
        .size:           8
        .value_kind:     hidden_global_offset_y
      - .offset:         144
        .size:           8
        .value_kind:     hidden_global_offset_z
      - .offset:         152
        .size:           2
        .value_kind:     hidden_grid_dims
    .group_segment_fixed_size: 0
    .kernarg_segment_align: 8
    .kernarg_segment_size: 344
    .language:       OpenCL C
    .language_version:
      - 2
      - 0
    .max_flat_workgroup_size: 64
    .name:           _ZL36rocblas_hemvn_kernel_lower_block_sumILi64ElPK19rocblas_complex_numIdEPS1_S1_EviT1_lS5_lT2_lT0_lPT3_i
    .private_segment_fixed_size: 0
    .sgpr_count:     40
    .sgpr_spill_count: 0
    .symbol:         _ZL36rocblas_hemvn_kernel_lower_block_sumILi64ElPK19rocblas_complex_numIdEPS1_S1_EviT1_lS5_lT2_lT0_lPT3_i.kd
    .uniform_work_group_size: 1
    .uses_dynamic_stack: false
    .vgpr_count:     14
    .vgpr_spill_count: 0
    .wavefront_size: 32
    .workgroup_processor_mode: 1
  - .args:
      - .offset:         0
        .size:           4
        .value_kind:     by_value
      - .address_space:  global
        .offset:         8
        .size:           8
        .value_kind:     global_buffer
      - .offset:         16
        .size:           8
        .value_kind:     by_value
      - .address_space:  global
        .offset:         24
        .size:           8
        .value_kind:     global_buffer
      - .offset:         32
        .size:           8
        .value_kind:     by_value
      - .offset:         40
        .size:           4
        .value_kind:     by_value
      - .offset:         48
        .size:           8
        .value_kind:     by_value
      - .address_space:  global
        .offset:         56
        .size:           8
        .value_kind:     global_buffer
      - .offset:         64
        .size:           8
        .value_kind:     by_value
      - .offset:         72
        .size:           4
        .value_kind:     by_value
      - .offset:         80
        .size:           8
        .value_kind:     by_value
      - .address_space:  global
        .offset:         88
        .size:           8
        .value_kind:     global_buffer
      - .offset:         96
        .size:           8
        .value_kind:     by_value
      - .address_space:  global
        .offset:         104
        .size:           8
        .value_kind:     global_buffer
      - .offset:         112
        .size:           4
        .value_kind:     by_value
      - .offset:         120
        .size:           4
        .value_kind:     hidden_block_count_x
      - .offset:         124
        .size:           4
        .value_kind:     hidden_block_count_y
      - .offset:         128
        .size:           4
        .value_kind:     hidden_block_count_z
      - .offset:         132
        .size:           2
        .value_kind:     hidden_group_size_x
      - .offset:         134
        .size:           2
        .value_kind:     hidden_group_size_y
      - .offset:         136
        .size:           2
        .value_kind:     hidden_group_size_z
      - .offset:         138
        .size:           2
        .value_kind:     hidden_remainder_x
      - .offset:         140
        .size:           2
        .value_kind:     hidden_remainder_y
      - .offset:         142
        .size:           2
        .value_kind:     hidden_remainder_z
      - .offset:         160
        .size:           8
        .value_kind:     hidden_global_offset_x
      - .offset:         168
        .size:           8
        .value_kind:     hidden_global_offset_y
      - .offset:         176
        .size:           8
        .value_kind:     hidden_global_offset_z
      - .offset:         184
        .size:           2
        .value_kind:     hidden_grid_dims
    .group_segment_fixed_size: 19200
    .kernarg_segment_align: 8
    .kernarg_segment_size: 376
    .language:       OpenCL C
    .language_version:
      - 2
      - 0
    .max_flat_workgroup_size: 256
    .name:           _ZL26rocblas_hemvn_kernel_lowerILb1ELi64ELi4ELi33ELi32ELi16EiPK19rocblas_complex_numIdES3_PS1_EviT6_lT7_lT5_lS6_lS7_lS5_lT8_i
    .private_segment_fixed_size: 0
    .sgpr_count:     82
    .sgpr_spill_count: 0
    .symbol:         _ZL26rocblas_hemvn_kernel_lowerILb1ELi64ELi4ELi33ELi32ELi16EiPK19rocblas_complex_numIdES3_PS1_EviT6_lT7_lT5_lS6_lS7_lS5_lT8_i.kd
    .uniform_work_group_size: 1
    .uses_dynamic_stack: false
    .vgpr_count:     213
    .vgpr_spill_count: 0
    .wavefront_size: 32
    .workgroup_processor_mode: 1
  - .args:
      - .offset:         0
        .size:           4
        .value_kind:     by_value
      - .address_space:  global
        .offset:         8
        .size:           8
        .value_kind:     global_buffer
      - .offset:         16
        .size:           8
        .value_kind:     by_value
      - .address_space:  global
        .offset:         24
        .size:           8
        .value_kind:     global_buffer
      - .offset:         32
        .size:           8
        .value_kind:     by_value
      - .address_space:  global
        .offset:         40
        .size:           8
        .value_kind:     global_buffer
      - .offset:         48
        .size:           8
        .value_kind:     by_value
      - .offset:         56
        .size:           4
        .value_kind:     by_value
      - .offset:         64
        .size:           8
        .value_kind:     by_value
      - .actual_access:  read_only
        .address_space:  global
        .offset:         72
        .size:           8
        .value_kind:     global_buffer
      - .offset:         80
        .size:           4
        .value_kind:     by_value
      - .offset:         88
        .size:           4
        .value_kind:     hidden_block_count_x
      - .offset:         92
        .size:           4
        .value_kind:     hidden_block_count_y
      - .offset:         96
        .size:           4
        .value_kind:     hidden_block_count_z
      - .offset:         100
        .size:           2
        .value_kind:     hidden_group_size_x
      - .offset:         102
        .size:           2
        .value_kind:     hidden_group_size_y
      - .offset:         104
        .size:           2
        .value_kind:     hidden_group_size_z
      - .offset:         106
        .size:           2
        .value_kind:     hidden_remainder_x
      - .offset:         108
        .size:           2
        .value_kind:     hidden_remainder_y
      - .offset:         110
        .size:           2
        .value_kind:     hidden_remainder_z
      - .offset:         128
        .size:           8
        .value_kind:     hidden_global_offset_x
      - .offset:         136
        .size:           8
        .value_kind:     hidden_global_offset_y
      - .offset:         144
        .size:           8
        .value_kind:     hidden_global_offset_z
      - .offset:         152
        .size:           2
        .value_kind:     hidden_grid_dims
    .group_segment_fixed_size: 0
    .kernarg_segment_align: 8
    .kernarg_segment_size: 344
    .language:       OpenCL C
    .language_version:
      - 2
      - 0
    .max_flat_workgroup_size: 64
    .name:           _ZL36rocblas_hemvn_kernel_lower_block_sumILi64EiPK19rocblas_complex_numIdEPS1_S1_EviT1_lS5_lT2_lT0_lPT3_i
    .private_segment_fixed_size: 0
    .sgpr_count:     40
    .sgpr_spill_count: 0
    .symbol:         _ZL36rocblas_hemvn_kernel_lower_block_sumILi64EiPK19rocblas_complex_numIdEPS1_S1_EviT1_lS5_lT2_lT0_lPT3_i.kd
    .uniform_work_group_size: 1
    .uses_dynamic_stack: false
    .vgpr_count:     14
    .vgpr_spill_count: 0
    .wavefront_size: 32
    .workgroup_processor_mode: 1
  - .args:
      - .offset:         0
        .size:           4
        .value_kind:     by_value
      - .offset:         8
        .size:           16
        .value_kind:     by_value
      - .offset:         24
        .size:           8
        .value_kind:     by_value
      - .address_space:  global
        .offset:         32
        .size:           8
        .value_kind:     global_buffer
      - .offset:         40
        .size:           8
        .value_kind:     by_value
      - .offset:         48
        .size:           8
        .value_kind:     by_value
      - .offset:         56
        .size:           8
        .value_kind:     by_value
      - .address_space:  global
        .offset:         64
        .size:           8
        .value_kind:     global_buffer
      - .offset:         72
        .size:           8
        .value_kind:     by_value
      - .offset:         80
        .size:           8
        .value_kind:     by_value
      - .offset:         88
        .size:           8
        .value_kind:     by_value
      - .offset:         96
        .size:           16
        .value_kind:     by_value
      - .offset:         112
        .size:           8
        .value_kind:     by_value
      - .address_space:  global
        .offset:         120
        .size:           8
        .value_kind:     global_buffer
      - .offset:         128
        .size:           4
        .value_kind:     by_value
      - .offset:         136
        .size:           4
        .value_kind:     hidden_block_count_x
      - .offset:         140
        .size:           4
        .value_kind:     hidden_block_count_y
      - .offset:         144
        .size:           4
        .value_kind:     hidden_block_count_z
      - .offset:         148
        .size:           2
        .value_kind:     hidden_group_size_x
      - .offset:         150
        .size:           2
        .value_kind:     hidden_group_size_y
      - .offset:         152
        .size:           2
        .value_kind:     hidden_group_size_z
      - .offset:         154
        .size:           2
        .value_kind:     hidden_remainder_x
      - .offset:         156
        .size:           2
        .value_kind:     hidden_remainder_y
      - .offset:         158
        .size:           2
        .value_kind:     hidden_remainder_z
      - .offset:         176
        .size:           8
        .value_kind:     hidden_global_offset_x
      - .offset:         184
        .size:           8
        .value_kind:     hidden_global_offset_y
      - .offset:         192
        .size:           8
        .value_kind:     hidden_global_offset_z
      - .offset:         200
        .size:           2
        .value_kind:     hidden_grid_dims
    .group_segment_fixed_size: 19200
    .kernarg_segment_align: 8
    .kernarg_segment_size: 392
    .language:       OpenCL C
    .language_version:
      - 2
      - 0
    .max_flat_workgroup_size: 256
    .name:           _ZL26rocblas_hemvn_kernel_lowerILb1ELi64ELi4ELi33ELi32ELi16El19rocblas_complex_numIdEPKS1_PS1_EviT6_lT7_lT5_lS6_lS7_lS5_lT8_i
    .private_segment_fixed_size: 0
    .sgpr_count:     72
    .sgpr_spill_count: 0
    .symbol:         _ZL26rocblas_hemvn_kernel_lowerILb1ELi64ELi4ELi33ELi32ELi16El19rocblas_complex_numIdEPKS1_PS1_EviT6_lT7_lT5_lS6_lS7_lS5_lT8_i.kd
    .uniform_work_group_size: 1
    .uses_dynamic_stack: false
    .vgpr_count:     245
    .vgpr_spill_count: 0
    .wavefront_size: 32
    .workgroup_processor_mode: 1
  - .args:
      - .offset:         0
        .size:           4
        .value_kind:     by_value
      - .offset:         8
        .size:           16
        .value_kind:     by_value
      - .offset:         24
        .size:           8
        .value_kind:     by_value
      - .offset:         32
        .size:           16
        .value_kind:     by_value
      - .offset:         48
        .size:           8
        .value_kind:     by_value
      - .address_space:  global
        .offset:         56
        .size:           8
        .value_kind:     global_buffer
      - .offset:         64
        .size:           8
        .value_kind:     by_value
      - .offset:         72
        .size:           8
        .value_kind:     by_value
      - .offset:         80
        .size:           8
        .value_kind:     by_value
      - .actual_access:  read_only
        .address_space:  global
        .offset:         88
        .size:           8
        .value_kind:     global_buffer
      - .offset:         96
        .size:           4
        .value_kind:     by_value
      - .offset:         104
        .size:           4
        .value_kind:     hidden_block_count_x
      - .offset:         108
        .size:           4
        .value_kind:     hidden_block_count_y
      - .offset:         112
        .size:           4
        .value_kind:     hidden_block_count_z
      - .offset:         116
        .size:           2
        .value_kind:     hidden_group_size_x
      - .offset:         118
        .size:           2
        .value_kind:     hidden_group_size_y
      - .offset:         120
        .size:           2
        .value_kind:     hidden_group_size_z
      - .offset:         122
        .size:           2
        .value_kind:     hidden_remainder_x
      - .offset:         124
        .size:           2
        .value_kind:     hidden_remainder_y
      - .offset:         126
        .size:           2
        .value_kind:     hidden_remainder_z
      - .offset:         144
        .size:           8
        .value_kind:     hidden_global_offset_x
      - .offset:         152
        .size:           8
        .value_kind:     hidden_global_offset_y
      - .offset:         160
        .size:           8
        .value_kind:     hidden_global_offset_z
      - .offset:         168
        .size:           2
        .value_kind:     hidden_grid_dims
    .group_segment_fixed_size: 0
    .kernarg_segment_align: 8
    .kernarg_segment_size: 360
    .language:       OpenCL C
    .language_version:
      - 2
      - 0
    .max_flat_workgroup_size: 64
    .name:           _ZL36rocblas_hemvn_kernel_lower_block_sumILi64El19rocblas_complex_numIdEPS1_S1_EviT1_lS3_lT2_lT0_lPT3_i
    .private_segment_fixed_size: 0
    .sgpr_count:     34
    .sgpr_spill_count: 0
    .symbol:         _ZL36rocblas_hemvn_kernel_lower_block_sumILi64El19rocblas_complex_numIdEPS1_S1_EviT1_lS3_lT2_lT0_lPT3_i.kd
    .uniform_work_group_size: 1
    .uses_dynamic_stack: false
    .vgpr_count:     15
    .vgpr_spill_count: 0
    .wavefront_size: 32
    .workgroup_processor_mode: 1
  - .args:
      - .offset:         0
        .size:           4
        .value_kind:     by_value
      - .offset:         8
        .size:           16
        .value_kind:     by_value
      - .offset:         24
        .size:           8
        .value_kind:     by_value
      - .address_space:  global
        .offset:         32
        .size:           8
        .value_kind:     global_buffer
      - .offset:         40
        .size:           8
        .value_kind:     by_value
      - .offset:         48
        .size:           4
        .value_kind:     by_value
      - .offset:         56
        .size:           8
        .value_kind:     by_value
      - .address_space:  global
        .offset:         64
        .size:           8
        .value_kind:     global_buffer
      - .offset:         72
        .size:           8
        .value_kind:     by_value
      - .offset:         80
        .size:           4
        .value_kind:     by_value
      - .offset:         88
        .size:           8
        .value_kind:     by_value
      - .offset:         96
        .size:           16
        .value_kind:     by_value
      - .offset:         112
        .size:           8
        .value_kind:     by_value
      - .address_space:  global
        .offset:         120
        .size:           8
        .value_kind:     global_buffer
      - .offset:         128
        .size:           4
        .value_kind:     by_value
      - .offset:         136
        .size:           4
        .value_kind:     hidden_block_count_x
      - .offset:         140
        .size:           4
        .value_kind:     hidden_block_count_y
      - .offset:         144
        .size:           4
        .value_kind:     hidden_block_count_z
      - .offset:         148
        .size:           2
        .value_kind:     hidden_group_size_x
      - .offset:         150
        .size:           2
        .value_kind:     hidden_group_size_y
      - .offset:         152
        .size:           2
        .value_kind:     hidden_group_size_z
      - .offset:         154
        .size:           2
        .value_kind:     hidden_remainder_x
      - .offset:         156
        .size:           2
        .value_kind:     hidden_remainder_y
      - .offset:         158
        .size:           2
        .value_kind:     hidden_remainder_z
      - .offset:         176
        .size:           8
        .value_kind:     hidden_global_offset_x
      - .offset:         184
        .size:           8
        .value_kind:     hidden_global_offset_y
      - .offset:         192
        .size:           8
        .value_kind:     hidden_global_offset_z
      - .offset:         200
        .size:           2
        .value_kind:     hidden_grid_dims
    .group_segment_fixed_size: 19200
    .kernarg_segment_align: 8
    .kernarg_segment_size: 392
    .language:       OpenCL C
    .language_version:
      - 2
      - 0
    .max_flat_workgroup_size: 256
    .name:           _ZL26rocblas_hemvn_kernel_lowerILb1ELi64ELi4ELi33ELi32ELi16Ei19rocblas_complex_numIdEPKS1_PS1_EviT6_lT7_lT5_lS6_lS7_lS5_lT8_i
    .private_segment_fixed_size: 0
    .sgpr_count:     74
    .sgpr_spill_count: 0
    .symbol:         _ZL26rocblas_hemvn_kernel_lowerILb1ELi64ELi4ELi33ELi32ELi16Ei19rocblas_complex_numIdEPKS1_PS1_EviT6_lT7_lT5_lS6_lS7_lS5_lT8_i.kd
    .uniform_work_group_size: 1
    .uses_dynamic_stack: false
    .vgpr_count:     246
    .vgpr_spill_count: 0
    .wavefront_size: 32
    .workgroup_processor_mode: 1
  - .args:
      - .offset:         0
        .size:           4
        .value_kind:     by_value
      - .offset:         8
        .size:           16
        .value_kind:     by_value
      - .offset:         24
        .size:           8
        .value_kind:     by_value
      - .offset:         32
        .size:           16
        .value_kind:     by_value
      - .offset:         48
        .size:           8
        .value_kind:     by_value
      - .address_space:  global
        .offset:         56
        .size:           8
        .value_kind:     global_buffer
      - .offset:         64
        .size:           8
        .value_kind:     by_value
      - .offset:         72
        .size:           4
        .value_kind:     by_value
      - .offset:         80
        .size:           8
        .value_kind:     by_value
      - .actual_access:  read_only
        .address_space:  global
        .offset:         88
        .size:           8
        .value_kind:     global_buffer
      - .offset:         96
        .size:           4
        .value_kind:     by_value
      - .offset:         104
        .size:           4
        .value_kind:     hidden_block_count_x
      - .offset:         108
        .size:           4
        .value_kind:     hidden_block_count_y
      - .offset:         112
        .size:           4
        .value_kind:     hidden_block_count_z
      - .offset:         116
        .size:           2
        .value_kind:     hidden_group_size_x
      - .offset:         118
        .size:           2
        .value_kind:     hidden_group_size_y
      - .offset:         120
        .size:           2
        .value_kind:     hidden_group_size_z
      - .offset:         122
        .size:           2
        .value_kind:     hidden_remainder_x
      - .offset:         124
        .size:           2
        .value_kind:     hidden_remainder_y
      - .offset:         126
        .size:           2
        .value_kind:     hidden_remainder_z
      - .offset:         144
        .size:           8
        .value_kind:     hidden_global_offset_x
      - .offset:         152
        .size:           8
        .value_kind:     hidden_global_offset_y
      - .offset:         160
        .size:           8
        .value_kind:     hidden_global_offset_z
      - .offset:         168
        .size:           2
        .value_kind:     hidden_grid_dims
    .group_segment_fixed_size: 0
    .kernarg_segment_align: 8
    .kernarg_segment_size: 360
    .language:       OpenCL C
    .language_version:
      - 2
      - 0
    .max_flat_workgroup_size: 64
    .name:           _ZL36rocblas_hemvn_kernel_lower_block_sumILi64Ei19rocblas_complex_numIdEPS1_S1_EviT1_lS3_lT2_lT0_lPT3_i
    .private_segment_fixed_size: 0
    .sgpr_count:     34
    .sgpr_spill_count: 0
    .symbol:         _ZL36rocblas_hemvn_kernel_lower_block_sumILi64Ei19rocblas_complex_numIdEPS1_S1_EviT1_lS3_lT2_lT0_lPT3_i.kd
    .uniform_work_group_size: 1
    .uses_dynamic_stack: false
    .vgpr_count:     15
    .vgpr_spill_count: 0
    .wavefront_size: 32
    .workgroup_processor_mode: 1
  - .args:
      - .offset:         0
        .size:           4
        .value_kind:     by_value
      - .address_space:  global
        .offset:         8
        .size:           8
        .value_kind:     global_buffer
      - .offset:         16
        .size:           8
        .value_kind:     by_value
      - .address_space:  global
        .offset:         24
        .size:           8
        .value_kind:     global_buffer
      - .offset:         32
        .size:           8
        .value_kind:     by_value
      - .offset:         40
        .size:           8
        .value_kind:     by_value
      - .offset:         48
        .size:           8
        .value_kind:     by_value
      - .address_space:  global
        .offset:         56
        .size:           8
        .value_kind:     global_buffer
      - .offset:         64
        .size:           8
        .value_kind:     by_value
      - .offset:         72
        .size:           8
        .value_kind:     by_value
      - .offset:         80
        .size:           8
        .value_kind:     by_value
      - .address_space:  global
        .offset:         88
        .size:           8
        .value_kind:     global_buffer
      - .offset:         96
        .size:           8
        .value_kind:     by_value
      - .address_space:  global
        .offset:         104
        .size:           8
        .value_kind:     global_buffer
      - .offset:         112
        .size:           4
        .value_kind:     by_value
      - .offset:         120
        .size:           4
        .value_kind:     hidden_block_count_x
      - .offset:         124
        .size:           4
        .value_kind:     hidden_block_count_y
      - .offset:         128
        .size:           4
        .value_kind:     hidden_block_count_z
      - .offset:         132
        .size:           2
        .value_kind:     hidden_group_size_x
      - .offset:         134
        .size:           2
        .value_kind:     hidden_group_size_y
      - .offset:         136
        .size:           2
        .value_kind:     hidden_group_size_z
      - .offset:         138
        .size:           2
        .value_kind:     hidden_remainder_x
      - .offset:         140
        .size:           2
        .value_kind:     hidden_remainder_y
      - .offset:         142
        .size:           2
        .value_kind:     hidden_remainder_z
      - .offset:         160
        .size:           8
        .value_kind:     hidden_global_offset_x
      - .offset:         168
        .size:           8
        .value_kind:     hidden_global_offset_y
      - .offset:         176
        .size:           8
        .value_kind:     hidden_global_offset_z
      - .offset:         184
        .size:           2
        .value_kind:     hidden_grid_dims
    .group_segment_fixed_size: 9600
    .kernarg_segment_align: 8
    .kernarg_segment_size: 376
    .language:       OpenCL C
    .language_version:
      - 2
      - 0
    .max_flat_workgroup_size: 256
    .name:           _ZL26rocblas_hemvn_kernel_upperILb1ELi64ELi4ELi33ELi32ELi16ElPK19rocblas_complex_numIfEPKS3_PS1_EviT6_lT7_lT5_lS8_lS9_lS7_lT8_i
    .private_segment_fixed_size: 0
    .sgpr_count:     88
    .sgpr_spill_count: 0
    .symbol:         _ZL26rocblas_hemvn_kernel_upperILb1ELi64ELi4ELi33ELi32ELi16ElPK19rocblas_complex_numIfEPKS3_PS1_EviT6_lT7_lT5_lS8_lS9_lS7_lT8_i.kd
    .uniform_work_group_size: 1
    .uses_dynamic_stack: false
    .vgpr_count:     215
    .vgpr_spill_count: 0
    .wavefront_size: 32
    .workgroup_processor_mode: 1
  - .args:
      - .offset:         0
        .size:           4
        .value_kind:     by_value
      - .address_space:  global
        .offset:         8
        .size:           8
        .value_kind:     global_buffer
      - .offset:         16
        .size:           8
        .value_kind:     by_value
      - .address_space:  global
        .offset:         24
        .size:           8
        .value_kind:     global_buffer
      - .offset:         32
        .size:           8
        .value_kind:     by_value
      - .actual_access:  read_only
        .address_space:  global
        .offset:         40
        .size:           8
        .value_kind:     global_buffer
      - .offset:         48
        .size:           8
        .value_kind:     by_value
      - .offset:         56
        .size:           8
        .value_kind:     by_value
      - .offset:         64
        .size:           8
        .value_kind:     by_value
      - .address_space:  global
        .offset:         72
        .size:           8
        .value_kind:     global_buffer
      - .offset:         80
        .size:           4
        .value_kind:     by_value
      - .offset:         88
        .size:           4
        .value_kind:     hidden_block_count_x
      - .offset:         92
        .size:           4
        .value_kind:     hidden_block_count_y
      - .offset:         96
        .size:           4
        .value_kind:     hidden_block_count_z
      - .offset:         100
        .size:           2
        .value_kind:     hidden_group_size_x
      - .offset:         102
        .size:           2
        .value_kind:     hidden_group_size_y
      - .offset:         104
        .size:           2
        .value_kind:     hidden_group_size_z
      - .offset:         106
        .size:           2
        .value_kind:     hidden_remainder_x
      - .offset:         108
        .size:           2
        .value_kind:     hidden_remainder_y
      - .offset:         110
        .size:           2
        .value_kind:     hidden_remainder_z
      - .offset:         128
        .size:           8
        .value_kind:     hidden_global_offset_x
      - .offset:         136
        .size:           8
        .value_kind:     hidden_global_offset_y
      - .offset:         144
        .size:           8
        .value_kind:     hidden_global_offset_z
      - .offset:         152
        .size:           2
        .value_kind:     hidden_grid_dims
    .group_segment_fixed_size: 0
    .kernarg_segment_align: 8
    .kernarg_segment_size: 344
    .language:       OpenCL C
    .language_version:
      - 2
      - 0
    .max_flat_workgroup_size: 64
    .name:           _ZL36rocblas_hemvn_kernel_upper_block_sumILi64ElPK19rocblas_complex_numIfEPKPS1_S1_EviT1_lS7_lT2_lT0_lPT3_i
    .private_segment_fixed_size: 0
    .sgpr_count:     34
    .sgpr_spill_count: 0
    .symbol:         _ZL36rocblas_hemvn_kernel_upper_block_sumILi64ElPK19rocblas_complex_numIfEPKPS1_S1_EviT1_lS7_lT2_lT0_lPT3_i.kd
    .uniform_work_group_size: 1
    .uses_dynamic_stack: false
    .vgpr_count:     11
    .vgpr_spill_count: 0
    .wavefront_size: 32
    .workgroup_processor_mode: 1
  - .args:
      - .offset:         0
        .size:           4
        .value_kind:     by_value
      - .address_space:  global
        .offset:         8
        .size:           8
        .value_kind:     global_buffer
      - .offset:         16
        .size:           8
        .value_kind:     by_value
      - .address_space:  global
        .offset:         24
        .size:           8
        .value_kind:     global_buffer
      - .offset:         32
        .size:           8
        .value_kind:     by_value
      - .offset:         40
        .size:           4
        .value_kind:     by_value
      - .offset:         48
        .size:           8
        .value_kind:     by_value
      - .address_space:  global
        .offset:         56
        .size:           8
        .value_kind:     global_buffer
      - .offset:         64
        .size:           8
        .value_kind:     by_value
      - .offset:         72
        .size:           4
        .value_kind:     by_value
      - .offset:         80
        .size:           8
        .value_kind:     by_value
      - .address_space:  global
        .offset:         88
        .size:           8
        .value_kind:     global_buffer
      - .offset:         96
        .size:           8
        .value_kind:     by_value
      - .address_space:  global
        .offset:         104
        .size:           8
        .value_kind:     global_buffer
      - .offset:         112
        .size:           4
        .value_kind:     by_value
      - .offset:         120
        .size:           4
        .value_kind:     hidden_block_count_x
      - .offset:         124
        .size:           4
        .value_kind:     hidden_block_count_y
      - .offset:         128
        .size:           4
        .value_kind:     hidden_block_count_z
      - .offset:         132
        .size:           2
        .value_kind:     hidden_group_size_x
      - .offset:         134
        .size:           2
        .value_kind:     hidden_group_size_y
      - .offset:         136
        .size:           2
        .value_kind:     hidden_group_size_z
      - .offset:         138
        .size:           2
        .value_kind:     hidden_remainder_x
      - .offset:         140
        .size:           2
        .value_kind:     hidden_remainder_y
      - .offset:         142
        .size:           2
        .value_kind:     hidden_remainder_z
      - .offset:         160
        .size:           8
        .value_kind:     hidden_global_offset_x
      - .offset:         168
        .size:           8
        .value_kind:     hidden_global_offset_y
      - .offset:         176
        .size:           8
        .value_kind:     hidden_global_offset_z
      - .offset:         184
        .size:           2
        .value_kind:     hidden_grid_dims
    .group_segment_fixed_size: 9600
    .kernarg_segment_align: 8
    .kernarg_segment_size: 376
    .language:       OpenCL C
    .language_version:
      - 2
      - 0
    .max_flat_workgroup_size: 256
    .name:           _ZL26rocblas_hemvn_kernel_upperILb1ELi64ELi4ELi33ELi32ELi16EiPK19rocblas_complex_numIfEPKS3_PS1_EviT6_lT7_lT5_lS8_lS9_lS7_lT8_i
    .private_segment_fixed_size: 0
    .sgpr_count:     96
    .sgpr_spill_count: 0
    .symbol:         _ZL26rocblas_hemvn_kernel_upperILb1ELi64ELi4ELi33ELi32ELi16EiPK19rocblas_complex_numIfEPKS3_PS1_EviT6_lT7_lT5_lS8_lS9_lS7_lT8_i.kd
    .uniform_work_group_size: 1
    .uses_dynamic_stack: false
    .vgpr_count:     236
    .vgpr_spill_count: 0
    .wavefront_size: 32
    .workgroup_processor_mode: 1
  - .args:
      - .offset:         0
        .size:           4
        .value_kind:     by_value
      - .address_space:  global
        .offset:         8
        .size:           8
        .value_kind:     global_buffer
      - .offset:         16
        .size:           8
        .value_kind:     by_value
      - .address_space:  global
        .offset:         24
        .size:           8
        .value_kind:     global_buffer
      - .offset:         32
        .size:           8
        .value_kind:     by_value
      - .actual_access:  read_only
        .address_space:  global
        .offset:         40
        .size:           8
        .value_kind:     global_buffer
      - .offset:         48
        .size:           8
        .value_kind:     by_value
      - .offset:         56
        .size:           4
        .value_kind:     by_value
      - .offset:         64
        .size:           8
        .value_kind:     by_value
      - .address_space:  global
        .offset:         72
        .size:           8
        .value_kind:     global_buffer
      - .offset:         80
        .size:           4
        .value_kind:     by_value
      - .offset:         88
        .size:           4
        .value_kind:     hidden_block_count_x
      - .offset:         92
        .size:           4
        .value_kind:     hidden_block_count_y
      - .offset:         96
        .size:           4
        .value_kind:     hidden_block_count_z
      - .offset:         100
        .size:           2
        .value_kind:     hidden_group_size_x
      - .offset:         102
        .size:           2
        .value_kind:     hidden_group_size_y
      - .offset:         104
        .size:           2
        .value_kind:     hidden_group_size_z
      - .offset:         106
        .size:           2
        .value_kind:     hidden_remainder_x
      - .offset:         108
        .size:           2
        .value_kind:     hidden_remainder_y
      - .offset:         110
        .size:           2
        .value_kind:     hidden_remainder_z
      - .offset:         128
        .size:           8
        .value_kind:     hidden_global_offset_x
      - .offset:         136
        .size:           8
        .value_kind:     hidden_global_offset_y
      - .offset:         144
        .size:           8
        .value_kind:     hidden_global_offset_z
      - .offset:         152
        .size:           2
        .value_kind:     hidden_grid_dims
    .group_segment_fixed_size: 0
    .kernarg_segment_align: 8
    .kernarg_segment_size: 344
    .language:       OpenCL C
    .language_version:
      - 2
      - 0
    .max_flat_workgroup_size: 64
    .name:           _ZL36rocblas_hemvn_kernel_upper_block_sumILi64EiPK19rocblas_complex_numIfEPKPS1_S1_EviT1_lS7_lT2_lT0_lPT3_i
    .private_segment_fixed_size: 0
    .sgpr_count:     34
    .sgpr_spill_count: 0
    .symbol:         _ZL36rocblas_hemvn_kernel_upper_block_sumILi64EiPK19rocblas_complex_numIfEPKPS1_S1_EviT1_lS7_lT2_lT0_lPT3_i.kd
    .uniform_work_group_size: 1
    .uses_dynamic_stack: false
    .vgpr_count:     11
    .vgpr_spill_count: 0
    .wavefront_size: 32
    .workgroup_processor_mode: 1
  - .args:
      - .offset:         0
        .size:           4
        .value_kind:     by_value
      - .offset:         4
        .size:           8
        .value_kind:     by_value
      - .offset:         16
        .size:           8
        .value_kind:     by_value
      - .address_space:  global
        .offset:         24
        .size:           8
        .value_kind:     global_buffer
      - .offset:         32
        .size:           8
        .value_kind:     by_value
      - .offset:         40
        .size:           8
        .value_kind:     by_value
      - .offset:         48
        .size:           8
        .value_kind:     by_value
      - .address_space:  global
        .offset:         56
        .size:           8
        .value_kind:     global_buffer
      - .offset:         64
        .size:           8
        .value_kind:     by_value
      - .offset:         72
        .size:           8
        .value_kind:     by_value
      - .offset:         80
        .size:           8
        .value_kind:     by_value
      - .offset:         88
        .size:           8
        .value_kind:     by_value
      - .offset:         96
        .size:           8
        .value_kind:     by_value
      - .address_space:  global
        .offset:         104
        .size:           8
        .value_kind:     global_buffer
      - .offset:         112
        .size:           4
        .value_kind:     by_value
      - .offset:         120
        .size:           4
        .value_kind:     hidden_block_count_x
      - .offset:         124
        .size:           4
        .value_kind:     hidden_block_count_y
      - .offset:         128
        .size:           4
        .value_kind:     hidden_block_count_z
      - .offset:         132
        .size:           2
        .value_kind:     hidden_group_size_x
      - .offset:         134
        .size:           2
        .value_kind:     hidden_group_size_y
      - .offset:         136
        .size:           2
        .value_kind:     hidden_group_size_z
      - .offset:         138
        .size:           2
        .value_kind:     hidden_remainder_x
      - .offset:         140
        .size:           2
        .value_kind:     hidden_remainder_y
      - .offset:         142
        .size:           2
        .value_kind:     hidden_remainder_z
      - .offset:         160
        .size:           8
        .value_kind:     hidden_global_offset_x
      - .offset:         168
        .size:           8
        .value_kind:     hidden_global_offset_y
      - .offset:         176
        .size:           8
        .value_kind:     hidden_global_offset_z
      - .offset:         184
        .size:           2
        .value_kind:     hidden_grid_dims
    .group_segment_fixed_size: 9600
    .kernarg_segment_align: 8
    .kernarg_segment_size: 376
    .language:       OpenCL C
    .language_version:
      - 2
      - 0
    .max_flat_workgroup_size: 256
    .name:           _ZL26rocblas_hemvn_kernel_upperILb1ELi64ELi4ELi33ELi32ELi16El19rocblas_complex_numIfEPKPKS1_PS1_EviT6_lT7_lT5_lS8_lS9_lS7_lT8_i
    .private_segment_fixed_size: 0
    .sgpr_count:     82
    .sgpr_spill_count: 0
    .symbol:         _ZL26rocblas_hemvn_kernel_upperILb1ELi64ELi4ELi33ELi32ELi16El19rocblas_complex_numIfEPKPKS1_PS1_EviT6_lT7_lT5_lS8_lS9_lS7_lT8_i.kd
    .uniform_work_group_size: 1
    .uses_dynamic_stack: false
    .vgpr_count:     215
    .vgpr_spill_count: 0
    .wavefront_size: 32
    .workgroup_processor_mode: 1
  - .args:
      - .offset:         0
        .size:           4
        .value_kind:     by_value
      - .offset:         4
        .size:           8
        .value_kind:     by_value
      - .offset:         16
        .size:           8
        .value_kind:     by_value
      - .offset:         24
        .size:           8
        .value_kind:     by_value
      - .offset:         32
        .size:           8
        .value_kind:     by_value
      - .actual_access:  read_only
        .address_space:  global
        .offset:         40
        .size:           8
        .value_kind:     global_buffer
      - .offset:         48
        .size:           8
        .value_kind:     by_value
      - .offset:         56
        .size:           8
        .value_kind:     by_value
      - .offset:         64
        .size:           8
        .value_kind:     by_value
      - .address_space:  global
        .offset:         72
        .size:           8
        .value_kind:     global_buffer
      - .offset:         80
        .size:           4
        .value_kind:     by_value
      - .offset:         88
        .size:           4
        .value_kind:     hidden_block_count_x
      - .offset:         92
        .size:           4
        .value_kind:     hidden_block_count_y
      - .offset:         96
        .size:           4
        .value_kind:     hidden_block_count_z
      - .offset:         100
        .size:           2
        .value_kind:     hidden_group_size_x
      - .offset:         102
        .size:           2
        .value_kind:     hidden_group_size_y
      - .offset:         104
        .size:           2
        .value_kind:     hidden_group_size_z
      - .offset:         106
        .size:           2
        .value_kind:     hidden_remainder_x
      - .offset:         108
        .size:           2
        .value_kind:     hidden_remainder_y
      - .offset:         110
        .size:           2
        .value_kind:     hidden_remainder_z
      - .offset:         128
        .size:           8
        .value_kind:     hidden_global_offset_x
      - .offset:         136
        .size:           8
        .value_kind:     hidden_global_offset_y
      - .offset:         144
        .size:           8
        .value_kind:     hidden_global_offset_z
      - .offset:         152
        .size:           2
        .value_kind:     hidden_grid_dims
    .group_segment_fixed_size: 0
    .kernarg_segment_align: 8
    .kernarg_segment_size: 344
    .language:       OpenCL C
    .language_version:
      - 2
      - 0
    .max_flat_workgroup_size: 64
    .name:           _ZL36rocblas_hemvn_kernel_upper_block_sumILi64El19rocblas_complex_numIfEPKPS1_S1_EviT1_lS5_lT2_lT0_lPT3_i
    .private_segment_fixed_size: 0
    .sgpr_count:     28
    .sgpr_spill_count: 0
    .symbol:         _ZL36rocblas_hemvn_kernel_upper_block_sumILi64El19rocblas_complex_numIfEPKPS1_S1_EviT1_lS5_lT2_lT0_lPT3_i.kd
    .uniform_work_group_size: 1
    .uses_dynamic_stack: false
    .vgpr_count:     11
    .vgpr_spill_count: 0
    .wavefront_size: 32
    .workgroup_processor_mode: 1
  - .args:
      - .offset:         0
        .size:           4
        .value_kind:     by_value
      - .offset:         4
        .size:           8
        .value_kind:     by_value
      - .offset:         16
        .size:           8
        .value_kind:     by_value
      - .address_space:  global
        .offset:         24
        .size:           8
        .value_kind:     global_buffer
      - .offset:         32
        .size:           8
        .value_kind:     by_value
      - .offset:         40
        .size:           4
        .value_kind:     by_value
      - .offset:         48
        .size:           8
        .value_kind:     by_value
      - .address_space:  global
        .offset:         56
        .size:           8
        .value_kind:     global_buffer
      - .offset:         64
        .size:           8
        .value_kind:     by_value
      - .offset:         72
        .size:           4
        .value_kind:     by_value
      - .offset:         80
        .size:           8
        .value_kind:     by_value
      - .offset:         88
        .size:           8
        .value_kind:     by_value
      - .offset:         96
        .size:           8
        .value_kind:     by_value
      - .address_space:  global
        .offset:         104
        .size:           8
        .value_kind:     global_buffer
      - .offset:         112
        .size:           4
        .value_kind:     by_value
      - .offset:         120
        .size:           4
        .value_kind:     hidden_block_count_x
      - .offset:         124
        .size:           4
        .value_kind:     hidden_block_count_y
      - .offset:         128
        .size:           4
        .value_kind:     hidden_block_count_z
      - .offset:         132
        .size:           2
        .value_kind:     hidden_group_size_x
      - .offset:         134
        .size:           2
        .value_kind:     hidden_group_size_y
      - .offset:         136
        .size:           2
        .value_kind:     hidden_group_size_z
      - .offset:         138
        .size:           2
        .value_kind:     hidden_remainder_x
      - .offset:         140
        .size:           2
        .value_kind:     hidden_remainder_y
      - .offset:         142
        .size:           2
        .value_kind:     hidden_remainder_z
      - .offset:         160
        .size:           8
        .value_kind:     hidden_global_offset_x
      - .offset:         168
        .size:           8
        .value_kind:     hidden_global_offset_y
      - .offset:         176
        .size:           8
        .value_kind:     hidden_global_offset_z
      - .offset:         184
        .size:           2
        .value_kind:     hidden_grid_dims
    .group_segment_fixed_size: 9600
    .kernarg_segment_align: 8
    .kernarg_segment_size: 376
    .language:       OpenCL C
    .language_version:
      - 2
      - 0
    .max_flat_workgroup_size: 256
    .name:           _ZL26rocblas_hemvn_kernel_upperILb1ELi64ELi4ELi33ELi32ELi16Ei19rocblas_complex_numIfEPKPKS1_PS1_EviT6_lT7_lT5_lS8_lS9_lS7_lT8_i
    .private_segment_fixed_size: 0
    .sgpr_count:     90
    .sgpr_spill_count: 0
    .symbol:         _ZL26rocblas_hemvn_kernel_upperILb1ELi64ELi4ELi33ELi32ELi16Ei19rocblas_complex_numIfEPKPKS1_PS1_EviT6_lT7_lT5_lS8_lS9_lS7_lT8_i.kd
    .uniform_work_group_size: 1
    .uses_dynamic_stack: false
    .vgpr_count:     236
    .vgpr_spill_count: 0
    .wavefront_size: 32
    .workgroup_processor_mode: 1
  - .args:
      - .offset:         0
        .size:           4
        .value_kind:     by_value
      - .offset:         4
        .size:           8
        .value_kind:     by_value
      - .offset:         16
        .size:           8
        .value_kind:     by_value
      - .offset:         24
        .size:           8
        .value_kind:     by_value
      - .offset:         32
        .size:           8
        .value_kind:     by_value
      - .actual_access:  read_only
        .address_space:  global
        .offset:         40
        .size:           8
        .value_kind:     global_buffer
      - .offset:         48
        .size:           8
        .value_kind:     by_value
      - .offset:         56
        .size:           4
        .value_kind:     by_value
      - .offset:         64
        .size:           8
        .value_kind:     by_value
      - .address_space:  global
        .offset:         72
        .size:           8
        .value_kind:     global_buffer
      - .offset:         80
        .size:           4
        .value_kind:     by_value
      - .offset:         88
        .size:           4
        .value_kind:     hidden_block_count_x
      - .offset:         92
        .size:           4
        .value_kind:     hidden_block_count_y
      - .offset:         96
        .size:           4
        .value_kind:     hidden_block_count_z
      - .offset:         100
        .size:           2
        .value_kind:     hidden_group_size_x
      - .offset:         102
        .size:           2
        .value_kind:     hidden_group_size_y
      - .offset:         104
        .size:           2
        .value_kind:     hidden_group_size_z
      - .offset:         106
        .size:           2
        .value_kind:     hidden_remainder_x
      - .offset:         108
        .size:           2
        .value_kind:     hidden_remainder_y
      - .offset:         110
        .size:           2
        .value_kind:     hidden_remainder_z
      - .offset:         128
        .size:           8
        .value_kind:     hidden_global_offset_x
      - .offset:         136
        .size:           8
        .value_kind:     hidden_global_offset_y
      - .offset:         144
        .size:           8
        .value_kind:     hidden_global_offset_z
      - .offset:         152
        .size:           2
        .value_kind:     hidden_grid_dims
    .group_segment_fixed_size: 0
    .kernarg_segment_align: 8
    .kernarg_segment_size: 344
    .language:       OpenCL C
    .language_version:
      - 2
      - 0
    .max_flat_workgroup_size: 64
    .name:           _ZL36rocblas_hemvn_kernel_upper_block_sumILi64Ei19rocblas_complex_numIfEPKPS1_S1_EviT1_lS5_lT2_lT0_lPT3_i
    .private_segment_fixed_size: 0
    .sgpr_count:     28
    .sgpr_spill_count: 0
    .symbol:         _ZL36rocblas_hemvn_kernel_upper_block_sumILi64Ei19rocblas_complex_numIfEPKPS1_S1_EviT1_lS5_lT2_lT0_lPT3_i.kd
    .uniform_work_group_size: 1
    .uses_dynamic_stack: false
    .vgpr_count:     11
    .vgpr_spill_count: 0
    .wavefront_size: 32
    .workgroup_processor_mode: 1
  - .args:
      - .offset:         0
        .size:           4
        .value_kind:     by_value
      - .address_space:  global
        .offset:         8
        .size:           8
        .value_kind:     global_buffer
      - .offset:         16
        .size:           8
        .value_kind:     by_value
      - .address_space:  global
        .offset:         24
        .size:           8
        .value_kind:     global_buffer
      - .offset:         32
        .size:           8
        .value_kind:     by_value
      - .offset:         40
        .size:           8
        .value_kind:     by_value
      - .offset:         48
        .size:           8
        .value_kind:     by_value
      - .address_space:  global
        .offset:         56
        .size:           8
        .value_kind:     global_buffer
      - .offset:         64
        .size:           8
        .value_kind:     by_value
      - .offset:         72
        .size:           8
        .value_kind:     by_value
      - .offset:         80
        .size:           8
        .value_kind:     by_value
      - .address_space:  global
        .offset:         88
        .size:           8
        .value_kind:     global_buffer
      - .offset:         96
        .size:           8
        .value_kind:     by_value
      - .address_space:  global
        .offset:         104
        .size:           8
        .value_kind:     global_buffer
      - .offset:         112
        .size:           4
        .value_kind:     by_value
      - .offset:         120
        .size:           4
        .value_kind:     hidden_block_count_x
      - .offset:         124
        .size:           4
        .value_kind:     hidden_block_count_y
      - .offset:         128
        .size:           4
        .value_kind:     hidden_block_count_z
      - .offset:         132
        .size:           2
        .value_kind:     hidden_group_size_x
      - .offset:         134
        .size:           2
        .value_kind:     hidden_group_size_y
      - .offset:         136
        .size:           2
        .value_kind:     hidden_group_size_z
      - .offset:         138
        .size:           2
        .value_kind:     hidden_remainder_x
      - .offset:         140
        .size:           2
        .value_kind:     hidden_remainder_y
      - .offset:         142
        .size:           2
        .value_kind:     hidden_remainder_z
      - .offset:         160
        .size:           8
        .value_kind:     hidden_global_offset_x
      - .offset:         168
        .size:           8
        .value_kind:     hidden_global_offset_y
      - .offset:         176
        .size:           8
        .value_kind:     hidden_global_offset_z
      - .offset:         184
        .size:           2
        .value_kind:     hidden_grid_dims
    .group_segment_fixed_size: 9600
    .kernarg_segment_align: 8
    .kernarg_segment_size: 376
    .language:       OpenCL C
    .language_version:
      - 2
      - 0
    .max_flat_workgroup_size: 256
    .name:           _ZL26rocblas_hemvn_kernel_lowerILb1ELi64ELi4ELi33ELi32ELi16ElPK19rocblas_complex_numIfEPKS3_PS1_EviT6_lT7_lT5_lS8_lS9_lS7_lT8_i
    .private_segment_fixed_size: 0
    .sgpr_count:     88
    .sgpr_spill_count: 0
    .symbol:         _ZL26rocblas_hemvn_kernel_lowerILb1ELi64ELi4ELi33ELi32ELi16ElPK19rocblas_complex_numIfEPKS3_PS1_EviT6_lT7_lT5_lS8_lS9_lS7_lT8_i.kd
    .uniform_work_group_size: 1
    .uses_dynamic_stack: false
    .vgpr_count:     142
    .vgpr_spill_count: 0
    .wavefront_size: 32
    .workgroup_processor_mode: 1
  - .args:
      - .offset:         0
        .size:           4
        .value_kind:     by_value
      - .address_space:  global
        .offset:         8
        .size:           8
        .value_kind:     global_buffer
      - .offset:         16
        .size:           8
        .value_kind:     by_value
      - .address_space:  global
        .offset:         24
        .size:           8
        .value_kind:     global_buffer
      - .offset:         32
        .size:           8
        .value_kind:     by_value
      - .actual_access:  read_only
        .address_space:  global
        .offset:         40
        .size:           8
        .value_kind:     global_buffer
      - .offset:         48
        .size:           8
        .value_kind:     by_value
      - .offset:         56
        .size:           8
        .value_kind:     by_value
      - .offset:         64
        .size:           8
        .value_kind:     by_value
      - .actual_access:  read_only
        .address_space:  global
        .offset:         72
        .size:           8
        .value_kind:     global_buffer
      - .offset:         80
        .size:           4
        .value_kind:     by_value
      - .offset:         88
        .size:           4
        .value_kind:     hidden_block_count_x
      - .offset:         92
        .size:           4
        .value_kind:     hidden_block_count_y
      - .offset:         96
        .size:           4
        .value_kind:     hidden_block_count_z
      - .offset:         100
        .size:           2
        .value_kind:     hidden_group_size_x
      - .offset:         102
        .size:           2
        .value_kind:     hidden_group_size_y
      - .offset:         104
        .size:           2
        .value_kind:     hidden_group_size_z
      - .offset:         106
        .size:           2
        .value_kind:     hidden_remainder_x
      - .offset:         108
        .size:           2
        .value_kind:     hidden_remainder_y
      - .offset:         110
        .size:           2
        .value_kind:     hidden_remainder_z
      - .offset:         128
        .size:           8
        .value_kind:     hidden_global_offset_x
      - .offset:         136
        .size:           8
        .value_kind:     hidden_global_offset_y
      - .offset:         144
        .size:           8
        .value_kind:     hidden_global_offset_z
      - .offset:         152
        .size:           2
        .value_kind:     hidden_grid_dims
    .group_segment_fixed_size: 0
    .kernarg_segment_align: 8
    .kernarg_segment_size: 344
    .language:       OpenCL C
    .language_version:
      - 2
      - 0
    .max_flat_workgroup_size: 64
    .name:           _ZL36rocblas_hemvn_kernel_lower_block_sumILi64ElPK19rocblas_complex_numIfEPKPS1_S1_EviT1_lS7_lT2_lT0_lPT3_i
    .private_segment_fixed_size: 0
    .sgpr_count:     34
    .sgpr_spill_count: 0
    .symbol:         _ZL36rocblas_hemvn_kernel_lower_block_sumILi64ElPK19rocblas_complex_numIfEPKPS1_S1_EviT1_lS7_lT2_lT0_lPT3_i.kd
    .uniform_work_group_size: 1
    .uses_dynamic_stack: false
    .vgpr_count:     11
    .vgpr_spill_count: 0
    .wavefront_size: 32
    .workgroup_processor_mode: 1
  - .args:
      - .offset:         0
        .size:           4
        .value_kind:     by_value
      - .address_space:  global
        .offset:         8
        .size:           8
        .value_kind:     global_buffer
      - .offset:         16
        .size:           8
        .value_kind:     by_value
      - .address_space:  global
        .offset:         24
        .size:           8
        .value_kind:     global_buffer
      - .offset:         32
        .size:           8
        .value_kind:     by_value
      - .offset:         40
        .size:           4
        .value_kind:     by_value
      - .offset:         48
        .size:           8
        .value_kind:     by_value
      - .address_space:  global
        .offset:         56
        .size:           8
        .value_kind:     global_buffer
      - .offset:         64
        .size:           8
        .value_kind:     by_value
      - .offset:         72
        .size:           4
        .value_kind:     by_value
      - .offset:         80
        .size:           8
        .value_kind:     by_value
      - .address_space:  global
        .offset:         88
        .size:           8
        .value_kind:     global_buffer
      - .offset:         96
        .size:           8
        .value_kind:     by_value
      - .address_space:  global
        .offset:         104
        .size:           8
        .value_kind:     global_buffer
      - .offset:         112
        .size:           4
        .value_kind:     by_value
      - .offset:         120
        .size:           4
        .value_kind:     hidden_block_count_x
      - .offset:         124
        .size:           4
        .value_kind:     hidden_block_count_y
      - .offset:         128
        .size:           4
        .value_kind:     hidden_block_count_z
      - .offset:         132
        .size:           2
        .value_kind:     hidden_group_size_x
      - .offset:         134
        .size:           2
        .value_kind:     hidden_group_size_y
      - .offset:         136
        .size:           2
        .value_kind:     hidden_group_size_z
      - .offset:         138
        .size:           2
        .value_kind:     hidden_remainder_x
      - .offset:         140
        .size:           2
        .value_kind:     hidden_remainder_y
      - .offset:         142
        .size:           2
        .value_kind:     hidden_remainder_z
      - .offset:         160
        .size:           8
        .value_kind:     hidden_global_offset_x
      - .offset:         168
        .size:           8
        .value_kind:     hidden_global_offset_y
      - .offset:         176
        .size:           8
        .value_kind:     hidden_global_offset_z
      - .offset:         184
        .size:           2
        .value_kind:     hidden_grid_dims
    .group_segment_fixed_size: 9600
    .kernarg_segment_align: 8
    .kernarg_segment_size: 376
    .language:       OpenCL C
    .language_version:
      - 2
      - 0
    .max_flat_workgroup_size: 256
    .name:           _ZL26rocblas_hemvn_kernel_lowerILb1ELi64ELi4ELi33ELi32ELi16EiPK19rocblas_complex_numIfEPKS3_PS1_EviT6_lT7_lT5_lS8_lS9_lS7_lT8_i
    .private_segment_fixed_size: 0
    .sgpr_count:     90
    .sgpr_spill_count: 0
    .symbol:         _ZL26rocblas_hemvn_kernel_lowerILb1ELi64ELi4ELi33ELi32ELi16EiPK19rocblas_complex_numIfEPKS3_PS1_EviT6_lT7_lT5_lS8_lS9_lS7_lT8_i.kd
    .uniform_work_group_size: 1
    .uses_dynamic_stack: false
    .vgpr_count:     135
    .vgpr_spill_count: 0
    .wavefront_size: 32
    .workgroup_processor_mode: 1
  - .args:
      - .offset:         0
        .size:           4
        .value_kind:     by_value
      - .address_space:  global
        .offset:         8
        .size:           8
        .value_kind:     global_buffer
      - .offset:         16
        .size:           8
        .value_kind:     by_value
      - .address_space:  global
        .offset:         24
        .size:           8
        .value_kind:     global_buffer
      - .offset:         32
        .size:           8
        .value_kind:     by_value
      - .actual_access:  read_only
        .address_space:  global
        .offset:         40
        .size:           8
        .value_kind:     global_buffer
      - .offset:         48
        .size:           8
        .value_kind:     by_value
      - .offset:         56
        .size:           4
        .value_kind:     by_value
      - .offset:         64
        .size:           8
        .value_kind:     by_value
      - .actual_access:  read_only
        .address_space:  global
        .offset:         72
        .size:           8
        .value_kind:     global_buffer
      - .offset:         80
        .size:           4
        .value_kind:     by_value
      - .offset:         88
        .size:           4
        .value_kind:     hidden_block_count_x
      - .offset:         92
        .size:           4
        .value_kind:     hidden_block_count_y
      - .offset:         96
        .size:           4
        .value_kind:     hidden_block_count_z
      - .offset:         100
        .size:           2
        .value_kind:     hidden_group_size_x
      - .offset:         102
        .size:           2
        .value_kind:     hidden_group_size_y
      - .offset:         104
        .size:           2
        .value_kind:     hidden_group_size_z
      - .offset:         106
        .size:           2
        .value_kind:     hidden_remainder_x
      - .offset:         108
        .size:           2
        .value_kind:     hidden_remainder_y
      - .offset:         110
        .size:           2
        .value_kind:     hidden_remainder_z
      - .offset:         128
        .size:           8
        .value_kind:     hidden_global_offset_x
      - .offset:         136
        .size:           8
        .value_kind:     hidden_global_offset_y
      - .offset:         144
        .size:           8
        .value_kind:     hidden_global_offset_z
      - .offset:         152
        .size:           2
        .value_kind:     hidden_grid_dims
    .group_segment_fixed_size: 0
    .kernarg_segment_align: 8
    .kernarg_segment_size: 344
    .language:       OpenCL C
    .language_version:
      - 2
      - 0
    .max_flat_workgroup_size: 64
    .name:           _ZL36rocblas_hemvn_kernel_lower_block_sumILi64EiPK19rocblas_complex_numIfEPKPS1_S1_EviT1_lS7_lT2_lT0_lPT3_i
    .private_segment_fixed_size: 0
    .sgpr_count:     34
    .sgpr_spill_count: 0
    .symbol:         _ZL36rocblas_hemvn_kernel_lower_block_sumILi64EiPK19rocblas_complex_numIfEPKPS1_S1_EviT1_lS7_lT2_lT0_lPT3_i.kd
    .uniform_work_group_size: 1
    .uses_dynamic_stack: false
    .vgpr_count:     11
    .vgpr_spill_count: 0
    .wavefront_size: 32
    .workgroup_processor_mode: 1
  - .args:
      - .offset:         0
        .size:           4
        .value_kind:     by_value
      - .offset:         4
        .size:           8
        .value_kind:     by_value
      - .offset:         16
        .size:           8
        .value_kind:     by_value
      - .address_space:  global
        .offset:         24
        .size:           8
        .value_kind:     global_buffer
      - .offset:         32
        .size:           8
        .value_kind:     by_value
      - .offset:         40
        .size:           8
        .value_kind:     by_value
      - .offset:         48
        .size:           8
        .value_kind:     by_value
      - .address_space:  global
        .offset:         56
        .size:           8
        .value_kind:     global_buffer
      - .offset:         64
        .size:           8
        .value_kind:     by_value
      - .offset:         72
        .size:           8
        .value_kind:     by_value
      - .offset:         80
        .size:           8
        .value_kind:     by_value
      - .offset:         88
        .size:           8
        .value_kind:     by_value
      - .offset:         96
        .size:           8
        .value_kind:     by_value
      - .address_space:  global
        .offset:         104
        .size:           8
        .value_kind:     global_buffer
      - .offset:         112
        .size:           4
        .value_kind:     by_value
      - .offset:         120
        .size:           4
        .value_kind:     hidden_block_count_x
      - .offset:         124
        .size:           4
        .value_kind:     hidden_block_count_y
      - .offset:         128
        .size:           4
        .value_kind:     hidden_block_count_z
      - .offset:         132
        .size:           2
        .value_kind:     hidden_group_size_x
      - .offset:         134
        .size:           2
        .value_kind:     hidden_group_size_y
      - .offset:         136
        .size:           2
        .value_kind:     hidden_group_size_z
      - .offset:         138
        .size:           2
        .value_kind:     hidden_remainder_x
      - .offset:         140
        .size:           2
        .value_kind:     hidden_remainder_y
      - .offset:         142
        .size:           2
        .value_kind:     hidden_remainder_z
      - .offset:         160
        .size:           8
        .value_kind:     hidden_global_offset_x
      - .offset:         168
        .size:           8
        .value_kind:     hidden_global_offset_y
      - .offset:         176
        .size:           8
        .value_kind:     hidden_global_offset_z
      - .offset:         184
        .size:           2
        .value_kind:     hidden_grid_dims
    .group_segment_fixed_size: 9600
    .kernarg_segment_align: 8
    .kernarg_segment_size: 376
    .language:       OpenCL C
    .language_version:
      - 2
      - 0
    .max_flat_workgroup_size: 256
    .name:           _ZL26rocblas_hemvn_kernel_lowerILb1ELi64ELi4ELi33ELi32ELi16El19rocblas_complex_numIfEPKPKS1_PS1_EviT6_lT7_lT5_lS8_lS9_lS7_lT8_i
    .private_segment_fixed_size: 0
    .sgpr_count:     82
    .sgpr_spill_count: 0
    .symbol:         _ZL26rocblas_hemvn_kernel_lowerILb1ELi64ELi4ELi33ELi32ELi16El19rocblas_complex_numIfEPKPKS1_PS1_EviT6_lT7_lT5_lS8_lS9_lS7_lT8_i.kd
    .uniform_work_group_size: 1
    .uses_dynamic_stack: false
    .vgpr_count:     142
    .vgpr_spill_count: 0
    .wavefront_size: 32
    .workgroup_processor_mode: 1
  - .args:
      - .offset:         0
        .size:           4
        .value_kind:     by_value
      - .offset:         4
        .size:           8
        .value_kind:     by_value
      - .offset:         16
        .size:           8
        .value_kind:     by_value
      - .offset:         24
        .size:           8
        .value_kind:     by_value
      - .offset:         32
        .size:           8
        .value_kind:     by_value
      - .actual_access:  read_only
        .address_space:  global
        .offset:         40
        .size:           8
        .value_kind:     global_buffer
      - .offset:         48
        .size:           8
        .value_kind:     by_value
      - .offset:         56
        .size:           8
        .value_kind:     by_value
      - .offset:         64
        .size:           8
        .value_kind:     by_value
      - .actual_access:  read_only
        .address_space:  global
        .offset:         72
        .size:           8
        .value_kind:     global_buffer
      - .offset:         80
        .size:           4
        .value_kind:     by_value
      - .offset:         88
        .size:           4
        .value_kind:     hidden_block_count_x
      - .offset:         92
        .size:           4
        .value_kind:     hidden_block_count_y
      - .offset:         96
        .size:           4
        .value_kind:     hidden_block_count_z
      - .offset:         100
        .size:           2
        .value_kind:     hidden_group_size_x
      - .offset:         102
        .size:           2
        .value_kind:     hidden_group_size_y
      - .offset:         104
        .size:           2
        .value_kind:     hidden_group_size_z
      - .offset:         106
        .size:           2
        .value_kind:     hidden_remainder_x
      - .offset:         108
        .size:           2
        .value_kind:     hidden_remainder_y
      - .offset:         110
        .size:           2
        .value_kind:     hidden_remainder_z
      - .offset:         128
        .size:           8
        .value_kind:     hidden_global_offset_x
      - .offset:         136
        .size:           8
        .value_kind:     hidden_global_offset_y
      - .offset:         144
        .size:           8
        .value_kind:     hidden_global_offset_z
      - .offset:         152
        .size:           2
        .value_kind:     hidden_grid_dims
    .group_segment_fixed_size: 0
    .kernarg_segment_align: 8
    .kernarg_segment_size: 344
    .language:       OpenCL C
    .language_version:
      - 2
      - 0
    .max_flat_workgroup_size: 64
    .name:           _ZL36rocblas_hemvn_kernel_lower_block_sumILi64El19rocblas_complex_numIfEPKPS1_S1_EviT1_lS5_lT2_lT0_lPT3_i
    .private_segment_fixed_size: 0
    .sgpr_count:     30
    .sgpr_spill_count: 0
    .symbol:         _ZL36rocblas_hemvn_kernel_lower_block_sumILi64El19rocblas_complex_numIfEPKPS1_S1_EviT1_lS5_lT2_lT0_lPT3_i.kd
    .uniform_work_group_size: 1
    .uses_dynamic_stack: false
    .vgpr_count:     11
    .vgpr_spill_count: 0
    .wavefront_size: 32
    .workgroup_processor_mode: 1
  - .args:
      - .offset:         0
        .size:           4
        .value_kind:     by_value
      - .offset:         4
        .size:           8
        .value_kind:     by_value
      - .offset:         16
        .size:           8
        .value_kind:     by_value
      - .address_space:  global
        .offset:         24
        .size:           8
        .value_kind:     global_buffer
      - .offset:         32
        .size:           8
        .value_kind:     by_value
      - .offset:         40
        .size:           4
        .value_kind:     by_value
      - .offset:         48
        .size:           8
        .value_kind:     by_value
      - .address_space:  global
        .offset:         56
        .size:           8
        .value_kind:     global_buffer
      - .offset:         64
        .size:           8
        .value_kind:     by_value
      - .offset:         72
        .size:           4
        .value_kind:     by_value
      - .offset:         80
        .size:           8
        .value_kind:     by_value
      - .offset:         88
        .size:           8
        .value_kind:     by_value
      - .offset:         96
        .size:           8
        .value_kind:     by_value
      - .address_space:  global
        .offset:         104
        .size:           8
        .value_kind:     global_buffer
      - .offset:         112
        .size:           4
        .value_kind:     by_value
      - .offset:         120
        .size:           4
        .value_kind:     hidden_block_count_x
      - .offset:         124
        .size:           4
        .value_kind:     hidden_block_count_y
      - .offset:         128
        .size:           4
        .value_kind:     hidden_block_count_z
      - .offset:         132
        .size:           2
        .value_kind:     hidden_group_size_x
      - .offset:         134
        .size:           2
        .value_kind:     hidden_group_size_y
      - .offset:         136
        .size:           2
        .value_kind:     hidden_group_size_z
      - .offset:         138
        .size:           2
        .value_kind:     hidden_remainder_x
      - .offset:         140
        .size:           2
        .value_kind:     hidden_remainder_y
      - .offset:         142
        .size:           2
        .value_kind:     hidden_remainder_z
      - .offset:         160
        .size:           8
        .value_kind:     hidden_global_offset_x
      - .offset:         168
        .size:           8
        .value_kind:     hidden_global_offset_y
      - .offset:         176
        .size:           8
        .value_kind:     hidden_global_offset_z
      - .offset:         184
        .size:           2
        .value_kind:     hidden_grid_dims
    .group_segment_fixed_size: 9600
    .kernarg_segment_align: 8
    .kernarg_segment_size: 376
    .language:       OpenCL C
    .language_version:
      - 2
      - 0
    .max_flat_workgroup_size: 256
    .name:           _ZL26rocblas_hemvn_kernel_lowerILb1ELi64ELi4ELi33ELi32ELi16Ei19rocblas_complex_numIfEPKPKS1_PS1_EviT6_lT7_lT5_lS8_lS9_lS7_lT8_i
    .private_segment_fixed_size: 0
    .sgpr_count:     84
    .sgpr_spill_count: 0
    .symbol:         _ZL26rocblas_hemvn_kernel_lowerILb1ELi64ELi4ELi33ELi32ELi16Ei19rocblas_complex_numIfEPKPKS1_PS1_EviT6_lT7_lT5_lS8_lS9_lS7_lT8_i.kd
    .uniform_work_group_size: 1
    .uses_dynamic_stack: false
    .vgpr_count:     144
    .vgpr_spill_count: 0
    .wavefront_size: 32
    .workgroup_processor_mode: 1
  - .args:
      - .offset:         0
        .size:           4
        .value_kind:     by_value
      - .offset:         4
        .size:           8
        .value_kind:     by_value
      - .offset:         16
        .size:           8
        .value_kind:     by_value
      - .offset:         24
        .size:           8
        .value_kind:     by_value
      - .offset:         32
        .size:           8
        .value_kind:     by_value
      - .actual_access:  read_only
        .address_space:  global
        .offset:         40
        .size:           8
        .value_kind:     global_buffer
      - .offset:         48
        .size:           8
        .value_kind:     by_value
      - .offset:         56
        .size:           4
        .value_kind:     by_value
      - .offset:         64
        .size:           8
        .value_kind:     by_value
      - .actual_access:  read_only
        .address_space:  global
        .offset:         72
        .size:           8
        .value_kind:     global_buffer
      - .offset:         80
        .size:           4
        .value_kind:     by_value
      - .offset:         88
        .size:           4
        .value_kind:     hidden_block_count_x
      - .offset:         92
        .size:           4
        .value_kind:     hidden_block_count_y
      - .offset:         96
        .size:           4
        .value_kind:     hidden_block_count_z
      - .offset:         100
        .size:           2
        .value_kind:     hidden_group_size_x
      - .offset:         102
        .size:           2
        .value_kind:     hidden_group_size_y
      - .offset:         104
        .size:           2
        .value_kind:     hidden_group_size_z
      - .offset:         106
        .size:           2
        .value_kind:     hidden_remainder_x
      - .offset:         108
        .size:           2
        .value_kind:     hidden_remainder_y
      - .offset:         110
        .size:           2
        .value_kind:     hidden_remainder_z
      - .offset:         128
        .size:           8
        .value_kind:     hidden_global_offset_x
      - .offset:         136
        .size:           8
        .value_kind:     hidden_global_offset_y
      - .offset:         144
        .size:           8
        .value_kind:     hidden_global_offset_z
      - .offset:         152
        .size:           2
        .value_kind:     hidden_grid_dims
    .group_segment_fixed_size: 0
    .kernarg_segment_align: 8
    .kernarg_segment_size: 344
    .language:       OpenCL C
    .language_version:
      - 2
      - 0
    .max_flat_workgroup_size: 64
    .name:           _ZL36rocblas_hemvn_kernel_lower_block_sumILi64Ei19rocblas_complex_numIfEPKPS1_S1_EviT1_lS5_lT2_lT0_lPT3_i
    .private_segment_fixed_size: 0
    .sgpr_count:     30
    .sgpr_spill_count: 0
    .symbol:         _ZL36rocblas_hemvn_kernel_lower_block_sumILi64Ei19rocblas_complex_numIfEPKPS1_S1_EviT1_lS5_lT2_lT0_lPT3_i.kd
    .uniform_work_group_size: 1
    .uses_dynamic_stack: false
    .vgpr_count:     11
    .vgpr_spill_count: 0
    .wavefront_size: 32
    .workgroup_processor_mode: 1
  - .args:
      - .offset:         0
        .size:           4
        .value_kind:     by_value
      - .address_space:  global
        .offset:         8
        .size:           8
        .value_kind:     global_buffer
      - .offset:         16
        .size:           8
        .value_kind:     by_value
      - .address_space:  global
        .offset:         24
        .size:           8
        .value_kind:     global_buffer
      - .offset:         32
        .size:           8
        .value_kind:     by_value
      - .offset:         40
        .size:           8
        .value_kind:     by_value
      - .offset:         48
        .size:           8
        .value_kind:     by_value
      - .address_space:  global
        .offset:         56
        .size:           8
        .value_kind:     global_buffer
      - .offset:         64
        .size:           8
        .value_kind:     by_value
      - .offset:         72
        .size:           8
        .value_kind:     by_value
      - .offset:         80
        .size:           8
        .value_kind:     by_value
      - .address_space:  global
        .offset:         88
        .size:           8
        .value_kind:     global_buffer
      - .offset:         96
        .size:           8
        .value_kind:     by_value
      - .address_space:  global
        .offset:         104
        .size:           8
        .value_kind:     global_buffer
      - .offset:         112
        .size:           4
        .value_kind:     by_value
      - .offset:         120
        .size:           4
        .value_kind:     hidden_block_count_x
      - .offset:         124
        .size:           4
        .value_kind:     hidden_block_count_y
      - .offset:         128
        .size:           4
        .value_kind:     hidden_block_count_z
      - .offset:         132
        .size:           2
        .value_kind:     hidden_group_size_x
      - .offset:         134
        .size:           2
        .value_kind:     hidden_group_size_y
      - .offset:         136
        .size:           2
        .value_kind:     hidden_group_size_z
      - .offset:         138
        .size:           2
        .value_kind:     hidden_remainder_x
      - .offset:         140
        .size:           2
        .value_kind:     hidden_remainder_y
      - .offset:         142
        .size:           2
        .value_kind:     hidden_remainder_z
      - .offset:         160
        .size:           8
        .value_kind:     hidden_global_offset_x
      - .offset:         168
        .size:           8
        .value_kind:     hidden_global_offset_y
      - .offset:         176
        .size:           8
        .value_kind:     hidden_global_offset_z
      - .offset:         184
        .size:           2
        .value_kind:     hidden_grid_dims
    .group_segment_fixed_size: 19200
    .kernarg_segment_align: 8
    .kernarg_segment_size: 376
    .language:       OpenCL C
    .language_version:
      - 2
      - 0
    .max_flat_workgroup_size: 256
    .name:           _ZL26rocblas_hemvn_kernel_upperILb1ELi64ELi4ELi33ELi32ELi16ElPK19rocblas_complex_numIdEPKS3_PS1_EviT6_lT7_lT5_lS8_lS9_lS7_lT8_i
    .private_segment_fixed_size: 144
    .sgpr_count:     88
    .sgpr_spill_count: 0
    .symbol:         _ZL26rocblas_hemvn_kernel_upperILb1ELi64ELi4ELi33ELi32ELi16ElPK19rocblas_complex_numIdEPKS3_PS1_EviT6_lT7_lT5_lS8_lS9_lS7_lT8_i.kd
    .uniform_work_group_size: 1
    .uses_dynamic_stack: false
    .vgpr_count:     256
    .vgpr_spill_count: 35
    .wavefront_size: 32
    .workgroup_processor_mode: 1
  - .args:
      - .offset:         0
        .size:           4
        .value_kind:     by_value
      - .address_space:  global
        .offset:         8
        .size:           8
        .value_kind:     global_buffer
      - .offset:         16
        .size:           8
        .value_kind:     by_value
      - .address_space:  global
        .offset:         24
        .size:           8
        .value_kind:     global_buffer
      - .offset:         32
        .size:           8
        .value_kind:     by_value
      - .actual_access:  read_only
        .address_space:  global
        .offset:         40
        .size:           8
        .value_kind:     global_buffer
      - .offset:         48
        .size:           8
        .value_kind:     by_value
      - .offset:         56
        .size:           8
        .value_kind:     by_value
      - .offset:         64
        .size:           8
        .value_kind:     by_value
      - .address_space:  global
        .offset:         72
        .size:           8
        .value_kind:     global_buffer
      - .offset:         80
        .size:           4
        .value_kind:     by_value
      - .offset:         88
        .size:           4
        .value_kind:     hidden_block_count_x
      - .offset:         92
        .size:           4
        .value_kind:     hidden_block_count_y
      - .offset:         96
        .size:           4
        .value_kind:     hidden_block_count_z
      - .offset:         100
        .size:           2
        .value_kind:     hidden_group_size_x
      - .offset:         102
        .size:           2
        .value_kind:     hidden_group_size_y
      - .offset:         104
        .size:           2
        .value_kind:     hidden_group_size_z
      - .offset:         106
        .size:           2
        .value_kind:     hidden_remainder_x
      - .offset:         108
        .size:           2
        .value_kind:     hidden_remainder_y
      - .offset:         110
        .size:           2
        .value_kind:     hidden_remainder_z
      - .offset:         128
        .size:           8
        .value_kind:     hidden_global_offset_x
      - .offset:         136
        .size:           8
        .value_kind:     hidden_global_offset_y
      - .offset:         144
        .size:           8
        .value_kind:     hidden_global_offset_z
      - .offset:         152
        .size:           2
        .value_kind:     hidden_grid_dims
    .group_segment_fixed_size: 0
    .kernarg_segment_align: 8
    .kernarg_segment_size: 344
    .language:       OpenCL C
    .language_version:
      - 2
      - 0
    .max_flat_workgroup_size: 64
    .name:           _ZL36rocblas_hemvn_kernel_upper_block_sumILi64ElPK19rocblas_complex_numIdEPKPS1_S1_EviT1_lS7_lT2_lT0_lPT3_i
    .private_segment_fixed_size: 0
    .sgpr_count:     32
    .sgpr_spill_count: 0
    .symbol:         _ZL36rocblas_hemvn_kernel_upper_block_sumILi64ElPK19rocblas_complex_numIdEPKPS1_S1_EviT1_lS7_lT2_lT0_lPT3_i.kd
    .uniform_work_group_size: 1
    .uses_dynamic_stack: false
    .vgpr_count:     23
    .vgpr_spill_count: 0
    .wavefront_size: 32
    .workgroup_processor_mode: 1
  - .args:
      - .offset:         0
        .size:           4
        .value_kind:     by_value
      - .address_space:  global
        .offset:         8
        .size:           8
        .value_kind:     global_buffer
      - .offset:         16
        .size:           8
        .value_kind:     by_value
      - .address_space:  global
        .offset:         24
        .size:           8
        .value_kind:     global_buffer
      - .offset:         32
        .size:           8
        .value_kind:     by_value
      - .offset:         40
        .size:           4
        .value_kind:     by_value
      - .offset:         48
        .size:           8
        .value_kind:     by_value
      - .address_space:  global
        .offset:         56
        .size:           8
        .value_kind:     global_buffer
      - .offset:         64
        .size:           8
        .value_kind:     by_value
      - .offset:         72
        .size:           4
        .value_kind:     by_value
      - .offset:         80
        .size:           8
        .value_kind:     by_value
      - .address_space:  global
        .offset:         88
        .size:           8
        .value_kind:     global_buffer
      - .offset:         96
        .size:           8
        .value_kind:     by_value
      - .address_space:  global
        .offset:         104
        .size:           8
        .value_kind:     global_buffer
      - .offset:         112
        .size:           4
        .value_kind:     by_value
      - .offset:         120
        .size:           4
        .value_kind:     hidden_block_count_x
      - .offset:         124
        .size:           4
        .value_kind:     hidden_block_count_y
      - .offset:         128
        .size:           4
        .value_kind:     hidden_block_count_z
      - .offset:         132
        .size:           2
        .value_kind:     hidden_group_size_x
      - .offset:         134
        .size:           2
        .value_kind:     hidden_group_size_y
      - .offset:         136
        .size:           2
        .value_kind:     hidden_group_size_z
      - .offset:         138
        .size:           2
        .value_kind:     hidden_remainder_x
      - .offset:         140
        .size:           2
        .value_kind:     hidden_remainder_y
      - .offset:         142
        .size:           2
        .value_kind:     hidden_remainder_z
      - .offset:         160
        .size:           8
        .value_kind:     hidden_global_offset_x
      - .offset:         168
        .size:           8
        .value_kind:     hidden_global_offset_y
      - .offset:         176
        .size:           8
        .value_kind:     hidden_global_offset_z
      - .offset:         184
        .size:           2
        .value_kind:     hidden_grid_dims
    .group_segment_fixed_size: 19200
    .kernarg_segment_align: 8
    .kernarg_segment_size: 376
    .language:       OpenCL C
    .language_version:
      - 2
      - 0
    .max_flat_workgroup_size: 256
    .name:           _ZL26rocblas_hemvn_kernel_upperILb1ELi64ELi4ELi33ELi32ELi16EiPK19rocblas_complex_numIdEPKS3_PS1_EviT6_lT7_lT5_lS8_lS9_lS7_lT8_i
    .private_segment_fixed_size: 208
    .sgpr_count:     98
    .sgpr_spill_count: 0
    .symbol:         _ZL26rocblas_hemvn_kernel_upperILb1ELi64ELi4ELi33ELi32ELi16EiPK19rocblas_complex_numIdEPKS3_PS1_EviT6_lT7_lT5_lS8_lS9_lS7_lT8_i.kd
    .uniform_work_group_size: 1
    .uses_dynamic_stack: false
    .vgpr_count:     256
    .vgpr_spill_count: 51
    .wavefront_size: 32
    .workgroup_processor_mode: 1
  - .args:
      - .offset:         0
        .size:           4
        .value_kind:     by_value
      - .address_space:  global
        .offset:         8
        .size:           8
        .value_kind:     global_buffer
      - .offset:         16
        .size:           8
        .value_kind:     by_value
      - .address_space:  global
        .offset:         24
        .size:           8
        .value_kind:     global_buffer
      - .offset:         32
        .size:           8
        .value_kind:     by_value
      - .actual_access:  read_only
        .address_space:  global
        .offset:         40
        .size:           8
        .value_kind:     global_buffer
      - .offset:         48
        .size:           8
        .value_kind:     by_value
      - .offset:         56
        .size:           4
        .value_kind:     by_value
      - .offset:         64
        .size:           8
        .value_kind:     by_value
      - .address_space:  global
        .offset:         72
        .size:           8
        .value_kind:     global_buffer
      - .offset:         80
        .size:           4
        .value_kind:     by_value
      - .offset:         88
        .size:           4
        .value_kind:     hidden_block_count_x
      - .offset:         92
        .size:           4
        .value_kind:     hidden_block_count_y
      - .offset:         96
        .size:           4
        .value_kind:     hidden_block_count_z
      - .offset:         100
        .size:           2
        .value_kind:     hidden_group_size_x
      - .offset:         102
        .size:           2
        .value_kind:     hidden_group_size_y
      - .offset:         104
        .size:           2
        .value_kind:     hidden_group_size_z
      - .offset:         106
        .size:           2
        .value_kind:     hidden_remainder_x
      - .offset:         108
        .size:           2
        .value_kind:     hidden_remainder_y
      - .offset:         110
        .size:           2
        .value_kind:     hidden_remainder_z
      - .offset:         128
        .size:           8
        .value_kind:     hidden_global_offset_x
      - .offset:         136
        .size:           8
        .value_kind:     hidden_global_offset_y
      - .offset:         144
        .size:           8
        .value_kind:     hidden_global_offset_z
      - .offset:         152
        .size:           2
        .value_kind:     hidden_grid_dims
    .group_segment_fixed_size: 0
    .kernarg_segment_align: 8
    .kernarg_segment_size: 344
    .language:       OpenCL C
    .language_version:
      - 2
      - 0
    .max_flat_workgroup_size: 64
    .name:           _ZL36rocblas_hemvn_kernel_upper_block_sumILi64EiPK19rocblas_complex_numIdEPKPS1_S1_EviT1_lS7_lT2_lT0_lPT3_i
    .private_segment_fixed_size: 0
    .sgpr_count:     32
    .sgpr_spill_count: 0
    .symbol:         _ZL36rocblas_hemvn_kernel_upper_block_sumILi64EiPK19rocblas_complex_numIdEPKPS1_S1_EviT1_lS7_lT2_lT0_lPT3_i.kd
    .uniform_work_group_size: 1
    .uses_dynamic_stack: false
    .vgpr_count:     23
    .vgpr_spill_count: 0
    .wavefront_size: 32
    .workgroup_processor_mode: 1
  - .args:
      - .offset:         0
        .size:           4
        .value_kind:     by_value
      - .offset:         8
        .size:           16
        .value_kind:     by_value
      - .offset:         24
        .size:           8
        .value_kind:     by_value
      - .address_space:  global
        .offset:         32
        .size:           8
        .value_kind:     global_buffer
      - .offset:         40
        .size:           8
        .value_kind:     by_value
      - .offset:         48
        .size:           8
        .value_kind:     by_value
      - .offset:         56
        .size:           8
        .value_kind:     by_value
      - .address_space:  global
        .offset:         64
        .size:           8
        .value_kind:     global_buffer
      - .offset:         72
        .size:           8
        .value_kind:     by_value
      - .offset:         80
        .size:           8
        .value_kind:     by_value
      - .offset:         88
        .size:           8
        .value_kind:     by_value
      - .offset:         96
        .size:           16
        .value_kind:     by_value
      - .offset:         112
        .size:           8
        .value_kind:     by_value
      - .address_space:  global
        .offset:         120
        .size:           8
        .value_kind:     global_buffer
      - .offset:         128
        .size:           4
        .value_kind:     by_value
      - .offset:         136
        .size:           4
        .value_kind:     hidden_block_count_x
      - .offset:         140
        .size:           4
        .value_kind:     hidden_block_count_y
      - .offset:         144
        .size:           4
        .value_kind:     hidden_block_count_z
      - .offset:         148
        .size:           2
        .value_kind:     hidden_group_size_x
      - .offset:         150
        .size:           2
        .value_kind:     hidden_group_size_y
      - .offset:         152
        .size:           2
        .value_kind:     hidden_group_size_z
      - .offset:         154
        .size:           2
        .value_kind:     hidden_remainder_x
      - .offset:         156
        .size:           2
        .value_kind:     hidden_remainder_y
      - .offset:         158
        .size:           2
        .value_kind:     hidden_remainder_z
      - .offset:         176
        .size:           8
        .value_kind:     hidden_global_offset_x
      - .offset:         184
        .size:           8
        .value_kind:     hidden_global_offset_y
      - .offset:         192
        .size:           8
        .value_kind:     hidden_global_offset_z
      - .offset:         200
        .size:           2
        .value_kind:     hidden_grid_dims
    .group_segment_fixed_size: 19200
    .kernarg_segment_align: 8
    .kernarg_segment_size: 392
    .language:       OpenCL C
    .language_version:
      - 2
      - 0
    .max_flat_workgroup_size: 256
    .name:           _ZL26rocblas_hemvn_kernel_upperILb1ELi64ELi4ELi33ELi32ELi16El19rocblas_complex_numIdEPKPKS1_PS1_EviT6_lT7_lT5_lS8_lS9_lS7_lT8_i
    .private_segment_fixed_size: 144
    .sgpr_count:     82
    .sgpr_spill_count: 0
    .symbol:         _ZL26rocblas_hemvn_kernel_upperILb1ELi64ELi4ELi33ELi32ELi16El19rocblas_complex_numIdEPKPKS1_PS1_EviT6_lT7_lT5_lS8_lS9_lS7_lT8_i.kd
    .uniform_work_group_size: 1
    .uses_dynamic_stack: false
    .vgpr_count:     256
    .vgpr_spill_count: 35
    .wavefront_size: 32
    .workgroup_processor_mode: 1
  - .args:
      - .offset:         0
        .size:           4
        .value_kind:     by_value
      - .offset:         8
        .size:           16
        .value_kind:     by_value
      - .offset:         24
        .size:           8
        .value_kind:     by_value
      - .offset:         32
        .size:           16
        .value_kind:     by_value
      - .offset:         48
        .size:           8
        .value_kind:     by_value
      - .actual_access:  read_only
        .address_space:  global
        .offset:         56
        .size:           8
        .value_kind:     global_buffer
      - .offset:         64
        .size:           8
        .value_kind:     by_value
      - .offset:         72
        .size:           8
        .value_kind:     by_value
      - .offset:         80
        .size:           8
        .value_kind:     by_value
      - .address_space:  global
        .offset:         88
        .size:           8
        .value_kind:     global_buffer
      - .offset:         96
        .size:           4
        .value_kind:     by_value
      - .offset:         104
        .size:           4
        .value_kind:     hidden_block_count_x
      - .offset:         108
        .size:           4
        .value_kind:     hidden_block_count_y
      - .offset:         112
        .size:           4
        .value_kind:     hidden_block_count_z
      - .offset:         116
        .size:           2
        .value_kind:     hidden_group_size_x
      - .offset:         118
        .size:           2
        .value_kind:     hidden_group_size_y
      - .offset:         120
        .size:           2
        .value_kind:     hidden_group_size_z
      - .offset:         122
        .size:           2
        .value_kind:     hidden_remainder_x
      - .offset:         124
        .size:           2
        .value_kind:     hidden_remainder_y
      - .offset:         126
        .size:           2
        .value_kind:     hidden_remainder_z
      - .offset:         144
        .size:           8
        .value_kind:     hidden_global_offset_x
      - .offset:         152
        .size:           8
        .value_kind:     hidden_global_offset_y
      - .offset:         160
        .size:           8
        .value_kind:     hidden_global_offset_z
      - .offset:         168
        .size:           2
        .value_kind:     hidden_grid_dims
    .group_segment_fixed_size: 0
    .kernarg_segment_align: 8
    .kernarg_segment_size: 360
    .language:       OpenCL C
    .language_version:
      - 2
      - 0
    .max_flat_workgroup_size: 64
    .name:           _ZL36rocblas_hemvn_kernel_upper_block_sumILi64El19rocblas_complex_numIdEPKPS1_S1_EviT1_lS5_lT2_lT0_lPT3_i
    .private_segment_fixed_size: 0
    .sgpr_count:     34
    .sgpr_spill_count: 0
    .symbol:         _ZL36rocblas_hemvn_kernel_upper_block_sumILi64El19rocblas_complex_numIdEPKPS1_S1_EviT1_lS5_lT2_lT0_lPT3_i.kd
    .uniform_work_group_size: 1
    .uses_dynamic_stack: false
    .vgpr_count:     15
    .vgpr_spill_count: 0
    .wavefront_size: 32
    .workgroup_processor_mode: 1
  - .args:
      - .offset:         0
        .size:           4
        .value_kind:     by_value
      - .offset:         8
        .size:           16
        .value_kind:     by_value
      - .offset:         24
        .size:           8
        .value_kind:     by_value
      - .address_space:  global
        .offset:         32
        .size:           8
        .value_kind:     global_buffer
      - .offset:         40
        .size:           8
        .value_kind:     by_value
      - .offset:         48
        .size:           4
        .value_kind:     by_value
      - .offset:         56
        .size:           8
        .value_kind:     by_value
      - .address_space:  global
        .offset:         64
        .size:           8
        .value_kind:     global_buffer
      - .offset:         72
        .size:           8
        .value_kind:     by_value
      - .offset:         80
        .size:           4
        .value_kind:     by_value
      - .offset:         88
        .size:           8
        .value_kind:     by_value
      - .offset:         96
        .size:           16
        .value_kind:     by_value
      - .offset:         112
        .size:           8
        .value_kind:     by_value
      - .address_space:  global
        .offset:         120
        .size:           8
        .value_kind:     global_buffer
      - .offset:         128
        .size:           4
        .value_kind:     by_value
      - .offset:         136
        .size:           4
        .value_kind:     hidden_block_count_x
      - .offset:         140
        .size:           4
        .value_kind:     hidden_block_count_y
      - .offset:         144
        .size:           4
        .value_kind:     hidden_block_count_z
      - .offset:         148
        .size:           2
        .value_kind:     hidden_group_size_x
      - .offset:         150
        .size:           2
        .value_kind:     hidden_group_size_y
      - .offset:         152
        .size:           2
        .value_kind:     hidden_group_size_z
      - .offset:         154
        .size:           2
        .value_kind:     hidden_remainder_x
      - .offset:         156
        .size:           2
        .value_kind:     hidden_remainder_y
      - .offset:         158
        .size:           2
        .value_kind:     hidden_remainder_z
      - .offset:         176
        .size:           8
        .value_kind:     hidden_global_offset_x
      - .offset:         184
        .size:           8
        .value_kind:     hidden_global_offset_y
      - .offset:         192
        .size:           8
        .value_kind:     hidden_global_offset_z
      - .offset:         200
        .size:           2
        .value_kind:     hidden_grid_dims
    .group_segment_fixed_size: 19200
    .kernarg_segment_align: 8
    .kernarg_segment_size: 392
    .language:       OpenCL C
    .language_version:
      - 2
      - 0
    .max_flat_workgroup_size: 256
    .name:           _ZL26rocblas_hemvn_kernel_upperILb1ELi64ELi4ELi33ELi32ELi16Ei19rocblas_complex_numIdEPKPKS1_PS1_EviT6_lT7_lT5_lS8_lS9_lS7_lT8_i
    .private_segment_fixed_size: 208
    .sgpr_count:     92
    .sgpr_spill_count: 0
    .symbol:         _ZL26rocblas_hemvn_kernel_upperILb1ELi64ELi4ELi33ELi32ELi16Ei19rocblas_complex_numIdEPKPKS1_PS1_EviT6_lT7_lT5_lS8_lS9_lS7_lT8_i.kd
    .uniform_work_group_size: 1
    .uses_dynamic_stack: false
    .vgpr_count:     256
    .vgpr_spill_count: 51
    .wavefront_size: 32
    .workgroup_processor_mode: 1
  - .args:
      - .offset:         0
        .size:           4
        .value_kind:     by_value
      - .offset:         8
        .size:           16
        .value_kind:     by_value
      - .offset:         24
        .size:           8
        .value_kind:     by_value
      - .offset:         32
        .size:           16
        .value_kind:     by_value
      - .offset:         48
        .size:           8
        .value_kind:     by_value
      - .actual_access:  read_only
        .address_space:  global
        .offset:         56
        .size:           8
        .value_kind:     global_buffer
      - .offset:         64
        .size:           8
        .value_kind:     by_value
      - .offset:         72
        .size:           4
        .value_kind:     by_value
      - .offset:         80
        .size:           8
        .value_kind:     by_value
      - .address_space:  global
        .offset:         88
        .size:           8
        .value_kind:     global_buffer
      - .offset:         96
        .size:           4
        .value_kind:     by_value
      - .offset:         104
        .size:           4
        .value_kind:     hidden_block_count_x
      - .offset:         108
        .size:           4
        .value_kind:     hidden_block_count_y
      - .offset:         112
        .size:           4
        .value_kind:     hidden_block_count_z
      - .offset:         116
        .size:           2
        .value_kind:     hidden_group_size_x
      - .offset:         118
        .size:           2
        .value_kind:     hidden_group_size_y
      - .offset:         120
        .size:           2
        .value_kind:     hidden_group_size_z
      - .offset:         122
        .size:           2
        .value_kind:     hidden_remainder_x
      - .offset:         124
        .size:           2
        .value_kind:     hidden_remainder_y
      - .offset:         126
        .size:           2
        .value_kind:     hidden_remainder_z
      - .offset:         144
        .size:           8
        .value_kind:     hidden_global_offset_x
      - .offset:         152
        .size:           8
        .value_kind:     hidden_global_offset_y
      - .offset:         160
        .size:           8
        .value_kind:     hidden_global_offset_z
      - .offset:         168
        .size:           2
        .value_kind:     hidden_grid_dims
    .group_segment_fixed_size: 0
    .kernarg_segment_align: 8
    .kernarg_segment_size: 360
    .language:       OpenCL C
    .language_version:
      - 2
      - 0
    .max_flat_workgroup_size: 64
    .name:           _ZL36rocblas_hemvn_kernel_upper_block_sumILi64Ei19rocblas_complex_numIdEPKPS1_S1_EviT1_lS5_lT2_lT0_lPT3_i
    .private_segment_fixed_size: 0
    .sgpr_count:     34
    .sgpr_spill_count: 0
    .symbol:         _ZL36rocblas_hemvn_kernel_upper_block_sumILi64Ei19rocblas_complex_numIdEPKPS1_S1_EviT1_lS5_lT2_lT0_lPT3_i.kd
    .uniform_work_group_size: 1
    .uses_dynamic_stack: false
    .vgpr_count:     15
    .vgpr_spill_count: 0
    .wavefront_size: 32
    .workgroup_processor_mode: 1
  - .args:
      - .offset:         0
        .size:           4
        .value_kind:     by_value
      - .address_space:  global
        .offset:         8
        .size:           8
        .value_kind:     global_buffer
      - .offset:         16
        .size:           8
        .value_kind:     by_value
      - .address_space:  global
        .offset:         24
        .size:           8
        .value_kind:     global_buffer
      - .offset:         32
        .size:           8
        .value_kind:     by_value
      - .offset:         40
        .size:           8
        .value_kind:     by_value
      - .offset:         48
        .size:           8
        .value_kind:     by_value
      - .address_space:  global
        .offset:         56
        .size:           8
        .value_kind:     global_buffer
      - .offset:         64
        .size:           8
        .value_kind:     by_value
      - .offset:         72
        .size:           8
        .value_kind:     by_value
      - .offset:         80
        .size:           8
        .value_kind:     by_value
      - .address_space:  global
        .offset:         88
        .size:           8
        .value_kind:     global_buffer
      - .offset:         96
        .size:           8
        .value_kind:     by_value
      - .address_space:  global
        .offset:         104
        .size:           8
        .value_kind:     global_buffer
      - .offset:         112
        .size:           4
        .value_kind:     by_value
      - .offset:         120
        .size:           4
        .value_kind:     hidden_block_count_x
      - .offset:         124
        .size:           4
        .value_kind:     hidden_block_count_y
      - .offset:         128
        .size:           4
        .value_kind:     hidden_block_count_z
      - .offset:         132
        .size:           2
        .value_kind:     hidden_group_size_x
      - .offset:         134
        .size:           2
        .value_kind:     hidden_group_size_y
      - .offset:         136
        .size:           2
        .value_kind:     hidden_group_size_z
      - .offset:         138
        .size:           2
        .value_kind:     hidden_remainder_x
      - .offset:         140
        .size:           2
        .value_kind:     hidden_remainder_y
      - .offset:         142
        .size:           2
        .value_kind:     hidden_remainder_z
      - .offset:         160
        .size:           8
        .value_kind:     hidden_global_offset_x
      - .offset:         168
        .size:           8
        .value_kind:     hidden_global_offset_y
      - .offset:         176
        .size:           8
        .value_kind:     hidden_global_offset_z
      - .offset:         184
        .size:           2
        .value_kind:     hidden_grid_dims
    .group_segment_fixed_size: 19200
    .kernarg_segment_align: 8
    .kernarg_segment_size: 376
    .language:       OpenCL C
    .language_version:
      - 2
      - 0
    .max_flat_workgroup_size: 256
    .name:           _ZL26rocblas_hemvn_kernel_lowerILb1ELi64ELi4ELi33ELi32ELi16ElPK19rocblas_complex_numIdEPKS3_PS1_EviT6_lT7_lT5_lS8_lS9_lS7_lT8_i
    .private_segment_fixed_size: 0
    .sgpr_count:     88
    .sgpr_spill_count: 0
    .symbol:         _ZL26rocblas_hemvn_kernel_lowerILb1ELi64ELi4ELi33ELi32ELi16ElPK19rocblas_complex_numIdEPKS3_PS1_EviT6_lT7_lT5_lS8_lS9_lS7_lT8_i.kd
    .uniform_work_group_size: 1
    .uses_dynamic_stack: false
    .vgpr_count:     210
    .vgpr_spill_count: 0
    .wavefront_size: 32
    .workgroup_processor_mode: 1
  - .args:
      - .offset:         0
        .size:           4
        .value_kind:     by_value
      - .address_space:  global
        .offset:         8
        .size:           8
        .value_kind:     global_buffer
      - .offset:         16
        .size:           8
        .value_kind:     by_value
      - .address_space:  global
        .offset:         24
        .size:           8
        .value_kind:     global_buffer
      - .offset:         32
        .size:           8
        .value_kind:     by_value
      - .actual_access:  read_only
        .address_space:  global
        .offset:         40
        .size:           8
        .value_kind:     global_buffer
      - .offset:         48
        .size:           8
        .value_kind:     by_value
      - .offset:         56
        .size:           8
        .value_kind:     by_value
      - .offset:         64
        .size:           8
        .value_kind:     by_value
      - .actual_access:  read_only
        .address_space:  global
        .offset:         72
        .size:           8
        .value_kind:     global_buffer
      - .offset:         80
        .size:           4
        .value_kind:     by_value
      - .offset:         88
        .size:           4
        .value_kind:     hidden_block_count_x
      - .offset:         92
        .size:           4
        .value_kind:     hidden_block_count_y
      - .offset:         96
        .size:           4
        .value_kind:     hidden_block_count_z
      - .offset:         100
        .size:           2
        .value_kind:     hidden_group_size_x
      - .offset:         102
        .size:           2
        .value_kind:     hidden_group_size_y
      - .offset:         104
        .size:           2
        .value_kind:     hidden_group_size_z
      - .offset:         106
        .size:           2
        .value_kind:     hidden_remainder_x
      - .offset:         108
        .size:           2
        .value_kind:     hidden_remainder_y
      - .offset:         110
        .size:           2
        .value_kind:     hidden_remainder_z
      - .offset:         128
        .size:           8
        .value_kind:     hidden_global_offset_x
      - .offset:         136
        .size:           8
        .value_kind:     hidden_global_offset_y
      - .offset:         144
        .size:           8
        .value_kind:     hidden_global_offset_z
      - .offset:         152
        .size:           2
        .value_kind:     hidden_grid_dims
    .group_segment_fixed_size: 0
    .kernarg_segment_align: 8
    .kernarg_segment_size: 344
    .language:       OpenCL C
    .language_version:
      - 2
      - 0
    .max_flat_workgroup_size: 64
    .name:           _ZL36rocblas_hemvn_kernel_lower_block_sumILi64ElPK19rocblas_complex_numIdEPKPS1_S1_EviT1_lS7_lT2_lT0_lPT3_i
    .private_segment_fixed_size: 0
    .sgpr_count:     32
    .sgpr_spill_count: 0
    .symbol:         _ZL36rocblas_hemvn_kernel_lower_block_sumILi64ElPK19rocblas_complex_numIdEPKPS1_S1_EviT1_lS7_lT2_lT0_lPT3_i.kd
    .uniform_work_group_size: 1
    .uses_dynamic_stack: false
    .vgpr_count:     23
    .vgpr_spill_count: 0
    .wavefront_size: 32
    .workgroup_processor_mode: 1
  - .args:
      - .offset:         0
        .size:           4
        .value_kind:     by_value
      - .address_space:  global
        .offset:         8
        .size:           8
        .value_kind:     global_buffer
      - .offset:         16
        .size:           8
        .value_kind:     by_value
      - .address_space:  global
        .offset:         24
        .size:           8
        .value_kind:     global_buffer
      - .offset:         32
        .size:           8
        .value_kind:     by_value
      - .offset:         40
        .size:           4
        .value_kind:     by_value
      - .offset:         48
        .size:           8
        .value_kind:     by_value
      - .address_space:  global
        .offset:         56
        .size:           8
        .value_kind:     global_buffer
      - .offset:         64
        .size:           8
        .value_kind:     by_value
      - .offset:         72
        .size:           4
        .value_kind:     by_value
      - .offset:         80
        .size:           8
        .value_kind:     by_value
      - .address_space:  global
        .offset:         88
        .size:           8
        .value_kind:     global_buffer
      - .offset:         96
        .size:           8
        .value_kind:     by_value
      - .address_space:  global
        .offset:         104
        .size:           8
        .value_kind:     global_buffer
      - .offset:         112
        .size:           4
        .value_kind:     by_value
      - .offset:         120
        .size:           4
        .value_kind:     hidden_block_count_x
      - .offset:         124
        .size:           4
        .value_kind:     hidden_block_count_y
      - .offset:         128
        .size:           4
        .value_kind:     hidden_block_count_z
      - .offset:         132
        .size:           2
        .value_kind:     hidden_group_size_x
      - .offset:         134
        .size:           2
        .value_kind:     hidden_group_size_y
      - .offset:         136
        .size:           2
        .value_kind:     hidden_group_size_z
      - .offset:         138
        .size:           2
        .value_kind:     hidden_remainder_x
      - .offset:         140
        .size:           2
        .value_kind:     hidden_remainder_y
      - .offset:         142
        .size:           2
        .value_kind:     hidden_remainder_z
      - .offset:         160
        .size:           8
        .value_kind:     hidden_global_offset_x
      - .offset:         168
        .size:           8
        .value_kind:     hidden_global_offset_y
      - .offset:         176
        .size:           8
        .value_kind:     hidden_global_offset_z
      - .offset:         184
        .size:           2
        .value_kind:     hidden_grid_dims
    .group_segment_fixed_size: 19200
    .kernarg_segment_align: 8
    .kernarg_segment_size: 376
    .language:       OpenCL C
    .language_version:
      - 2
      - 0
    .max_flat_workgroup_size: 256
    .name:           _ZL26rocblas_hemvn_kernel_lowerILb1ELi64ELi4ELi33ELi32ELi16EiPK19rocblas_complex_numIdEPKS3_PS1_EviT6_lT7_lT5_lS8_lS9_lS7_lT8_i
    .private_segment_fixed_size: 0
    .sgpr_count:     90
    .sgpr_spill_count: 0
    .symbol:         _ZL26rocblas_hemvn_kernel_lowerILb1ELi64ELi4ELi33ELi32ELi16EiPK19rocblas_complex_numIdEPKS3_PS1_EviT6_lT7_lT5_lS8_lS9_lS7_lT8_i.kd
    .uniform_work_group_size: 1
    .uses_dynamic_stack: false
    .vgpr_count:     213
    .vgpr_spill_count: 0
    .wavefront_size: 32
    .workgroup_processor_mode: 1
  - .args:
      - .offset:         0
        .size:           4
        .value_kind:     by_value
      - .address_space:  global
        .offset:         8
        .size:           8
        .value_kind:     global_buffer
      - .offset:         16
        .size:           8
        .value_kind:     by_value
      - .address_space:  global
        .offset:         24
        .size:           8
        .value_kind:     global_buffer
      - .offset:         32
        .size:           8
        .value_kind:     by_value
      - .actual_access:  read_only
        .address_space:  global
        .offset:         40
        .size:           8
        .value_kind:     global_buffer
      - .offset:         48
        .size:           8
        .value_kind:     by_value
      - .offset:         56
        .size:           4
        .value_kind:     by_value
      - .offset:         64
        .size:           8
        .value_kind:     by_value
      - .actual_access:  read_only
        .address_space:  global
        .offset:         72
        .size:           8
        .value_kind:     global_buffer
      - .offset:         80
        .size:           4
        .value_kind:     by_value
      - .offset:         88
        .size:           4
        .value_kind:     hidden_block_count_x
      - .offset:         92
        .size:           4
        .value_kind:     hidden_block_count_y
      - .offset:         96
        .size:           4
        .value_kind:     hidden_block_count_z
      - .offset:         100
        .size:           2
        .value_kind:     hidden_group_size_x
      - .offset:         102
        .size:           2
        .value_kind:     hidden_group_size_y
      - .offset:         104
        .size:           2
        .value_kind:     hidden_group_size_z
      - .offset:         106
        .size:           2
        .value_kind:     hidden_remainder_x
      - .offset:         108
        .size:           2
        .value_kind:     hidden_remainder_y
      - .offset:         110
        .size:           2
        .value_kind:     hidden_remainder_z
      - .offset:         128
        .size:           8
        .value_kind:     hidden_global_offset_x
      - .offset:         136
        .size:           8
        .value_kind:     hidden_global_offset_y
      - .offset:         144
        .size:           8
        .value_kind:     hidden_global_offset_z
      - .offset:         152
        .size:           2
        .value_kind:     hidden_grid_dims
    .group_segment_fixed_size: 0
    .kernarg_segment_align: 8
    .kernarg_segment_size: 344
    .language:       OpenCL C
    .language_version:
      - 2
      - 0
    .max_flat_workgroup_size: 64
    .name:           _ZL36rocblas_hemvn_kernel_lower_block_sumILi64EiPK19rocblas_complex_numIdEPKPS1_S1_EviT1_lS7_lT2_lT0_lPT3_i
    .private_segment_fixed_size: 0
    .sgpr_count:     32
    .sgpr_spill_count: 0
    .symbol:         _ZL36rocblas_hemvn_kernel_lower_block_sumILi64EiPK19rocblas_complex_numIdEPKPS1_S1_EviT1_lS7_lT2_lT0_lPT3_i.kd
    .uniform_work_group_size: 1
    .uses_dynamic_stack: false
    .vgpr_count:     23
    .vgpr_spill_count: 0
    .wavefront_size: 32
    .workgroup_processor_mode: 1
  - .args:
      - .offset:         0
        .size:           4
        .value_kind:     by_value
      - .offset:         8
        .size:           16
        .value_kind:     by_value
      - .offset:         24
        .size:           8
        .value_kind:     by_value
      - .address_space:  global
        .offset:         32
        .size:           8
        .value_kind:     global_buffer
      - .offset:         40
        .size:           8
        .value_kind:     by_value
      - .offset:         48
        .size:           8
        .value_kind:     by_value
      - .offset:         56
        .size:           8
        .value_kind:     by_value
      - .address_space:  global
        .offset:         64
        .size:           8
        .value_kind:     global_buffer
      - .offset:         72
        .size:           8
        .value_kind:     by_value
      - .offset:         80
        .size:           8
        .value_kind:     by_value
      - .offset:         88
        .size:           8
        .value_kind:     by_value
      - .offset:         96
        .size:           16
        .value_kind:     by_value
      - .offset:         112
        .size:           8
        .value_kind:     by_value
      - .address_space:  global
        .offset:         120
        .size:           8
        .value_kind:     global_buffer
      - .offset:         128
        .size:           4
        .value_kind:     by_value
      - .offset:         136
        .size:           4
        .value_kind:     hidden_block_count_x
      - .offset:         140
        .size:           4
        .value_kind:     hidden_block_count_y
      - .offset:         144
        .size:           4
        .value_kind:     hidden_block_count_z
      - .offset:         148
        .size:           2
        .value_kind:     hidden_group_size_x
      - .offset:         150
        .size:           2
        .value_kind:     hidden_group_size_y
      - .offset:         152
        .size:           2
        .value_kind:     hidden_group_size_z
      - .offset:         154
        .size:           2
        .value_kind:     hidden_remainder_x
      - .offset:         156
        .size:           2
        .value_kind:     hidden_remainder_y
      - .offset:         158
        .size:           2
        .value_kind:     hidden_remainder_z
      - .offset:         176
        .size:           8
        .value_kind:     hidden_global_offset_x
      - .offset:         184
        .size:           8
        .value_kind:     hidden_global_offset_y
      - .offset:         192
        .size:           8
        .value_kind:     hidden_global_offset_z
      - .offset:         200
        .size:           2
        .value_kind:     hidden_grid_dims
    .group_segment_fixed_size: 19200
    .kernarg_segment_align: 8
    .kernarg_segment_size: 392
    .language:       OpenCL C
    .language_version:
      - 2
      - 0
    .max_flat_workgroup_size: 256
    .name:           _ZL26rocblas_hemvn_kernel_lowerILb1ELi64ELi4ELi33ELi32ELi16El19rocblas_complex_numIdEPKPKS1_PS1_EviT6_lT7_lT5_lS8_lS9_lS7_lT8_i
    .private_segment_fixed_size: 0
    .sgpr_count:     82
    .sgpr_spill_count: 0
    .symbol:         _ZL26rocblas_hemvn_kernel_lowerILb1ELi64ELi4ELi33ELi32ELi16El19rocblas_complex_numIdEPKPKS1_PS1_EviT6_lT7_lT5_lS8_lS9_lS7_lT8_i.kd
    .uniform_work_group_size: 1
    .uses_dynamic_stack: false
    .vgpr_count:     244
    .vgpr_spill_count: 0
    .wavefront_size: 32
    .workgroup_processor_mode: 1
  - .args:
      - .offset:         0
        .size:           4
        .value_kind:     by_value
      - .offset:         8
        .size:           16
        .value_kind:     by_value
      - .offset:         24
        .size:           8
        .value_kind:     by_value
      - .offset:         32
        .size:           16
        .value_kind:     by_value
      - .offset:         48
        .size:           8
        .value_kind:     by_value
      - .actual_access:  read_only
        .address_space:  global
        .offset:         56
        .size:           8
        .value_kind:     global_buffer
      - .offset:         64
        .size:           8
        .value_kind:     by_value
      - .offset:         72
        .size:           8
        .value_kind:     by_value
      - .offset:         80
        .size:           8
        .value_kind:     by_value
      - .actual_access:  read_only
        .address_space:  global
        .offset:         88
        .size:           8
        .value_kind:     global_buffer
      - .offset:         96
        .size:           4
        .value_kind:     by_value
      - .offset:         104
        .size:           4
        .value_kind:     hidden_block_count_x
      - .offset:         108
        .size:           4
        .value_kind:     hidden_block_count_y
      - .offset:         112
        .size:           4
        .value_kind:     hidden_block_count_z
      - .offset:         116
        .size:           2
        .value_kind:     hidden_group_size_x
      - .offset:         118
        .size:           2
        .value_kind:     hidden_group_size_y
      - .offset:         120
        .size:           2
        .value_kind:     hidden_group_size_z
      - .offset:         122
        .size:           2
        .value_kind:     hidden_remainder_x
      - .offset:         124
        .size:           2
        .value_kind:     hidden_remainder_y
      - .offset:         126
        .size:           2
        .value_kind:     hidden_remainder_z
      - .offset:         144
        .size:           8
        .value_kind:     hidden_global_offset_x
      - .offset:         152
        .size:           8
        .value_kind:     hidden_global_offset_y
      - .offset:         160
        .size:           8
        .value_kind:     hidden_global_offset_z
      - .offset:         168
        .size:           2
        .value_kind:     hidden_grid_dims
    .group_segment_fixed_size: 0
    .kernarg_segment_align: 8
    .kernarg_segment_size: 360
    .language:       OpenCL C
    .language_version:
      - 2
      - 0
    .max_flat_workgroup_size: 64
    .name:           _ZL36rocblas_hemvn_kernel_lower_block_sumILi64El19rocblas_complex_numIdEPKPS1_S1_EviT1_lS5_lT2_lT0_lPT3_i
    .private_segment_fixed_size: 0
    .sgpr_count:     34
    .sgpr_spill_count: 0
    .symbol:         _ZL36rocblas_hemvn_kernel_lower_block_sumILi64El19rocblas_complex_numIdEPKPS1_S1_EviT1_lS5_lT2_lT0_lPT3_i.kd
    .uniform_work_group_size: 1
    .uses_dynamic_stack: false
    .vgpr_count:     15
    .vgpr_spill_count: 0
    .wavefront_size: 32
    .workgroup_processor_mode: 1
  - .args:
      - .offset:         0
        .size:           4
        .value_kind:     by_value
      - .offset:         8
        .size:           16
        .value_kind:     by_value
      - .offset:         24
        .size:           8
        .value_kind:     by_value
      - .address_space:  global
        .offset:         32
        .size:           8
        .value_kind:     global_buffer
      - .offset:         40
        .size:           8
        .value_kind:     by_value
      - .offset:         48
        .size:           4
        .value_kind:     by_value
      - .offset:         56
        .size:           8
        .value_kind:     by_value
      - .address_space:  global
        .offset:         64
        .size:           8
        .value_kind:     global_buffer
      - .offset:         72
        .size:           8
        .value_kind:     by_value
      - .offset:         80
        .size:           4
        .value_kind:     by_value
      - .offset:         88
        .size:           8
        .value_kind:     by_value
      - .offset:         96
        .size:           16
        .value_kind:     by_value
      - .offset:         112
        .size:           8
        .value_kind:     by_value
      - .address_space:  global
        .offset:         120
        .size:           8
        .value_kind:     global_buffer
      - .offset:         128
        .size:           4
        .value_kind:     by_value
      - .offset:         136
        .size:           4
        .value_kind:     hidden_block_count_x
      - .offset:         140
        .size:           4
        .value_kind:     hidden_block_count_y
      - .offset:         144
        .size:           4
        .value_kind:     hidden_block_count_z
      - .offset:         148
        .size:           2
        .value_kind:     hidden_group_size_x
      - .offset:         150
        .size:           2
        .value_kind:     hidden_group_size_y
      - .offset:         152
        .size:           2
        .value_kind:     hidden_group_size_z
      - .offset:         154
        .size:           2
        .value_kind:     hidden_remainder_x
      - .offset:         156
        .size:           2
        .value_kind:     hidden_remainder_y
      - .offset:         158
        .size:           2
        .value_kind:     hidden_remainder_z
      - .offset:         176
        .size:           8
        .value_kind:     hidden_global_offset_x
      - .offset:         184
        .size:           8
        .value_kind:     hidden_global_offset_y
      - .offset:         192
        .size:           8
        .value_kind:     hidden_global_offset_z
      - .offset:         200
        .size:           2
        .value_kind:     hidden_grid_dims
    .group_segment_fixed_size: 19200
    .kernarg_segment_align: 8
    .kernarg_segment_size: 392
    .language:       OpenCL C
    .language_version:
      - 2
      - 0
    .max_flat_workgroup_size: 256
    .name:           _ZL26rocblas_hemvn_kernel_lowerILb1ELi64ELi4ELi33ELi32ELi16Ei19rocblas_complex_numIdEPKPKS1_PS1_EviT6_lT7_lT5_lS8_lS9_lS7_lT8_i
    .private_segment_fixed_size: 0
    .sgpr_count:     84
    .sgpr_spill_count: 0
    .symbol:         _ZL26rocblas_hemvn_kernel_lowerILb1ELi64ELi4ELi33ELi32ELi16Ei19rocblas_complex_numIdEPKPKS1_PS1_EviT6_lT7_lT5_lS8_lS9_lS7_lT8_i.kd
    .uniform_work_group_size: 1
    .uses_dynamic_stack: false
    .vgpr_count:     245
    .vgpr_spill_count: 0
    .wavefront_size: 32
    .workgroup_processor_mode: 1
  - .args:
      - .offset:         0
        .size:           4
        .value_kind:     by_value
      - .offset:         8
        .size:           16
        .value_kind:     by_value
      - .offset:         24
        .size:           8
        .value_kind:     by_value
      - .offset:         32
        .size:           16
        .value_kind:     by_value
      - .offset:         48
        .size:           8
        .value_kind:     by_value
      - .actual_access:  read_only
        .address_space:  global
        .offset:         56
        .size:           8
        .value_kind:     global_buffer
      - .offset:         64
        .size:           8
        .value_kind:     by_value
      - .offset:         72
        .size:           4
        .value_kind:     by_value
      - .offset:         80
        .size:           8
        .value_kind:     by_value
      - .actual_access:  read_only
        .address_space:  global
        .offset:         88
        .size:           8
        .value_kind:     global_buffer
      - .offset:         96
        .size:           4
        .value_kind:     by_value
      - .offset:         104
        .size:           4
        .value_kind:     hidden_block_count_x
      - .offset:         108
        .size:           4
        .value_kind:     hidden_block_count_y
      - .offset:         112
        .size:           4
        .value_kind:     hidden_block_count_z
      - .offset:         116
        .size:           2
        .value_kind:     hidden_group_size_x
      - .offset:         118
        .size:           2
        .value_kind:     hidden_group_size_y
      - .offset:         120
        .size:           2
        .value_kind:     hidden_group_size_z
      - .offset:         122
        .size:           2
        .value_kind:     hidden_remainder_x
      - .offset:         124
        .size:           2
        .value_kind:     hidden_remainder_y
      - .offset:         126
        .size:           2
        .value_kind:     hidden_remainder_z
      - .offset:         144
        .size:           8
        .value_kind:     hidden_global_offset_x
      - .offset:         152
        .size:           8
        .value_kind:     hidden_global_offset_y
      - .offset:         160
        .size:           8
        .value_kind:     hidden_global_offset_z
      - .offset:         168
        .size:           2
        .value_kind:     hidden_grid_dims
    .group_segment_fixed_size: 0
    .kernarg_segment_align: 8
    .kernarg_segment_size: 360
    .language:       OpenCL C
    .language_version:
      - 2
      - 0
    .max_flat_workgroup_size: 64
    .name:           _ZL36rocblas_hemvn_kernel_lower_block_sumILi64Ei19rocblas_complex_numIdEPKPS1_S1_EviT1_lS5_lT2_lT0_lPT3_i
    .private_segment_fixed_size: 0
    .sgpr_count:     34
    .sgpr_spill_count: 0
    .symbol:         _ZL36rocblas_hemvn_kernel_lower_block_sumILi64Ei19rocblas_complex_numIdEPKPS1_S1_EviT1_lS5_lT2_lT0_lPT3_i.kd
    .uniform_work_group_size: 1
    .uses_dynamic_stack: false
    .vgpr_count:     15
    .vgpr_spill_count: 0
    .wavefront_size: 32
    .workgroup_processor_mode: 1
  - .args:
      - .offset:         0
        .size:           1
        .value_kind:     by_value
      - .offset:         4
        .size:           4
        .value_kind:     by_value
      - .offset:         8
        .size:           8
        .value_kind:     by_value
      - .offset:         16
        .size:           8
        .value_kind:     by_value
      - .address_space:  global
        .offset:         24
        .size:           8
        .value_kind:     global_buffer
      - .offset:         32
        .size:           8
        .value_kind:     by_value
      - .offset:         40
        .size:           8
        .value_kind:     by_value
      - .offset:         48
        .size:           8
        .value_kind:     by_value
      - .address_space:  global
        .offset:         56
        .size:           8
        .value_kind:     global_buffer
      - .offset:         64
        .size:           8
        .value_kind:     by_value
      - .offset:         72
        .size:           8
        .value_kind:     by_value
      - .offset:         80
        .size:           8
        .value_kind:     by_value
      - .offset:         88
        .size:           8
        .value_kind:     by_value
      - .offset:         96
        .size:           8
        .value_kind:     by_value
      - .address_space:  global
        .offset:         104
        .size:           8
        .value_kind:     global_buffer
      - .offset:         112
        .size:           8
        .value_kind:     by_value
      - .offset:         120
        .size:           8
        .value_kind:     by_value
      - .offset:         128
        .size:           8
        .value_kind:     by_value
      - .offset:         136
        .size:           4
        .value_kind:     by_value
    .group_segment_fixed_size: 7296
    .kernarg_segment_align: 8
    .kernarg_segment_size: 140
    .language:       OpenCL C
    .language_version:
      - 2
      - 0
    .max_flat_workgroup_size: 128
    .name:           _ZL50rocblas_symv_kernel_upper_double_buffered_diagonalILi32ELi4E24rocblas_internal_val_ptrIfEPKfPfEvbiT1_lT2_lllS6_lllS5_lT3_llli
    .private_segment_fixed_size: 0
    .sgpr_count:     42
    .sgpr_spill_count: 0
    .symbol:         _ZL50rocblas_symv_kernel_upper_double_buffered_diagonalILi32ELi4E24rocblas_internal_val_ptrIfEPKfPfEvbiT1_lT2_lllS6_lllS5_lT3_llli.kd
    .uniform_work_group_size: 1
    .uses_dynamic_stack: false
    .vgpr_count:     38
    .vgpr_spill_count: 0
    .wavefront_size: 32
    .workgroup_processor_mode: 1
  - .args:
      - .offset:         0
        .size:           1
        .value_kind:     by_value
      - .offset:         4
        .size:           4
        .value_kind:     by_value
      - .offset:         8
        .size:           8
        .value_kind:     by_value
      - .offset:         16
        .size:           8
        .value_kind:     by_value
      - .address_space:  global
        .offset:         24
        .size:           8
        .value_kind:     global_buffer
      - .offset:         32
        .size:           8
        .value_kind:     by_value
      - .offset:         40
        .size:           8
        .value_kind:     by_value
      - .offset:         48
        .size:           8
        .value_kind:     by_value
      - .address_space:  global
        .offset:         56
        .size:           8
        .value_kind:     global_buffer
      - .offset:         64
        .size:           8
        .value_kind:     by_value
      - .offset:         72
        .size:           8
        .value_kind:     by_value
      - .offset:         80
        .size:           8
        .value_kind:     by_value
      - .address_space:  global
        .offset:         88
        .size:           8
        .value_kind:     global_buffer
      - .offset:         96
        .size:           8
        .value_kind:     by_value
      - .offset:         104
        .size:           8
        .value_kind:     by_value
      - .offset:         112
        .size:           8
        .value_kind:     by_value
      - .offset:         120
        .size:           4
        .value_kind:     by_value
      - .offset:         128
        .size:           4
        .value_kind:     hidden_block_count_x
      - .offset:         132
        .size:           4
        .value_kind:     hidden_block_count_y
      - .offset:         136
        .size:           4
        .value_kind:     hidden_block_count_z
      - .offset:         140
        .size:           2
        .value_kind:     hidden_group_size_x
      - .offset:         142
        .size:           2
        .value_kind:     hidden_group_size_y
      - .offset:         144
        .size:           2
        .value_kind:     hidden_group_size_z
      - .offset:         146
        .size:           2
        .value_kind:     hidden_remainder_x
      - .offset:         148
        .size:           2
        .value_kind:     hidden_remainder_y
      - .offset:         150
        .size:           2
        .value_kind:     hidden_remainder_z
      - .offset:         168
        .size:           8
        .value_kind:     hidden_global_offset_x
      - .offset:         176
        .size:           8
        .value_kind:     hidden_global_offset_y
      - .offset:         184
        .size:           8
        .value_kind:     hidden_global_offset_z
      - .offset:         192
        .size:           2
        .value_kind:     hidden_grid_dims
    .group_segment_fixed_size: 4224
    .kernarg_segment_align: 8
    .kernarg_segment_size: 384
    .language:       OpenCL C
    .language_version:
      - 2
      - 0
    .max_flat_workgroup_size: 128
    .name:           _ZL54rocblas_symv_kernel_upper_double_buffered_non_diagonalILi32ELi4ELi4E24rocblas_internal_val_ptrIfEPKfPfEvbiT2_lT3_lllS6_lllT4_llli
    .private_segment_fixed_size: 0
    .sgpr_count:     72
    .sgpr_spill_count: 0
    .symbol:         _ZL54rocblas_symv_kernel_upper_double_buffered_non_diagonalILi32ELi4ELi4E24rocblas_internal_val_ptrIfEPKfPfEvbiT2_lT3_lllS6_lllT4_llli.kd
    .uniform_work_group_size: 1
    .uses_dynamic_stack: false
    .vgpr_count:     84
    .vgpr_spill_count: 0
    .wavefront_size: 32
    .workgroup_processor_mode: 1
  - .args:
      - .offset:         0
        .size:           1
        .value_kind:     by_value
      - .offset:         4
        .size:           4
        .value_kind:     by_value
      - .offset:         8
        .size:           8
        .value_kind:     by_value
      - .offset:         16
        .size:           8
        .value_kind:     by_value
      - .address_space:  global
        .offset:         24
        .size:           8
        .value_kind:     global_buffer
      - .offset:         32
        .size:           8
        .value_kind:     by_value
      - .offset:         40
        .size:           8
        .value_kind:     by_value
      - .offset:         48
        .size:           8
        .value_kind:     by_value
      - .address_space:  global
        .offset:         56
        .size:           8
        .value_kind:     global_buffer
      - .offset:         64
        .size:           8
        .value_kind:     by_value
      - .offset:         72
        .size:           8
        .value_kind:     by_value
      - .offset:         80
        .size:           8
        .value_kind:     by_value
      - .offset:         88
        .size:           8
        .value_kind:     by_value
      - .offset:         96
        .size:           8
        .value_kind:     by_value
      - .address_space:  global
        .offset:         104
        .size:           8
        .value_kind:     global_buffer
      - .offset:         112
        .size:           8
        .value_kind:     by_value
      - .offset:         120
        .size:           8
        .value_kind:     by_value
      - .offset:         128
        .size:           8
        .value_kind:     by_value
      - .offset:         136
        .size:           4
        .value_kind:     by_value
      - .offset:         140
        .size:           4
        .value_kind:     by_value
      - .offset:         144
        .size:           4
        .value_kind:     hidden_block_count_x
      - .offset:         148
        .size:           4
        .value_kind:     hidden_block_count_y
      - .offset:         152
        .size:           4
        .value_kind:     hidden_block_count_z
      - .offset:         156
        .size:           2
        .value_kind:     hidden_group_size_x
      - .offset:         158
        .size:           2
        .value_kind:     hidden_group_size_y
      - .offset:         160
        .size:           2
        .value_kind:     hidden_group_size_z
      - .offset:         162
        .size:           2
        .value_kind:     hidden_remainder_x
      - .offset:         164
        .size:           2
        .value_kind:     hidden_remainder_y
      - .offset:         166
        .size:           2
        .value_kind:     hidden_remainder_z
      - .offset:         184
        .size:           8
        .value_kind:     hidden_global_offset_x
      - .offset:         192
        .size:           8
        .value_kind:     hidden_global_offset_y
      - .offset:         200
        .size:           8
        .value_kind:     hidden_global_offset_z
      - .offset:         208
        .size:           2
        .value_kind:     hidden_grid_dims
    .group_segment_fixed_size: 10368
    .kernarg_segment_align: 8
    .kernarg_segment_size: 400
    .language:       OpenCL C
    .language_version:
      - 2
      - 0
    .max_flat_workgroup_size: 256
    .name:           _ZL58rocblas_symv_kernel_upper_double_buffered_diagonal_genericILi32ELi8E24rocblas_internal_val_ptrIfEPKfPfEvbiT1_lT2_lllS6_lllS5_lT3_lllii
    .private_segment_fixed_size: 0
    .sgpr_count:     48
    .sgpr_spill_count: 0
    .symbol:         _ZL58rocblas_symv_kernel_upper_double_buffered_diagonal_genericILi32ELi8E24rocblas_internal_val_ptrIfEPKfPfEvbiT1_lT2_lllS6_lllS5_lT3_lllii.kd
    .uniform_work_group_size: 1
    .uses_dynamic_stack: false
    .vgpr_count:     32
    .vgpr_spill_count: 0
    .wavefront_size: 32
    .workgroup_processor_mode: 1
  - .args:
      - .offset:         0
        .size:           1
        .value_kind:     by_value
      - .offset:         4
        .size:           4
        .value_kind:     by_value
      - .offset:         8
        .size:           8
        .value_kind:     by_value
      - .offset:         16
        .size:           8
        .value_kind:     by_value
      - .address_space:  global
        .offset:         24
        .size:           8
        .value_kind:     global_buffer
      - .offset:         32
        .size:           8
        .value_kind:     by_value
      - .offset:         40
        .size:           8
        .value_kind:     by_value
      - .offset:         48
        .size:           8
        .value_kind:     by_value
      - .address_space:  global
        .offset:         56
        .size:           8
        .value_kind:     global_buffer
      - .offset:         64
        .size:           8
        .value_kind:     by_value
      - .offset:         72
        .size:           8
        .value_kind:     by_value
      - .offset:         80
        .size:           8
        .value_kind:     by_value
      - .address_space:  global
        .offset:         88
        .size:           8
        .value_kind:     global_buffer
      - .offset:         96
        .size:           8
        .value_kind:     by_value
      - .offset:         104
        .size:           8
        .value_kind:     by_value
      - .offset:         112
        .size:           8
        .value_kind:     by_value
      - .offset:         120
        .size:           4
        .value_kind:     by_value
      - .offset:         124
        .size:           4
        .value_kind:     by_value
      - .offset:         128
        .size:           4
        .value_kind:     hidden_block_count_x
      - .offset:         132
        .size:           4
        .value_kind:     hidden_block_count_y
      - .offset:         136
        .size:           4
        .value_kind:     hidden_block_count_z
      - .offset:         140
        .size:           2
        .value_kind:     hidden_group_size_x
      - .offset:         142
        .size:           2
        .value_kind:     hidden_group_size_y
      - .offset:         144
        .size:           2
        .value_kind:     hidden_group_size_z
      - .offset:         146
        .size:           2
        .value_kind:     hidden_remainder_x
      - .offset:         148
        .size:           2
        .value_kind:     hidden_remainder_y
      - .offset:         150
        .size:           2
        .value_kind:     hidden_remainder_z
      - .offset:         168
        .size:           8
        .value_kind:     hidden_global_offset_x
      - .offset:         176
        .size:           8
        .value_kind:     hidden_global_offset_y
      - .offset:         184
        .size:           8
        .value_kind:     hidden_global_offset_z
      - .offset:         192
        .size:           2
        .value_kind:     hidden_grid_dims
    .group_segment_fixed_size: 6272
    .kernarg_segment_align: 8
    .kernarg_segment_size: 384
    .language:       OpenCL C
    .language_version:
      - 2
      - 0
    .max_flat_workgroup_size: 256
    .name:           _ZL62rocblas_symv_kernel_upper_double_buffered_non_diagonal_genericILi32ELi8ELi2ELi0E24rocblas_internal_val_ptrIfEPKfPfEvbiT3_lT4_lllS6_lllT5_lllii
    .private_segment_fixed_size: 0
    .sgpr_count:     76
    .sgpr_spill_count: 0
    .symbol:         _ZL62rocblas_symv_kernel_upper_double_buffered_non_diagonal_genericILi32ELi8ELi2ELi0E24rocblas_internal_val_ptrIfEPKfPfEvbiT3_lT4_lllS6_lllT5_lllii.kd
    .uniform_work_group_size: 1
    .uses_dynamic_stack: false
    .vgpr_count:     70
    .vgpr_spill_count: 0
    .wavefront_size: 32
    .workgroup_processor_mode: 1
  - .args:
      - .offset:         0
        .size:           1
        .value_kind:     by_value
      - .offset:         4
        .size:           4
        .value_kind:     by_value
      - .offset:         8
        .size:           8
        .value_kind:     by_value
      - .offset:         16
        .size:           8
        .value_kind:     by_value
      - .address_space:  global
        .offset:         24
        .size:           8
        .value_kind:     global_buffer
      - .offset:         32
        .size:           8
        .value_kind:     by_value
      - .offset:         40
        .size:           8
        .value_kind:     by_value
      - .offset:         48
        .size:           8
        .value_kind:     by_value
      - .address_space:  global
        .offset:         56
        .size:           8
        .value_kind:     global_buffer
      - .offset:         64
        .size:           8
        .value_kind:     by_value
      - .offset:         72
        .size:           8
        .value_kind:     by_value
      - .offset:         80
        .size:           8
        .value_kind:     by_value
      - .address_space:  global
        .offset:         88
        .size:           8
        .value_kind:     global_buffer
      - .offset:         96
        .size:           8
        .value_kind:     by_value
      - .offset:         104
        .size:           8
        .value_kind:     by_value
      - .offset:         112
        .size:           8
        .value_kind:     by_value
      - .offset:         120
        .size:           4
        .value_kind:     by_value
      - .offset:         124
        .size:           4
        .value_kind:     by_value
      - .offset:         128
        .size:           4
        .value_kind:     hidden_block_count_x
      - .offset:         132
        .size:           4
        .value_kind:     hidden_block_count_y
      - .offset:         136
        .size:           4
        .value_kind:     hidden_block_count_z
      - .offset:         140
        .size:           2
        .value_kind:     hidden_group_size_x
      - .offset:         142
        .size:           2
        .value_kind:     hidden_group_size_y
      - .offset:         144
        .size:           2
        .value_kind:     hidden_group_size_z
      - .offset:         146
        .size:           2
        .value_kind:     hidden_remainder_x
      - .offset:         148
        .size:           2
        .value_kind:     hidden_remainder_y
      - .offset:         150
        .size:           2
        .value_kind:     hidden_remainder_z
      - .offset:         168
        .size:           8
        .value_kind:     hidden_global_offset_x
      - .offset:         176
        .size:           8
        .value_kind:     hidden_global_offset_y
      - .offset:         184
        .size:           8
        .value_kind:     hidden_global_offset_z
      - .offset:         192
        .size:           2
        .value_kind:     hidden_grid_dims
    .group_segment_fixed_size: 6272
    .kernarg_segment_align: 8
    .kernarg_segment_size: 384
    .language:       OpenCL C
    .language_version:
      - 2
      - 0
    .max_flat_workgroup_size: 256
    .name:           _ZL62rocblas_symv_kernel_upper_double_buffered_non_diagonal_genericILi32ELi8ELi2ELi1E24rocblas_internal_val_ptrIfEPKfPfEvbiT3_lT4_lllS6_lllT5_lllii
    .private_segment_fixed_size: 0
    .sgpr_count:     76
    .sgpr_spill_count: 0
    .symbol:         _ZL62rocblas_symv_kernel_upper_double_buffered_non_diagonal_genericILi32ELi8ELi2ELi1E24rocblas_internal_val_ptrIfEPKfPfEvbiT3_lT4_lllS6_lllT5_lllii.kd
    .uniform_work_group_size: 1
    .uses_dynamic_stack: false
    .vgpr_count:     71
    .vgpr_spill_count: 0
    .wavefront_size: 32
    .workgroup_processor_mode: 1
  - .args:
      - .offset:         0
        .size:           4
        .value_kind:     by_value
      - .address_space:  global
        .offset:         8
        .size:           8
        .value_kind:     global_buffer
      - .offset:         16
        .size:           8
        .value_kind:     by_value
      - .address_space:  global
        .offset:         24
        .size:           8
        .value_kind:     global_buffer
      - .offset:         32
        .size:           8
        .value_kind:     by_value
      - .offset:         40
        .size:           8
        .value_kind:     by_value
      - .offset:         48
        .size:           8
        .value_kind:     by_value
      - .address_space:  global
        .offset:         56
        .size:           8
        .value_kind:     global_buffer
      - .offset:         64
        .size:           8
        .value_kind:     by_value
      - .offset:         72
        .size:           8
        .value_kind:     by_value
      - .offset:         80
        .size:           8
        .value_kind:     by_value
      - .address_space:  global
        .offset:         88
        .size:           8
        .value_kind:     global_buffer
      - .offset:         96
        .size:           8
        .value_kind:     by_value
      - .address_space:  global
        .offset:         104
        .size:           8
        .value_kind:     global_buffer
      - .offset:         112
        .size:           4
        .value_kind:     by_value
      - .offset:         120
        .size:           4
        .value_kind:     hidden_block_count_x
      - .offset:         124
        .size:           4
        .value_kind:     hidden_block_count_y
      - .offset:         128
        .size:           4
        .value_kind:     hidden_block_count_z
      - .offset:         132
        .size:           2
        .value_kind:     hidden_group_size_x
      - .offset:         134
        .size:           2
        .value_kind:     hidden_group_size_y
      - .offset:         136
        .size:           2
        .value_kind:     hidden_group_size_z
      - .offset:         138
        .size:           2
        .value_kind:     hidden_remainder_x
      - .offset:         140
        .size:           2
        .value_kind:     hidden_remainder_y
      - .offset:         142
        .size:           2
        .value_kind:     hidden_remainder_z
      - .offset:         160
        .size:           8
        .value_kind:     hidden_global_offset_x
      - .offset:         168
        .size:           8
        .value_kind:     hidden_global_offset_y
      - .offset:         176
        .size:           8
        .value_kind:     hidden_global_offset_z
      - .offset:         184
        .size:           2
        .value_kind:     hidden_grid_dims
    .group_segment_fixed_size: 4800
    .kernarg_segment_align: 8
    .kernarg_segment_size: 376
    .language:       OpenCL C
    .language_version:
      - 2
      - 0
    .max_flat_workgroup_size: 256
    .name:           _ZL26rocblas_hemvn_kernel_upperILb0ELi64ELi4ELi33ELi32ELi16ElPKfS1_PfEviT6_lT7_lT5_lS4_lS5_lS3_lT8_i
    .private_segment_fixed_size: 0
    .sgpr_count:     74
    .sgpr_spill_count: 0
    .symbol:         _ZL26rocblas_hemvn_kernel_upperILb0ELi64ELi4ELi33ELi32ELi16ElPKfS1_PfEviT6_lT7_lT5_lS4_lS5_lS3_lT8_i.kd
    .uniform_work_group_size: 1
    .uses_dynamic_stack: false
    .vgpr_count:     162
    .vgpr_spill_count: 0
    .wavefront_size: 32
    .workgroup_processor_mode: 1
  - .args:
      - .offset:         0
        .size:           4
        .value_kind:     by_value
      - .address_space:  global
        .offset:         8
        .size:           8
        .value_kind:     global_buffer
      - .offset:         16
        .size:           8
        .value_kind:     by_value
      - .address_space:  global
        .offset:         24
        .size:           8
        .value_kind:     global_buffer
      - .offset:         32
        .size:           8
        .value_kind:     by_value
      - .address_space:  global
        .offset:         40
        .size:           8
        .value_kind:     global_buffer
      - .offset:         48
        .size:           8
        .value_kind:     by_value
      - .offset:         56
        .size:           8
        .value_kind:     by_value
      - .offset:         64
        .size:           8
        .value_kind:     by_value
      - .address_space:  global
        .offset:         72
        .size:           8
        .value_kind:     global_buffer
      - .offset:         80
        .size:           4
        .value_kind:     by_value
      - .offset:         88
        .size:           4
        .value_kind:     hidden_block_count_x
      - .offset:         92
        .size:           4
        .value_kind:     hidden_block_count_y
      - .offset:         96
        .size:           4
        .value_kind:     hidden_block_count_z
      - .offset:         100
        .size:           2
        .value_kind:     hidden_group_size_x
      - .offset:         102
        .size:           2
        .value_kind:     hidden_group_size_y
      - .offset:         104
        .size:           2
        .value_kind:     hidden_group_size_z
      - .offset:         106
        .size:           2
        .value_kind:     hidden_remainder_x
      - .offset:         108
        .size:           2
        .value_kind:     hidden_remainder_y
      - .offset:         110
        .size:           2
        .value_kind:     hidden_remainder_z
      - .offset:         128
        .size:           8
        .value_kind:     hidden_global_offset_x
      - .offset:         136
        .size:           8
        .value_kind:     hidden_global_offset_y
      - .offset:         144
        .size:           8
        .value_kind:     hidden_global_offset_z
      - .offset:         152
        .size:           2
        .value_kind:     hidden_grid_dims
    .group_segment_fixed_size: 0
    .kernarg_segment_align: 8
    .kernarg_segment_size: 344
    .language:       OpenCL C
    .language_version:
      - 2
      - 0
    .max_flat_workgroup_size: 64
    .name:           _ZL36rocblas_hemvn_kernel_upper_block_sumILi64ElPKfPffEviT1_lS3_lT2_lT0_lPT3_i
    .private_segment_fixed_size: 0
    .sgpr_count:     32
    .sgpr_spill_count: 0
    .symbol:         _ZL36rocblas_hemvn_kernel_upper_block_sumILi64ElPKfPffEviT1_lS3_lT2_lT0_lPT3_i.kd
    .uniform_work_group_size: 1
    .uses_dynamic_stack: false
    .vgpr_count:     8
    .vgpr_spill_count: 0
    .wavefront_size: 32
    .workgroup_processor_mode: 1
  - .args:
      - .offset:         0
        .size:           4
        .value_kind:     by_value
      - .address_space:  global
        .offset:         8
        .size:           8
        .value_kind:     global_buffer
      - .offset:         16
        .size:           8
        .value_kind:     by_value
      - .address_space:  global
        .offset:         24
        .size:           8
        .value_kind:     global_buffer
      - .offset:         32
        .size:           8
        .value_kind:     by_value
      - .offset:         40
        .size:           4
        .value_kind:     by_value
      - .offset:         48
        .size:           8
        .value_kind:     by_value
      - .address_space:  global
        .offset:         56
        .size:           8
        .value_kind:     global_buffer
      - .offset:         64
        .size:           8
        .value_kind:     by_value
      - .offset:         72
        .size:           4
        .value_kind:     by_value
      - .offset:         80
        .size:           8
        .value_kind:     by_value
      - .address_space:  global
        .offset:         88
        .size:           8
        .value_kind:     global_buffer
      - .offset:         96
        .size:           8
        .value_kind:     by_value
      - .address_space:  global
        .offset:         104
        .size:           8
        .value_kind:     global_buffer
      - .offset:         112
        .size:           4
        .value_kind:     by_value
      - .offset:         120
        .size:           4
        .value_kind:     hidden_block_count_x
      - .offset:         124
        .size:           4
        .value_kind:     hidden_block_count_y
      - .offset:         128
        .size:           4
        .value_kind:     hidden_block_count_z
      - .offset:         132
        .size:           2
        .value_kind:     hidden_group_size_x
      - .offset:         134
        .size:           2
        .value_kind:     hidden_group_size_y
      - .offset:         136
        .size:           2
        .value_kind:     hidden_group_size_z
      - .offset:         138
        .size:           2
        .value_kind:     hidden_remainder_x
      - .offset:         140
        .size:           2
        .value_kind:     hidden_remainder_y
      - .offset:         142
        .size:           2
        .value_kind:     hidden_remainder_z
      - .offset:         160
        .size:           8
        .value_kind:     hidden_global_offset_x
      - .offset:         168
        .size:           8
        .value_kind:     hidden_global_offset_y
      - .offset:         176
        .size:           8
        .value_kind:     hidden_global_offset_z
      - .offset:         184
        .size:           2
        .value_kind:     hidden_grid_dims
    .group_segment_fixed_size: 4800
    .kernarg_segment_align: 8
    .kernarg_segment_size: 376
    .language:       OpenCL C
    .language_version:
      - 2
      - 0
    .max_flat_workgroup_size: 256
    .name:           _ZL26rocblas_hemvn_kernel_upperILb0ELi64ELi4ELi33ELi32ELi16EiPKfS1_PfEviT6_lT7_lT5_lS4_lS5_lS3_lT8_i
    .private_segment_fixed_size: 0
    .sgpr_count:     106
    .sgpr_spill_count: 0
    .symbol:         _ZL26rocblas_hemvn_kernel_upperILb0ELi64ELi4ELi33ELi32ELi16EiPKfS1_PfEviT6_lT7_lT5_lS4_lS5_lS3_lT8_i.kd
    .uniform_work_group_size: 1
    .uses_dynamic_stack: false
    .vgpr_count:     169
    .vgpr_spill_count: 0
    .wavefront_size: 32
    .workgroup_processor_mode: 1
  - .args:
      - .offset:         0
        .size:           4
        .value_kind:     by_value
      - .address_space:  global
        .offset:         8
        .size:           8
        .value_kind:     global_buffer
      - .offset:         16
        .size:           8
        .value_kind:     by_value
      - .address_space:  global
        .offset:         24
        .size:           8
        .value_kind:     global_buffer
      - .offset:         32
        .size:           8
        .value_kind:     by_value
      - .address_space:  global
        .offset:         40
        .size:           8
        .value_kind:     global_buffer
      - .offset:         48
        .size:           8
        .value_kind:     by_value
      - .offset:         56
        .size:           4
        .value_kind:     by_value
      - .offset:         64
        .size:           8
        .value_kind:     by_value
      - .address_space:  global
        .offset:         72
        .size:           8
        .value_kind:     global_buffer
      - .offset:         80
        .size:           4
        .value_kind:     by_value
      - .offset:         88
        .size:           4
        .value_kind:     hidden_block_count_x
      - .offset:         92
        .size:           4
        .value_kind:     hidden_block_count_y
      - .offset:         96
        .size:           4
        .value_kind:     hidden_block_count_z
      - .offset:         100
        .size:           2
        .value_kind:     hidden_group_size_x
      - .offset:         102
        .size:           2
        .value_kind:     hidden_group_size_y
      - .offset:         104
        .size:           2
        .value_kind:     hidden_group_size_z
      - .offset:         106
        .size:           2
        .value_kind:     hidden_remainder_x
      - .offset:         108
        .size:           2
        .value_kind:     hidden_remainder_y
      - .offset:         110
        .size:           2
        .value_kind:     hidden_remainder_z
      - .offset:         128
        .size:           8
        .value_kind:     hidden_global_offset_x
      - .offset:         136
        .size:           8
        .value_kind:     hidden_global_offset_y
      - .offset:         144
        .size:           8
        .value_kind:     hidden_global_offset_z
      - .offset:         152
        .size:           2
        .value_kind:     hidden_grid_dims
    .group_segment_fixed_size: 0
    .kernarg_segment_align: 8
    .kernarg_segment_size: 344
    .language:       OpenCL C
    .language_version:
      - 2
      - 0
    .max_flat_workgroup_size: 64
    .name:           _ZL36rocblas_hemvn_kernel_upper_block_sumILi64EiPKfPffEviT1_lS3_lT2_lT0_lPT3_i
    .private_segment_fixed_size: 0
    .sgpr_count:     32
    .sgpr_spill_count: 0
    .symbol:         _ZL36rocblas_hemvn_kernel_upper_block_sumILi64EiPKfPffEviT1_lS3_lT2_lT0_lPT3_i.kd
    .uniform_work_group_size: 1
    .uses_dynamic_stack: false
    .vgpr_count:     8
    .vgpr_spill_count: 0
    .wavefront_size: 32
    .workgroup_processor_mode: 1
  - .args:
      - .offset:         0
        .size:           4
        .value_kind:     by_value
      - .offset:         4
        .size:           4
        .value_kind:     by_value
      - .offset:         8
        .size:           8
        .value_kind:     by_value
      - .address_space:  global
        .offset:         16
        .size:           8
        .value_kind:     global_buffer
      - .offset:         24
        .size:           8
        .value_kind:     by_value
      - .offset:         32
        .size:           8
        .value_kind:     by_value
      - .offset:         40
        .size:           8
        .value_kind:     by_value
      - .address_space:  global
        .offset:         48
        .size:           8
        .value_kind:     global_buffer
      - .offset:         56
        .size:           8
        .value_kind:     by_value
      - .offset:         64
        .size:           8
        .value_kind:     by_value
      - .offset:         72
        .size:           8
        .value_kind:     by_value
      - .offset:         80
        .size:           4
        .value_kind:     by_value
      - .offset:         88
        .size:           8
        .value_kind:     by_value
      - .address_space:  global
        .offset:         96
        .size:           8
        .value_kind:     global_buffer
      - .offset:         104
        .size:           4
        .value_kind:     by_value
      - .offset:         112
        .size:           4
        .value_kind:     hidden_block_count_x
      - .offset:         116
        .size:           4
        .value_kind:     hidden_block_count_y
      - .offset:         120
        .size:           4
        .value_kind:     hidden_block_count_z
      - .offset:         124
        .size:           2
        .value_kind:     hidden_group_size_x
      - .offset:         126
        .size:           2
        .value_kind:     hidden_group_size_y
      - .offset:         128
        .size:           2
        .value_kind:     hidden_group_size_z
      - .offset:         130
        .size:           2
        .value_kind:     hidden_remainder_x
      - .offset:         132
        .size:           2
        .value_kind:     hidden_remainder_y
      - .offset:         134
        .size:           2
        .value_kind:     hidden_remainder_z
      - .offset:         152
        .size:           8
        .value_kind:     hidden_global_offset_x
      - .offset:         160
        .size:           8
        .value_kind:     hidden_global_offset_y
      - .offset:         168
        .size:           8
        .value_kind:     hidden_global_offset_z
      - .offset:         176
        .size:           2
        .value_kind:     hidden_grid_dims
    .group_segment_fixed_size: 4800
    .kernarg_segment_align: 8
    .kernarg_segment_size: 368
    .language:       OpenCL C
    .language_version:
      - 2
      - 0
    .max_flat_workgroup_size: 256
    .name:           _ZL26rocblas_hemvn_kernel_upperILb0ELi64ELi4ELi33ELi32ELi16ElfPKfPfEviT6_lT7_lT5_lS4_lS5_lS3_lT8_i
    .private_segment_fixed_size: 0
    .sgpr_count:     68
    .sgpr_spill_count: 0
    .symbol:         _ZL26rocblas_hemvn_kernel_upperILb0ELi64ELi4ELi33ELi32ELi16ElfPKfPfEviT6_lT7_lT5_lS4_lS5_lS3_lT8_i.kd
    .uniform_work_group_size: 1
    .uses_dynamic_stack: false
    .vgpr_count:     162
    .vgpr_spill_count: 0
    .wavefront_size: 32
    .workgroup_processor_mode: 1
  - .args:
      - .offset:         0
        .size:           4
        .value_kind:     by_value
      - .offset:         4
        .size:           4
        .value_kind:     by_value
      - .offset:         8
        .size:           8
        .value_kind:     by_value
      - .offset:         16
        .size:           4
        .value_kind:     by_value
      - .offset:         24
        .size:           8
        .value_kind:     by_value
      - .address_space:  global
        .offset:         32
        .size:           8
        .value_kind:     global_buffer
      - .offset:         40
        .size:           8
        .value_kind:     by_value
      - .offset:         48
        .size:           8
        .value_kind:     by_value
      - .offset:         56
        .size:           8
        .value_kind:     by_value
      - .address_space:  global
        .offset:         64
        .size:           8
        .value_kind:     global_buffer
      - .offset:         72
        .size:           4
        .value_kind:     by_value
      - .offset:         80
        .size:           4
        .value_kind:     hidden_block_count_x
      - .offset:         84
        .size:           4
        .value_kind:     hidden_block_count_y
      - .offset:         88
        .size:           4
        .value_kind:     hidden_block_count_z
      - .offset:         92
        .size:           2
        .value_kind:     hidden_group_size_x
      - .offset:         94
        .size:           2
        .value_kind:     hidden_group_size_y
      - .offset:         96
        .size:           2
        .value_kind:     hidden_group_size_z
      - .offset:         98
        .size:           2
        .value_kind:     hidden_remainder_x
      - .offset:         100
        .size:           2
        .value_kind:     hidden_remainder_y
      - .offset:         102
        .size:           2
        .value_kind:     hidden_remainder_z
      - .offset:         120
        .size:           8
        .value_kind:     hidden_global_offset_x
      - .offset:         128
        .size:           8
        .value_kind:     hidden_global_offset_y
      - .offset:         136
        .size:           8
        .value_kind:     hidden_global_offset_z
      - .offset:         144
        .size:           2
        .value_kind:     hidden_grid_dims
    .group_segment_fixed_size: 0
    .kernarg_segment_align: 8
    .kernarg_segment_size: 336
    .language:       OpenCL C
    .language_version:
      - 2
      - 0
    .max_flat_workgroup_size: 64
    .name:           _ZL36rocblas_hemvn_kernel_upper_block_sumILi64ElfPffEviT1_lS1_lT2_lT0_lPT3_i
    .private_segment_fixed_size: 0
    .sgpr_count:     28
    .sgpr_spill_count: 0
    .symbol:         _ZL36rocblas_hemvn_kernel_upper_block_sumILi64ElfPffEviT1_lS1_lT2_lT0_lPT3_i.kd
    .uniform_work_group_size: 1
    .uses_dynamic_stack: false
    .vgpr_count:     8
    .vgpr_spill_count: 0
    .wavefront_size: 32
    .workgroup_processor_mode: 1
  - .args:
      - .offset:         0
        .size:           4
        .value_kind:     by_value
      - .offset:         4
        .size:           4
        .value_kind:     by_value
      - .offset:         8
        .size:           8
        .value_kind:     by_value
      - .address_space:  global
        .offset:         16
        .size:           8
        .value_kind:     global_buffer
      - .offset:         24
        .size:           8
        .value_kind:     by_value
      - .offset:         32
        .size:           4
        .value_kind:     by_value
      - .offset:         40
        .size:           8
        .value_kind:     by_value
      - .address_space:  global
        .offset:         48
        .size:           8
        .value_kind:     global_buffer
      - .offset:         56
        .size:           8
        .value_kind:     by_value
      - .offset:         64
        .size:           4
        .value_kind:     by_value
      - .offset:         72
        .size:           8
        .value_kind:     by_value
      - .offset:         80
        .size:           4
        .value_kind:     by_value
      - .offset:         88
        .size:           8
        .value_kind:     by_value
      - .address_space:  global
        .offset:         96
        .size:           8
        .value_kind:     global_buffer
      - .offset:         104
        .size:           4
        .value_kind:     by_value
      - .offset:         112
        .size:           4
        .value_kind:     hidden_block_count_x
      - .offset:         116
        .size:           4
        .value_kind:     hidden_block_count_y
      - .offset:         120
        .size:           4
        .value_kind:     hidden_block_count_z
      - .offset:         124
        .size:           2
        .value_kind:     hidden_group_size_x
      - .offset:         126
        .size:           2
        .value_kind:     hidden_group_size_y
      - .offset:         128
        .size:           2
        .value_kind:     hidden_group_size_z
      - .offset:         130
        .size:           2
        .value_kind:     hidden_remainder_x
      - .offset:         132
        .size:           2
        .value_kind:     hidden_remainder_y
      - .offset:         134
        .size:           2
        .value_kind:     hidden_remainder_z
      - .offset:         152
        .size:           8
        .value_kind:     hidden_global_offset_x
      - .offset:         160
        .size:           8
        .value_kind:     hidden_global_offset_y
      - .offset:         168
        .size:           8
        .value_kind:     hidden_global_offset_z
      - .offset:         176
        .size:           2
        .value_kind:     hidden_grid_dims
    .group_segment_fixed_size: 4800
    .kernarg_segment_align: 8
    .kernarg_segment_size: 368
    .language:       OpenCL C
    .language_version:
      - 2
      - 0
    .max_flat_workgroup_size: 256
    .name:           _ZL26rocblas_hemvn_kernel_upperILb0ELi64ELi4ELi33ELi32ELi16EifPKfPfEviT6_lT7_lT5_lS4_lS5_lS3_lT8_i
    .private_segment_fixed_size: 0
    .sgpr_count:     102
    .sgpr_spill_count: 0
    .symbol:         _ZL26rocblas_hemvn_kernel_upperILb0ELi64ELi4ELi33ELi32ELi16EifPKfPfEviT6_lT7_lT5_lS4_lS5_lS3_lT8_i.kd
    .uniform_work_group_size: 1
    .uses_dynamic_stack: false
    .vgpr_count:     167
    .vgpr_spill_count: 0
    .wavefront_size: 32
    .workgroup_processor_mode: 1
  - .args:
      - .offset:         0
        .size:           4
        .value_kind:     by_value
      - .offset:         4
        .size:           4
        .value_kind:     by_value
      - .offset:         8
        .size:           8
        .value_kind:     by_value
      - .offset:         16
        .size:           4
        .value_kind:     by_value
      - .offset:         24
        .size:           8
        .value_kind:     by_value
      - .address_space:  global
        .offset:         32
        .size:           8
        .value_kind:     global_buffer
      - .offset:         40
        .size:           8
        .value_kind:     by_value
      - .offset:         48
        .size:           4
        .value_kind:     by_value
      - .offset:         56
        .size:           8
        .value_kind:     by_value
      - .address_space:  global
        .offset:         64
        .size:           8
        .value_kind:     global_buffer
      - .offset:         72
        .size:           4
        .value_kind:     by_value
      - .offset:         80
        .size:           4
        .value_kind:     hidden_block_count_x
      - .offset:         84
        .size:           4
        .value_kind:     hidden_block_count_y
      - .offset:         88
        .size:           4
        .value_kind:     hidden_block_count_z
      - .offset:         92
        .size:           2
        .value_kind:     hidden_group_size_x
      - .offset:         94
        .size:           2
        .value_kind:     hidden_group_size_y
      - .offset:         96
        .size:           2
        .value_kind:     hidden_group_size_z
      - .offset:         98
        .size:           2
        .value_kind:     hidden_remainder_x
      - .offset:         100
        .size:           2
        .value_kind:     hidden_remainder_y
      - .offset:         102
        .size:           2
        .value_kind:     hidden_remainder_z
      - .offset:         120
        .size:           8
        .value_kind:     hidden_global_offset_x
      - .offset:         128
        .size:           8
        .value_kind:     hidden_global_offset_y
      - .offset:         136
        .size:           8
        .value_kind:     hidden_global_offset_z
      - .offset:         144
        .size:           2
        .value_kind:     hidden_grid_dims
    .group_segment_fixed_size: 0
    .kernarg_segment_align: 8
    .kernarg_segment_size: 336
    .language:       OpenCL C
    .language_version:
      - 2
      - 0
    .max_flat_workgroup_size: 64
    .name:           _ZL36rocblas_hemvn_kernel_upper_block_sumILi64EifPffEviT1_lS1_lT2_lT0_lPT3_i
    .private_segment_fixed_size: 0
    .sgpr_count:     28
    .sgpr_spill_count: 0
    .symbol:         _ZL36rocblas_hemvn_kernel_upper_block_sumILi64EifPffEviT1_lS1_lT2_lT0_lPT3_i.kd
    .uniform_work_group_size: 1
    .uses_dynamic_stack: false
    .vgpr_count:     8
    .vgpr_spill_count: 0
    .wavefront_size: 32
    .workgroup_processor_mode: 1
  - .args:
      - .offset:         0
        .size:           1
        .value_kind:     by_value
      - .offset:         4
        .size:           4
        .value_kind:     by_value
      - .offset:         8
        .size:           8
        .value_kind:     by_value
      - .offset:         16
        .size:           8
        .value_kind:     by_value
      - .address_space:  global
        .offset:         24
        .size:           8
        .value_kind:     global_buffer
      - .offset:         32
        .size:           8
        .value_kind:     by_value
      - .offset:         40
        .size:           8
        .value_kind:     by_value
      - .offset:         48
        .size:           8
        .value_kind:     by_value
      - .address_space:  global
        .offset:         56
        .size:           8
        .value_kind:     global_buffer
      - .offset:         64
        .size:           8
        .value_kind:     by_value
      - .offset:         72
        .size:           8
        .value_kind:     by_value
      - .offset:         80
        .size:           8
        .value_kind:     by_value
      - .offset:         88
        .size:           8
        .value_kind:     by_value
      - .offset:         96
        .size:           8
        .value_kind:     by_value
      - .address_space:  global
        .offset:         104
        .size:           8
        .value_kind:     global_buffer
      - .offset:         112
        .size:           8
        .value_kind:     by_value
      - .offset:         120
        .size:           8
        .value_kind:     by_value
      - .offset:         128
        .size:           8
        .value_kind:     by_value
      - .offset:         136
        .size:           4
        .value_kind:     by_value
    .group_segment_fixed_size: 7296
    .kernarg_segment_align: 8
    .kernarg_segment_size: 140
    .language:       OpenCL C
    .language_version:
      - 2
      - 0
    .max_flat_workgroup_size: 128
    .name:           _ZL50rocblas_symv_kernel_lower_double_buffered_diagonalILi32ELi4E24rocblas_internal_val_ptrIfEPKfPfEvbiT1_lT2_lllS6_lllS5_lT3_llli
    .private_segment_fixed_size: 0
    .sgpr_count:     42
    .sgpr_spill_count: 0
    .symbol:         _ZL50rocblas_symv_kernel_lower_double_buffered_diagonalILi32ELi4E24rocblas_internal_val_ptrIfEPKfPfEvbiT1_lT2_lllS6_lllS5_lT3_llli.kd
    .uniform_work_group_size: 1
    .uses_dynamic_stack: false
    .vgpr_count:     38
    .vgpr_spill_count: 0
    .wavefront_size: 32
    .workgroup_processor_mode: 1
  - .args:
      - .offset:         0
        .size:           1
        .value_kind:     by_value
      - .offset:         4
        .size:           4
        .value_kind:     by_value
      - .offset:         8
        .size:           8
        .value_kind:     by_value
      - .offset:         16
        .size:           8
        .value_kind:     by_value
      - .address_space:  global
        .offset:         24
        .size:           8
        .value_kind:     global_buffer
      - .offset:         32
        .size:           8
        .value_kind:     by_value
      - .offset:         40
        .size:           8
        .value_kind:     by_value
      - .offset:         48
        .size:           8
        .value_kind:     by_value
      - .address_space:  global
        .offset:         56
        .size:           8
        .value_kind:     global_buffer
      - .offset:         64
        .size:           8
        .value_kind:     by_value
      - .offset:         72
        .size:           8
        .value_kind:     by_value
      - .offset:         80
        .size:           8
        .value_kind:     by_value
      - .address_space:  global
        .offset:         88
        .size:           8
        .value_kind:     global_buffer
      - .offset:         96
        .size:           8
        .value_kind:     by_value
      - .offset:         104
        .size:           8
        .value_kind:     by_value
      - .offset:         112
        .size:           8
        .value_kind:     by_value
      - .offset:         120
        .size:           4
        .value_kind:     by_value
      - .offset:         128
        .size:           4
        .value_kind:     hidden_block_count_x
      - .offset:         132
        .size:           4
        .value_kind:     hidden_block_count_y
      - .offset:         136
        .size:           4
        .value_kind:     hidden_block_count_z
      - .offset:         140
        .size:           2
        .value_kind:     hidden_group_size_x
      - .offset:         142
        .size:           2
        .value_kind:     hidden_group_size_y
      - .offset:         144
        .size:           2
        .value_kind:     hidden_group_size_z
      - .offset:         146
        .size:           2
        .value_kind:     hidden_remainder_x
      - .offset:         148
        .size:           2
        .value_kind:     hidden_remainder_y
      - .offset:         150
        .size:           2
        .value_kind:     hidden_remainder_z
      - .offset:         168
        .size:           8
        .value_kind:     hidden_global_offset_x
      - .offset:         176
        .size:           8
        .value_kind:     hidden_global_offset_y
      - .offset:         184
        .size:           8
        .value_kind:     hidden_global_offset_z
      - .offset:         192
        .size:           2
        .value_kind:     hidden_grid_dims
    .group_segment_fixed_size: 4224
    .kernarg_segment_align: 8
    .kernarg_segment_size: 384
    .language:       OpenCL C
    .language_version:
      - 2
      - 0
    .max_flat_workgroup_size: 128
    .name:           _ZL54rocblas_symv_kernel_lower_double_buffered_non_diagonalILi32ELi4ELi4E24rocblas_internal_val_ptrIfEPKfPfEvbiT2_lT3_lllS6_lllT4_llli
    .private_segment_fixed_size: 0
    .sgpr_count:     70
    .sgpr_spill_count: 0
    .symbol:         _ZL54rocblas_symv_kernel_lower_double_buffered_non_diagonalILi32ELi4ELi4E24rocblas_internal_val_ptrIfEPKfPfEvbiT2_lT3_lllS6_lllT4_llli.kd
    .uniform_work_group_size: 1
    .uses_dynamic_stack: false
    .vgpr_count:     77
    .vgpr_spill_count: 0
    .wavefront_size: 32
    .workgroup_processor_mode: 1
  - .args:
      - .offset:         0
        .size:           1
        .value_kind:     by_value
      - .offset:         4
        .size:           4
        .value_kind:     by_value
      - .offset:         8
        .size:           8
        .value_kind:     by_value
      - .offset:         16
        .size:           8
        .value_kind:     by_value
      - .address_space:  global
        .offset:         24
        .size:           8
        .value_kind:     global_buffer
      - .offset:         32
        .size:           8
        .value_kind:     by_value
      - .offset:         40
        .size:           8
        .value_kind:     by_value
      - .offset:         48
        .size:           8
        .value_kind:     by_value
      - .address_space:  global
        .offset:         56
        .size:           8
        .value_kind:     global_buffer
      - .offset:         64
        .size:           8
        .value_kind:     by_value
      - .offset:         72
        .size:           8
        .value_kind:     by_value
      - .offset:         80
        .size:           8
        .value_kind:     by_value
      - .offset:         88
        .size:           8
        .value_kind:     by_value
      - .offset:         96
        .size:           8
        .value_kind:     by_value
      - .address_space:  global
        .offset:         104
        .size:           8
        .value_kind:     global_buffer
      - .offset:         112
        .size:           8
        .value_kind:     by_value
      - .offset:         120
        .size:           8
        .value_kind:     by_value
      - .offset:         128
        .size:           8
        .value_kind:     by_value
      - .offset:         136
        .size:           4
        .value_kind:     by_value
      - .offset:         140
        .size:           4
        .value_kind:     by_value
      - .offset:         144
        .size:           4
        .value_kind:     hidden_block_count_x
      - .offset:         148
        .size:           4
        .value_kind:     hidden_block_count_y
      - .offset:         152
        .size:           4
        .value_kind:     hidden_block_count_z
      - .offset:         156
        .size:           2
        .value_kind:     hidden_group_size_x
      - .offset:         158
        .size:           2
        .value_kind:     hidden_group_size_y
      - .offset:         160
        .size:           2
        .value_kind:     hidden_group_size_z
      - .offset:         162
        .size:           2
        .value_kind:     hidden_remainder_x
      - .offset:         164
        .size:           2
        .value_kind:     hidden_remainder_y
      - .offset:         166
        .size:           2
        .value_kind:     hidden_remainder_z
      - .offset:         184
        .size:           8
        .value_kind:     hidden_global_offset_x
      - .offset:         192
        .size:           8
        .value_kind:     hidden_global_offset_y
      - .offset:         200
        .size:           8
        .value_kind:     hidden_global_offset_z
      - .offset:         208
        .size:           2
        .value_kind:     hidden_grid_dims
    .group_segment_fixed_size: 7296
    .kernarg_segment_align: 8
    .kernarg_segment_size: 400
    .language:       OpenCL C
    .language_version:
      - 2
      - 0
    .max_flat_workgroup_size: 128
    .name:           _ZL58rocblas_symv_kernel_lower_double_buffered_diagonal_genericILi32ELi4E24rocblas_internal_val_ptrIfEPKfPfEvbiT1_lT2_lllS6_lllS5_lT3_lllii
    .private_segment_fixed_size: 0
    .sgpr_count:     52
    .sgpr_spill_count: 0
    .symbol:         _ZL58rocblas_symv_kernel_lower_double_buffered_diagonal_genericILi32ELi4E24rocblas_internal_val_ptrIfEPKfPfEvbiT1_lT2_lllS6_lllS5_lT3_lllii.kd
    .uniform_work_group_size: 1
    .uses_dynamic_stack: false
    .vgpr_count:     44
    .vgpr_spill_count: 0
    .wavefront_size: 32
    .workgroup_processor_mode: 1
  - .args:
      - .offset:         0
        .size:           1
        .value_kind:     by_value
      - .offset:         4
        .size:           4
        .value_kind:     by_value
      - .offset:         8
        .size:           8
        .value_kind:     by_value
      - .offset:         16
        .size:           8
        .value_kind:     by_value
      - .address_space:  global
        .offset:         24
        .size:           8
        .value_kind:     global_buffer
      - .offset:         32
        .size:           8
        .value_kind:     by_value
      - .offset:         40
        .size:           8
        .value_kind:     by_value
      - .offset:         48
        .size:           8
        .value_kind:     by_value
      - .address_space:  global
        .offset:         56
        .size:           8
        .value_kind:     global_buffer
      - .offset:         64
        .size:           8
        .value_kind:     by_value
      - .offset:         72
        .size:           8
        .value_kind:     by_value
      - .offset:         80
        .size:           8
        .value_kind:     by_value
      - .address_space:  global
        .offset:         88
        .size:           8
        .value_kind:     global_buffer
      - .offset:         96
        .size:           8
        .value_kind:     by_value
      - .offset:         104
        .size:           8
        .value_kind:     by_value
      - .offset:         112
        .size:           8
        .value_kind:     by_value
      - .offset:         120
        .size:           4
        .value_kind:     by_value
      - .offset:         124
        .size:           4
        .value_kind:     by_value
      - .offset:         128
        .size:           4
        .value_kind:     hidden_block_count_x
      - .offset:         132
        .size:           4
        .value_kind:     hidden_block_count_y
      - .offset:         136
        .size:           4
        .value_kind:     hidden_block_count_z
      - .offset:         140
        .size:           2
        .value_kind:     hidden_group_size_x
      - .offset:         142
        .size:           2
        .value_kind:     hidden_group_size_y
      - .offset:         144
        .size:           2
        .value_kind:     hidden_group_size_z
      - .offset:         146
        .size:           2
        .value_kind:     hidden_remainder_x
      - .offset:         148
        .size:           2
        .value_kind:     hidden_remainder_y
      - .offset:         150
        .size:           2
        .value_kind:     hidden_remainder_z
      - .offset:         168
        .size:           8
        .value_kind:     hidden_global_offset_x
      - .offset:         176
        .size:           8
        .value_kind:     hidden_global_offset_y
      - .offset:         184
        .size:           8
        .value_kind:     hidden_global_offset_z
      - .offset:         192
        .size:           2
        .value_kind:     hidden_grid_dims
    .group_segment_fixed_size: 4224
    .kernarg_segment_align: 8
    .kernarg_segment_size: 384
    .language:       OpenCL C
    .language_version:
      - 2
      - 0
    .max_flat_workgroup_size: 128
    .name:           _ZL62rocblas_symv_kernel_lower_double_buffered_non_diagonal_genericILi32ELi4ELi4E24rocblas_internal_val_ptrIfEPKfPfEvbiT2_lT3_lllS6_lllT4_lllii
    .private_segment_fixed_size: 0
    .sgpr_count:     78
    .sgpr_spill_count: 0
    .symbol:         _ZL62rocblas_symv_kernel_lower_double_buffered_non_diagonal_genericILi32ELi4ELi4E24rocblas_internal_val_ptrIfEPKfPfEvbiT2_lT3_lllS6_lllT4_lllii.kd
    .uniform_work_group_size: 1
    .uses_dynamic_stack: false
    .vgpr_count:     76
    .vgpr_spill_count: 0
    .wavefront_size: 32
    .workgroup_processor_mode: 1
  - .args:
      - .offset:         0
        .size:           4
        .value_kind:     by_value
      - .address_space:  global
        .offset:         8
        .size:           8
        .value_kind:     global_buffer
      - .offset:         16
        .size:           8
        .value_kind:     by_value
      - .address_space:  global
        .offset:         24
        .size:           8
        .value_kind:     global_buffer
      - .offset:         32
        .size:           8
        .value_kind:     by_value
      - .offset:         40
        .size:           8
        .value_kind:     by_value
      - .offset:         48
        .size:           8
        .value_kind:     by_value
      - .address_space:  global
        .offset:         56
        .size:           8
        .value_kind:     global_buffer
      - .offset:         64
        .size:           8
        .value_kind:     by_value
      - .offset:         72
        .size:           8
        .value_kind:     by_value
      - .offset:         80
        .size:           8
        .value_kind:     by_value
      - .address_space:  global
        .offset:         88
        .size:           8
        .value_kind:     global_buffer
      - .offset:         96
        .size:           8
        .value_kind:     by_value
      - .address_space:  global
        .offset:         104
        .size:           8
        .value_kind:     global_buffer
      - .offset:         112
        .size:           4
        .value_kind:     by_value
      - .offset:         120
        .size:           4
        .value_kind:     hidden_block_count_x
      - .offset:         124
        .size:           4
        .value_kind:     hidden_block_count_y
      - .offset:         128
        .size:           4
        .value_kind:     hidden_block_count_z
      - .offset:         132
        .size:           2
        .value_kind:     hidden_group_size_x
      - .offset:         134
        .size:           2
        .value_kind:     hidden_group_size_y
      - .offset:         136
        .size:           2
        .value_kind:     hidden_group_size_z
      - .offset:         138
        .size:           2
        .value_kind:     hidden_remainder_x
      - .offset:         140
        .size:           2
        .value_kind:     hidden_remainder_y
      - .offset:         142
        .size:           2
        .value_kind:     hidden_remainder_z
      - .offset:         160
        .size:           8
        .value_kind:     hidden_global_offset_x
      - .offset:         168
        .size:           8
        .value_kind:     hidden_global_offset_y
      - .offset:         176
        .size:           8
        .value_kind:     hidden_global_offset_z
      - .offset:         184
        .size:           2
        .value_kind:     hidden_grid_dims
    .group_segment_fixed_size: 4800
    .kernarg_segment_align: 8
    .kernarg_segment_size: 376
    .language:       OpenCL C
    .language_version:
      - 2
      - 0
    .max_flat_workgroup_size: 256
    .name:           _ZL26rocblas_hemvn_kernel_lowerILb0ELi64ELi4ELi33ELi32ELi16ElPKfS1_PfEviT6_lT7_lT5_lS4_lS5_lS3_lT8_i
    .private_segment_fixed_size: 0
    .sgpr_count:     100
    .sgpr_spill_count: 0
    .symbol:         _ZL26rocblas_hemvn_kernel_lowerILb0ELi64ELi4ELi33ELi32ELi16ElPKfS1_PfEviT6_lT7_lT5_lS4_lS5_lS3_lT8_i.kd
    .uniform_work_group_size: 1
    .uses_dynamic_stack: false
    .vgpr_count:     91
    .vgpr_spill_count: 0
    .wavefront_size: 32
    .workgroup_processor_mode: 1
  - .args:
      - .offset:         0
        .size:           4
        .value_kind:     by_value
      - .address_space:  global
        .offset:         8
        .size:           8
        .value_kind:     global_buffer
      - .offset:         16
        .size:           8
        .value_kind:     by_value
      - .address_space:  global
        .offset:         24
        .size:           8
        .value_kind:     global_buffer
      - .offset:         32
        .size:           8
        .value_kind:     by_value
      - .address_space:  global
        .offset:         40
        .size:           8
        .value_kind:     global_buffer
      - .offset:         48
        .size:           8
        .value_kind:     by_value
      - .offset:         56
        .size:           8
        .value_kind:     by_value
      - .offset:         64
        .size:           8
        .value_kind:     by_value
      - .actual_access:  read_only
        .address_space:  global
        .offset:         72
        .size:           8
        .value_kind:     global_buffer
      - .offset:         80
        .size:           4
        .value_kind:     by_value
      - .offset:         88
        .size:           4
        .value_kind:     hidden_block_count_x
      - .offset:         92
        .size:           4
        .value_kind:     hidden_block_count_y
      - .offset:         96
        .size:           4
        .value_kind:     hidden_block_count_z
      - .offset:         100
        .size:           2
        .value_kind:     hidden_group_size_x
      - .offset:         102
        .size:           2
        .value_kind:     hidden_group_size_y
      - .offset:         104
        .size:           2
        .value_kind:     hidden_group_size_z
      - .offset:         106
        .size:           2
        .value_kind:     hidden_remainder_x
      - .offset:         108
        .size:           2
        .value_kind:     hidden_remainder_y
      - .offset:         110
        .size:           2
        .value_kind:     hidden_remainder_z
      - .offset:         128
        .size:           8
        .value_kind:     hidden_global_offset_x
      - .offset:         136
        .size:           8
        .value_kind:     hidden_global_offset_y
      - .offset:         144
        .size:           8
        .value_kind:     hidden_global_offset_z
      - .offset:         152
        .size:           2
        .value_kind:     hidden_grid_dims
    .group_segment_fixed_size: 0
    .kernarg_segment_align: 8
    .kernarg_segment_size: 344
    .language:       OpenCL C
    .language_version:
      - 2
      - 0
    .max_flat_workgroup_size: 64
    .name:           _ZL36rocblas_hemvn_kernel_lower_block_sumILi64ElPKfPffEviT1_lS3_lT2_lT0_lPT3_i
    .private_segment_fixed_size: 0
    .sgpr_count:     34
    .sgpr_spill_count: 0
    .symbol:         _ZL36rocblas_hemvn_kernel_lower_block_sumILi64ElPKfPffEviT1_lS3_lT2_lT0_lPT3_i.kd
    .uniform_work_group_size: 1
    .uses_dynamic_stack: false
    .vgpr_count:     8
    .vgpr_spill_count: 0
    .wavefront_size: 32
    .workgroup_processor_mode: 1
  - .args:
      - .offset:         0
        .size:           4
        .value_kind:     by_value
      - .address_space:  global
        .offset:         8
        .size:           8
        .value_kind:     global_buffer
      - .offset:         16
        .size:           8
        .value_kind:     by_value
      - .address_space:  global
        .offset:         24
        .size:           8
        .value_kind:     global_buffer
      - .offset:         32
        .size:           8
        .value_kind:     by_value
      - .offset:         40
        .size:           4
        .value_kind:     by_value
      - .offset:         48
        .size:           8
        .value_kind:     by_value
      - .address_space:  global
        .offset:         56
        .size:           8
        .value_kind:     global_buffer
      - .offset:         64
        .size:           8
        .value_kind:     by_value
      - .offset:         72
        .size:           4
        .value_kind:     by_value
      - .offset:         80
        .size:           8
        .value_kind:     by_value
      - .address_space:  global
        .offset:         88
        .size:           8
        .value_kind:     global_buffer
      - .offset:         96
        .size:           8
        .value_kind:     by_value
      - .address_space:  global
        .offset:         104
        .size:           8
        .value_kind:     global_buffer
      - .offset:         112
        .size:           4
        .value_kind:     by_value
      - .offset:         120
        .size:           4
        .value_kind:     hidden_block_count_x
      - .offset:         124
        .size:           4
        .value_kind:     hidden_block_count_y
      - .offset:         128
        .size:           4
        .value_kind:     hidden_block_count_z
      - .offset:         132
        .size:           2
        .value_kind:     hidden_group_size_x
      - .offset:         134
        .size:           2
        .value_kind:     hidden_group_size_y
      - .offset:         136
        .size:           2
        .value_kind:     hidden_group_size_z
      - .offset:         138
        .size:           2
        .value_kind:     hidden_remainder_x
      - .offset:         140
        .size:           2
        .value_kind:     hidden_remainder_y
      - .offset:         142
        .size:           2
        .value_kind:     hidden_remainder_z
      - .offset:         160
        .size:           8
        .value_kind:     hidden_global_offset_x
      - .offset:         168
        .size:           8
        .value_kind:     hidden_global_offset_y
      - .offset:         176
        .size:           8
        .value_kind:     hidden_global_offset_z
      - .offset:         184
        .size:           2
        .value_kind:     hidden_grid_dims
    .group_segment_fixed_size: 4800
    .kernarg_segment_align: 8
    .kernarg_segment_size: 376
    .language:       OpenCL C
    .language_version:
      - 2
      - 0
    .max_flat_workgroup_size: 256
    .name:           _ZL26rocblas_hemvn_kernel_lowerILb0ELi64ELi4ELi33ELi32ELi16EiPKfS1_PfEviT6_lT7_lT5_lS4_lS5_lS3_lT8_i
    .private_segment_fixed_size: 0
    .sgpr_count:     106
    .sgpr_spill_count: 0
    .symbol:         _ZL26rocblas_hemvn_kernel_lowerILb0ELi64ELi4ELi33ELi32ELi16EiPKfS1_PfEviT6_lT7_lT5_lS4_lS5_lS3_lT8_i.kd
    .uniform_work_group_size: 1
    .uses_dynamic_stack: false
    .vgpr_count:     92
    .vgpr_spill_count: 0
    .wavefront_size: 32
    .workgroup_processor_mode: 1
  - .args:
      - .offset:         0
        .size:           4
        .value_kind:     by_value
      - .address_space:  global
        .offset:         8
        .size:           8
        .value_kind:     global_buffer
      - .offset:         16
        .size:           8
        .value_kind:     by_value
      - .address_space:  global
        .offset:         24
        .size:           8
        .value_kind:     global_buffer
      - .offset:         32
        .size:           8
        .value_kind:     by_value
      - .address_space:  global
        .offset:         40
        .size:           8
        .value_kind:     global_buffer
      - .offset:         48
        .size:           8
        .value_kind:     by_value
      - .offset:         56
        .size:           4
        .value_kind:     by_value
      - .offset:         64
        .size:           8
        .value_kind:     by_value
      - .actual_access:  read_only
        .address_space:  global
        .offset:         72
        .size:           8
        .value_kind:     global_buffer
      - .offset:         80
        .size:           4
        .value_kind:     by_value
      - .offset:         88
        .size:           4
        .value_kind:     hidden_block_count_x
      - .offset:         92
        .size:           4
        .value_kind:     hidden_block_count_y
      - .offset:         96
        .size:           4
        .value_kind:     hidden_block_count_z
      - .offset:         100
        .size:           2
        .value_kind:     hidden_group_size_x
      - .offset:         102
        .size:           2
        .value_kind:     hidden_group_size_y
      - .offset:         104
        .size:           2
        .value_kind:     hidden_group_size_z
      - .offset:         106
        .size:           2
        .value_kind:     hidden_remainder_x
      - .offset:         108
        .size:           2
        .value_kind:     hidden_remainder_y
      - .offset:         110
        .size:           2
        .value_kind:     hidden_remainder_z
      - .offset:         128
        .size:           8
        .value_kind:     hidden_global_offset_x
      - .offset:         136
        .size:           8
        .value_kind:     hidden_global_offset_y
      - .offset:         144
        .size:           8
        .value_kind:     hidden_global_offset_z
      - .offset:         152
        .size:           2
        .value_kind:     hidden_grid_dims
    .group_segment_fixed_size: 0
    .kernarg_segment_align: 8
    .kernarg_segment_size: 344
    .language:       OpenCL C
    .language_version:
      - 2
      - 0
    .max_flat_workgroup_size: 64
    .name:           _ZL36rocblas_hemvn_kernel_lower_block_sumILi64EiPKfPffEviT1_lS3_lT2_lT0_lPT3_i
    .private_segment_fixed_size: 0
    .sgpr_count:     34
    .sgpr_spill_count: 0
    .symbol:         _ZL36rocblas_hemvn_kernel_lower_block_sumILi64EiPKfPffEviT1_lS3_lT2_lT0_lPT3_i.kd
    .uniform_work_group_size: 1
    .uses_dynamic_stack: false
    .vgpr_count:     8
    .vgpr_spill_count: 0
    .wavefront_size: 32
    .workgroup_processor_mode: 1
  - .args:
      - .offset:         0
        .size:           4
        .value_kind:     by_value
      - .offset:         4
        .size:           4
        .value_kind:     by_value
      - .offset:         8
        .size:           8
        .value_kind:     by_value
      - .address_space:  global
        .offset:         16
        .size:           8
        .value_kind:     global_buffer
      - .offset:         24
        .size:           8
        .value_kind:     by_value
      - .offset:         32
        .size:           8
        .value_kind:     by_value
      - .offset:         40
        .size:           8
        .value_kind:     by_value
      - .address_space:  global
        .offset:         48
        .size:           8
        .value_kind:     global_buffer
      - .offset:         56
        .size:           8
        .value_kind:     by_value
      - .offset:         64
        .size:           8
        .value_kind:     by_value
      - .offset:         72
        .size:           8
        .value_kind:     by_value
      - .offset:         80
        .size:           4
        .value_kind:     by_value
      - .offset:         88
        .size:           8
        .value_kind:     by_value
      - .address_space:  global
        .offset:         96
        .size:           8
        .value_kind:     global_buffer
      - .offset:         104
        .size:           4
        .value_kind:     by_value
      - .offset:         112
        .size:           4
        .value_kind:     hidden_block_count_x
      - .offset:         116
        .size:           4
        .value_kind:     hidden_block_count_y
      - .offset:         120
        .size:           4
        .value_kind:     hidden_block_count_z
      - .offset:         124
        .size:           2
        .value_kind:     hidden_group_size_x
      - .offset:         126
        .size:           2
        .value_kind:     hidden_group_size_y
      - .offset:         128
        .size:           2
        .value_kind:     hidden_group_size_z
      - .offset:         130
        .size:           2
        .value_kind:     hidden_remainder_x
      - .offset:         132
        .size:           2
        .value_kind:     hidden_remainder_y
      - .offset:         134
        .size:           2
        .value_kind:     hidden_remainder_z
      - .offset:         152
        .size:           8
        .value_kind:     hidden_global_offset_x
      - .offset:         160
        .size:           8
        .value_kind:     hidden_global_offset_y
      - .offset:         168
        .size:           8
        .value_kind:     hidden_global_offset_z
      - .offset:         176
        .size:           2
        .value_kind:     hidden_grid_dims
    .group_segment_fixed_size: 4800
    .kernarg_segment_align: 8
    .kernarg_segment_size: 368
    .language:       OpenCL C
    .language_version:
      - 2
      - 0
    .max_flat_workgroup_size: 256
    .name:           _ZL26rocblas_hemvn_kernel_lowerILb0ELi64ELi4ELi33ELi32ELi16ElfPKfPfEviT6_lT7_lT5_lS4_lS5_lS3_lT8_i
    .private_segment_fixed_size: 0
    .sgpr_count:     92
    .sgpr_spill_count: 0
    .symbol:         _ZL26rocblas_hemvn_kernel_lowerILb0ELi64ELi4ELi33ELi32ELi16ElfPKfPfEviT6_lT7_lT5_lS4_lS5_lS3_lT8_i.kd
    .uniform_work_group_size: 1
    .uses_dynamic_stack: false
    .vgpr_count:     92
    .vgpr_spill_count: 0
    .wavefront_size: 32
    .workgroup_processor_mode: 1
  - .args:
      - .offset:         0
        .size:           4
        .value_kind:     by_value
      - .offset:         4
        .size:           4
        .value_kind:     by_value
      - .offset:         8
        .size:           8
        .value_kind:     by_value
      - .offset:         16
        .size:           4
        .value_kind:     by_value
      - .offset:         24
        .size:           8
        .value_kind:     by_value
      - .address_space:  global
        .offset:         32
        .size:           8
        .value_kind:     global_buffer
      - .offset:         40
        .size:           8
        .value_kind:     by_value
      - .offset:         48
        .size:           8
        .value_kind:     by_value
      - .offset:         56
        .size:           8
        .value_kind:     by_value
      - .actual_access:  read_only
        .address_space:  global
        .offset:         64
        .size:           8
        .value_kind:     global_buffer
      - .offset:         72
        .size:           4
        .value_kind:     by_value
      - .offset:         80
        .size:           4
        .value_kind:     hidden_block_count_x
      - .offset:         84
        .size:           4
        .value_kind:     hidden_block_count_y
      - .offset:         88
        .size:           4
        .value_kind:     hidden_block_count_z
      - .offset:         92
        .size:           2
        .value_kind:     hidden_group_size_x
      - .offset:         94
        .size:           2
        .value_kind:     hidden_group_size_y
      - .offset:         96
        .size:           2
        .value_kind:     hidden_group_size_z
      - .offset:         98
        .size:           2
        .value_kind:     hidden_remainder_x
      - .offset:         100
        .size:           2
        .value_kind:     hidden_remainder_y
      - .offset:         102
        .size:           2
        .value_kind:     hidden_remainder_z
      - .offset:         120
        .size:           8
        .value_kind:     hidden_global_offset_x
      - .offset:         128
        .size:           8
        .value_kind:     hidden_global_offset_y
      - .offset:         136
        .size:           8
        .value_kind:     hidden_global_offset_z
      - .offset:         144
        .size:           2
        .value_kind:     hidden_grid_dims
    .group_segment_fixed_size: 0
    .kernarg_segment_align: 8
    .kernarg_segment_size: 336
    .language:       OpenCL C
    .language_version:
      - 2
      - 0
    .max_flat_workgroup_size: 64
    .name:           _ZL36rocblas_hemvn_kernel_lower_block_sumILi64ElfPffEviT1_lS1_lT2_lT0_lPT3_i
    .private_segment_fixed_size: 0
    .sgpr_count:     30
    .sgpr_spill_count: 0
    .symbol:         _ZL36rocblas_hemvn_kernel_lower_block_sumILi64ElfPffEviT1_lS1_lT2_lT0_lPT3_i.kd
    .uniform_work_group_size: 1
    .uses_dynamic_stack: false
    .vgpr_count:     8
    .vgpr_spill_count: 0
    .wavefront_size: 32
    .workgroup_processor_mode: 1
  - .args:
      - .offset:         0
        .size:           4
        .value_kind:     by_value
      - .offset:         4
        .size:           4
        .value_kind:     by_value
      - .offset:         8
        .size:           8
        .value_kind:     by_value
      - .address_space:  global
        .offset:         16
        .size:           8
        .value_kind:     global_buffer
      - .offset:         24
        .size:           8
        .value_kind:     by_value
      - .offset:         32
        .size:           4
        .value_kind:     by_value
      - .offset:         40
        .size:           8
        .value_kind:     by_value
      - .address_space:  global
        .offset:         48
        .size:           8
        .value_kind:     global_buffer
      - .offset:         56
        .size:           8
        .value_kind:     by_value
      - .offset:         64
        .size:           4
        .value_kind:     by_value
      - .offset:         72
        .size:           8
        .value_kind:     by_value
      - .offset:         80
        .size:           4
        .value_kind:     by_value
      - .offset:         88
        .size:           8
        .value_kind:     by_value
      - .address_space:  global
        .offset:         96
        .size:           8
        .value_kind:     global_buffer
      - .offset:         104
        .size:           4
        .value_kind:     by_value
      - .offset:         112
        .size:           4
        .value_kind:     hidden_block_count_x
      - .offset:         116
        .size:           4
        .value_kind:     hidden_block_count_y
      - .offset:         120
        .size:           4
        .value_kind:     hidden_block_count_z
      - .offset:         124
        .size:           2
        .value_kind:     hidden_group_size_x
      - .offset:         126
        .size:           2
        .value_kind:     hidden_group_size_y
      - .offset:         128
        .size:           2
        .value_kind:     hidden_group_size_z
      - .offset:         130
        .size:           2
        .value_kind:     hidden_remainder_x
      - .offset:         132
        .size:           2
        .value_kind:     hidden_remainder_y
      - .offset:         134
        .size:           2
        .value_kind:     hidden_remainder_z
      - .offset:         152
        .size:           8
        .value_kind:     hidden_global_offset_x
      - .offset:         160
        .size:           8
        .value_kind:     hidden_global_offset_y
      - .offset:         168
        .size:           8
        .value_kind:     hidden_global_offset_z
      - .offset:         176
        .size:           2
        .value_kind:     hidden_grid_dims
    .group_segment_fixed_size: 4800
    .kernarg_segment_align: 8
    .kernarg_segment_size: 368
    .language:       OpenCL C
    .language_version:
      - 2
      - 0
    .max_flat_workgroup_size: 256
    .name:           _ZL26rocblas_hemvn_kernel_lowerILb0ELi64ELi4ELi33ELi32ELi16EifPKfPfEviT6_lT7_lT5_lS4_lS5_lS3_lT8_i
    .private_segment_fixed_size: 0
    .sgpr_count:     98
    .sgpr_spill_count: 0
    .symbol:         _ZL26rocblas_hemvn_kernel_lowerILb0ELi64ELi4ELi33ELi32ELi16EifPKfPfEviT6_lT7_lT5_lS4_lS5_lS3_lT8_i.kd
    .uniform_work_group_size: 1
    .uses_dynamic_stack: false
    .vgpr_count:     93
    .vgpr_spill_count: 0
    .wavefront_size: 32
    .workgroup_processor_mode: 1
  - .args:
      - .offset:         0
        .size:           4
        .value_kind:     by_value
      - .offset:         4
        .size:           4
        .value_kind:     by_value
      - .offset:         8
        .size:           8
        .value_kind:     by_value
      - .offset:         16
        .size:           4
        .value_kind:     by_value
      - .offset:         24
        .size:           8
        .value_kind:     by_value
      - .address_space:  global
        .offset:         32
        .size:           8
        .value_kind:     global_buffer
      - .offset:         40
        .size:           8
        .value_kind:     by_value
      - .offset:         48
        .size:           4
        .value_kind:     by_value
      - .offset:         56
        .size:           8
        .value_kind:     by_value
      - .actual_access:  read_only
        .address_space:  global
        .offset:         64
        .size:           8
        .value_kind:     global_buffer
      - .offset:         72
        .size:           4
        .value_kind:     by_value
      - .offset:         80
        .size:           4
        .value_kind:     hidden_block_count_x
      - .offset:         84
        .size:           4
        .value_kind:     hidden_block_count_y
      - .offset:         88
        .size:           4
        .value_kind:     hidden_block_count_z
      - .offset:         92
        .size:           2
        .value_kind:     hidden_group_size_x
      - .offset:         94
        .size:           2
        .value_kind:     hidden_group_size_y
      - .offset:         96
        .size:           2
        .value_kind:     hidden_group_size_z
      - .offset:         98
        .size:           2
        .value_kind:     hidden_remainder_x
      - .offset:         100
        .size:           2
        .value_kind:     hidden_remainder_y
      - .offset:         102
        .size:           2
        .value_kind:     hidden_remainder_z
      - .offset:         120
        .size:           8
        .value_kind:     hidden_global_offset_x
      - .offset:         128
        .size:           8
        .value_kind:     hidden_global_offset_y
      - .offset:         136
        .size:           8
        .value_kind:     hidden_global_offset_z
      - .offset:         144
        .size:           2
        .value_kind:     hidden_grid_dims
    .group_segment_fixed_size: 0
    .kernarg_segment_align: 8
    .kernarg_segment_size: 336
    .language:       OpenCL C
    .language_version:
      - 2
      - 0
    .max_flat_workgroup_size: 64
    .name:           _ZL36rocblas_hemvn_kernel_lower_block_sumILi64EifPffEviT1_lS1_lT2_lT0_lPT3_i
    .private_segment_fixed_size: 0
    .sgpr_count:     30
    .sgpr_spill_count: 0
    .symbol:         _ZL36rocblas_hemvn_kernel_lower_block_sumILi64EifPffEviT1_lS1_lT2_lT0_lPT3_i.kd
    .uniform_work_group_size: 1
    .uses_dynamic_stack: false
    .vgpr_count:     8
    .vgpr_spill_count: 0
    .wavefront_size: 32
    .workgroup_processor_mode: 1
  - .args:
      - .offset:         0
        .size:           1
        .value_kind:     by_value
      - .offset:         4
        .size:           4
        .value_kind:     by_value
      - .offset:         8
        .size:           8
        .value_kind:     by_value
      - .offset:         16
        .size:           8
        .value_kind:     by_value
      - .address_space:  global
        .offset:         24
        .size:           8
        .value_kind:     global_buffer
      - .offset:         32
        .size:           8
        .value_kind:     by_value
      - .offset:         40
        .size:           8
        .value_kind:     by_value
      - .offset:         48
        .size:           8
        .value_kind:     by_value
      - .address_space:  global
        .offset:         56
        .size:           8
        .value_kind:     global_buffer
      - .offset:         64
        .size:           8
        .value_kind:     by_value
      - .offset:         72
        .size:           8
        .value_kind:     by_value
      - .offset:         80
        .size:           8
        .value_kind:     by_value
      - .offset:         88
        .size:           8
        .value_kind:     by_value
      - .offset:         96
        .size:           8
        .value_kind:     by_value
      - .address_space:  global
        .offset:         104
        .size:           8
        .value_kind:     global_buffer
      - .offset:         112
        .size:           8
        .value_kind:     by_value
      - .offset:         120
        .size:           8
        .value_kind:     by_value
      - .offset:         128
        .size:           8
        .value_kind:     by_value
      - .offset:         136
        .size:           4
        .value_kind:     by_value
    .group_segment_fixed_size: 10496
    .kernarg_segment_align: 8
    .kernarg_segment_size: 140
    .language:       OpenCL C
    .language_version:
      - 2
      - 0
    .max_flat_workgroup_size: 128
    .name:           _ZL50rocblas_symv_kernel_upper_double_buffered_diagonalILi32ELi4E24rocblas_internal_val_ptrIdEPKdPdEvbiT1_lT2_lllS6_lllS5_lT3_llli
    .private_segment_fixed_size: 24
    .sgpr_count:     42
    .sgpr_spill_count: 0
    .symbol:         _ZL50rocblas_symv_kernel_upper_double_buffered_diagonalILi32ELi4E24rocblas_internal_val_ptrIdEPKdPdEvbiT1_lT2_lllS6_lllS5_lT3_llli.kd
    .uniform_work_group_size: 1
    .uses_dynamic_stack: false
    .vgpr_count:     43
    .vgpr_spill_count: 0
    .wavefront_size: 32
    .workgroup_processor_mode: 1
  - .args:
      - .offset:         0
        .size:           1
        .value_kind:     by_value
      - .offset:         4
        .size:           4
        .value_kind:     by_value
      - .offset:         8
        .size:           8
        .value_kind:     by_value
      - .offset:         16
        .size:           8
        .value_kind:     by_value
      - .address_space:  global
        .offset:         24
        .size:           8
        .value_kind:     global_buffer
      - .offset:         32
        .size:           8
        .value_kind:     by_value
      - .offset:         40
        .size:           8
        .value_kind:     by_value
      - .offset:         48
        .size:           8
        .value_kind:     by_value
      - .address_space:  global
        .offset:         56
        .size:           8
        .value_kind:     global_buffer
      - .offset:         64
        .size:           8
        .value_kind:     by_value
      - .offset:         72
        .size:           8
        .value_kind:     by_value
      - .offset:         80
        .size:           8
        .value_kind:     by_value
      - .address_space:  global
        .offset:         88
        .size:           8
        .value_kind:     global_buffer
      - .offset:         96
        .size:           8
        .value_kind:     by_value
      - .offset:         104
        .size:           8
        .value_kind:     by_value
      - .offset:         112
        .size:           8
        .value_kind:     by_value
      - .offset:         120
        .size:           4
        .value_kind:     by_value
      - .offset:         128
        .size:           4
        .value_kind:     hidden_block_count_x
      - .offset:         132
        .size:           4
        .value_kind:     hidden_block_count_y
      - .offset:         136
        .size:           4
        .value_kind:     hidden_block_count_z
      - .offset:         140
        .size:           2
        .value_kind:     hidden_group_size_x
      - .offset:         142
        .size:           2
        .value_kind:     hidden_group_size_y
      - .offset:         144
        .size:           2
        .value_kind:     hidden_group_size_z
      - .offset:         146
        .size:           2
        .value_kind:     hidden_remainder_x
      - .offset:         148
        .size:           2
        .value_kind:     hidden_remainder_y
      - .offset:         150
        .size:           2
        .value_kind:     hidden_remainder_z
      - .offset:         168
        .size:           8
        .value_kind:     hidden_global_offset_x
      - .offset:         176
        .size:           8
        .value_kind:     hidden_global_offset_y
      - .offset:         184
        .size:           8
        .value_kind:     hidden_global_offset_z
      - .offset:         192
        .size:           2
        .value_kind:     hidden_grid_dims
    .group_segment_fixed_size: 7424
    .kernarg_segment_align: 8
    .kernarg_segment_size: 384
    .language:       OpenCL C
    .language_version:
      - 2
      - 0
    .max_flat_workgroup_size: 128
    .name:           _ZL54rocblas_symv_kernel_upper_double_buffered_non_diagonalILi32ELi4ELi4E24rocblas_internal_val_ptrIdEPKdPdEvbiT2_lT3_lllS6_lllT4_llli
    .private_segment_fixed_size: 0
    .sgpr_count:     58
    .sgpr_spill_count: 0
    .symbol:         _ZL54rocblas_symv_kernel_upper_double_buffered_non_diagonalILi32ELi4ELi4E24rocblas_internal_val_ptrIdEPKdPdEvbiT2_lT3_lllS6_lllT4_llli.kd
    .uniform_work_group_size: 1
    .uses_dynamic_stack: false
    .vgpr_count:     86
    .vgpr_spill_count: 0
    .wavefront_size: 32
    .workgroup_processor_mode: 1
  - .args:
      - .offset:         0
        .size:           1
        .value_kind:     by_value
      - .offset:         4
        .size:           4
        .value_kind:     by_value
      - .offset:         8
        .size:           8
        .value_kind:     by_value
      - .offset:         16
        .size:           8
        .value_kind:     by_value
      - .address_space:  global
        .offset:         24
        .size:           8
        .value_kind:     global_buffer
      - .offset:         32
        .size:           8
        .value_kind:     by_value
      - .offset:         40
        .size:           8
        .value_kind:     by_value
      - .offset:         48
        .size:           8
        .value_kind:     by_value
      - .address_space:  global
        .offset:         56
        .size:           8
        .value_kind:     global_buffer
      - .offset:         64
        .size:           8
        .value_kind:     by_value
      - .offset:         72
        .size:           8
        .value_kind:     by_value
      - .offset:         80
        .size:           8
        .value_kind:     by_value
      - .offset:         88
        .size:           8
        .value_kind:     by_value
      - .offset:         96
        .size:           8
        .value_kind:     by_value
      - .address_space:  global
        .offset:         104
        .size:           8
        .value_kind:     global_buffer
      - .offset:         112
        .size:           8
        .value_kind:     by_value
      - .offset:         120
        .size:           8
        .value_kind:     by_value
      - .offset:         128
        .size:           8
        .value_kind:     by_value
      - .offset:         136
        .size:           4
        .value_kind:     by_value
      - .offset:         140
        .size:           4
        .value_kind:     by_value
      - .offset:         144
        .size:           4
        .value_kind:     hidden_block_count_x
      - .offset:         148
        .size:           4
        .value_kind:     hidden_block_count_y
      - .offset:         152
        .size:           4
        .value_kind:     hidden_block_count_z
      - .offset:         156
        .size:           2
        .value_kind:     hidden_group_size_x
      - .offset:         158
        .size:           2
        .value_kind:     hidden_group_size_y
      - .offset:         160
        .size:           2
        .value_kind:     hidden_group_size_z
      - .offset:         162
        .size:           2
        .value_kind:     hidden_remainder_x
      - .offset:         164
        .size:           2
        .value_kind:     hidden_remainder_y
      - .offset:         166
        .size:           2
        .value_kind:     hidden_remainder_z
      - .offset:         184
        .size:           8
        .value_kind:     hidden_global_offset_x
      - .offset:         192
        .size:           8
        .value_kind:     hidden_global_offset_y
      - .offset:         200
        .size:           8
        .value_kind:     hidden_global_offset_z
      - .offset:         208
        .size:           2
        .value_kind:     hidden_grid_dims
    .group_segment_fixed_size: 14592
    .kernarg_segment_align: 8
    .kernarg_segment_size: 400
    .language:       OpenCL C
    .language_version:
      - 2
      - 0
    .max_flat_workgroup_size: 256
    .name:           _ZL58rocblas_symv_kernel_upper_double_buffered_diagonal_genericILi32ELi8E24rocblas_internal_val_ptrIdEPKdPdEvbiT1_lT2_lllS6_lllS5_lT3_lllii
    .private_segment_fixed_size: 16
    .sgpr_count:     48
    .sgpr_spill_count: 0
    .symbol:         _ZL58rocblas_symv_kernel_upper_double_buffered_diagonal_genericILi32ELi8E24rocblas_internal_val_ptrIdEPKdPdEvbiT1_lT2_lllS6_lllS5_lT3_lllii.kd
    .uniform_work_group_size: 1
    .uses_dynamic_stack: false
    .vgpr_count:     38
    .vgpr_spill_count: 0
    .wavefront_size: 32
    .workgroup_processor_mode: 1
  - .args:
      - .offset:         0
        .size:           1
        .value_kind:     by_value
      - .offset:         4
        .size:           4
        .value_kind:     by_value
      - .offset:         8
        .size:           8
        .value_kind:     by_value
      - .offset:         16
        .size:           8
        .value_kind:     by_value
      - .address_space:  global
        .offset:         24
        .size:           8
        .value_kind:     global_buffer
      - .offset:         32
        .size:           8
        .value_kind:     by_value
      - .offset:         40
        .size:           8
        .value_kind:     by_value
      - .offset:         48
        .size:           8
        .value_kind:     by_value
      - .address_space:  global
        .offset:         56
        .size:           8
        .value_kind:     global_buffer
      - .offset:         64
        .size:           8
        .value_kind:     by_value
      - .offset:         72
        .size:           8
        .value_kind:     by_value
      - .offset:         80
        .size:           8
        .value_kind:     by_value
      - .address_space:  global
        .offset:         88
        .size:           8
        .value_kind:     global_buffer
      - .offset:         96
        .size:           8
        .value_kind:     by_value
      - .offset:         104
        .size:           8
        .value_kind:     by_value
      - .offset:         112
        .size:           8
        .value_kind:     by_value
      - .offset:         120
        .size:           4
        .value_kind:     by_value
      - .offset:         124
        .size:           4
        .value_kind:     by_value
      - .offset:         128
        .size:           4
        .value_kind:     hidden_block_count_x
      - .offset:         132
        .size:           4
        .value_kind:     hidden_block_count_y
      - .offset:         136
        .size:           4
        .value_kind:     hidden_block_count_z
      - .offset:         140
        .size:           2
        .value_kind:     hidden_group_size_x
      - .offset:         142
        .size:           2
        .value_kind:     hidden_group_size_y
      - .offset:         144
        .size:           2
        .value_kind:     hidden_group_size_z
      - .offset:         146
        .size:           2
        .value_kind:     hidden_remainder_x
      - .offset:         148
        .size:           2
        .value_kind:     hidden_remainder_y
      - .offset:         150
        .size:           2
        .value_kind:     hidden_remainder_z
      - .offset:         168
        .size:           8
        .value_kind:     hidden_global_offset_x
      - .offset:         176
        .size:           8
        .value_kind:     hidden_global_offset_y
      - .offset:         184
        .size:           8
        .value_kind:     hidden_global_offset_z
      - .offset:         192
        .size:           2
        .value_kind:     hidden_grid_dims
    .group_segment_fixed_size: 10496
    .kernarg_segment_align: 8
    .kernarg_segment_size: 384
    .language:       OpenCL C
    .language_version:
      - 2
      - 0
    .max_flat_workgroup_size: 256
    .name:           _ZL62rocblas_symv_kernel_upper_double_buffered_non_diagonal_genericILi32ELi8ELi2ELi0E24rocblas_internal_val_ptrIdEPKdPdEvbiT3_lT4_lllS6_lllT5_lllii
    .private_segment_fixed_size: 0
    .sgpr_count:     60
    .sgpr_spill_count: 0
    .symbol:         _ZL62rocblas_symv_kernel_upper_double_buffered_non_diagonal_genericILi32ELi8ELi2ELi0E24rocblas_internal_val_ptrIdEPKdPdEvbiT3_lT4_lllS6_lllT5_lllii.kd
    .uniform_work_group_size: 1
    .uses_dynamic_stack: false
    .vgpr_count:     73
    .vgpr_spill_count: 0
    .wavefront_size: 32
    .workgroup_processor_mode: 1
  - .args:
      - .offset:         0
        .size:           1
        .value_kind:     by_value
      - .offset:         4
        .size:           4
        .value_kind:     by_value
      - .offset:         8
        .size:           8
        .value_kind:     by_value
      - .offset:         16
        .size:           8
        .value_kind:     by_value
      - .address_space:  global
        .offset:         24
        .size:           8
        .value_kind:     global_buffer
      - .offset:         32
        .size:           8
        .value_kind:     by_value
      - .offset:         40
        .size:           8
        .value_kind:     by_value
      - .offset:         48
        .size:           8
        .value_kind:     by_value
      - .address_space:  global
        .offset:         56
        .size:           8
        .value_kind:     global_buffer
      - .offset:         64
        .size:           8
        .value_kind:     by_value
      - .offset:         72
        .size:           8
        .value_kind:     by_value
      - .offset:         80
        .size:           8
        .value_kind:     by_value
      - .address_space:  global
        .offset:         88
        .size:           8
        .value_kind:     global_buffer
      - .offset:         96
        .size:           8
        .value_kind:     by_value
      - .offset:         104
        .size:           8
        .value_kind:     by_value
      - .offset:         112
        .size:           8
        .value_kind:     by_value
      - .offset:         120
        .size:           4
        .value_kind:     by_value
      - .offset:         124
        .size:           4
        .value_kind:     by_value
      - .offset:         128
        .size:           4
        .value_kind:     hidden_block_count_x
      - .offset:         132
        .size:           4
        .value_kind:     hidden_block_count_y
      - .offset:         136
        .size:           4
        .value_kind:     hidden_block_count_z
      - .offset:         140
        .size:           2
        .value_kind:     hidden_group_size_x
      - .offset:         142
        .size:           2
        .value_kind:     hidden_group_size_y
      - .offset:         144
        .size:           2
        .value_kind:     hidden_group_size_z
      - .offset:         146
        .size:           2
        .value_kind:     hidden_remainder_x
      - .offset:         148
        .size:           2
        .value_kind:     hidden_remainder_y
      - .offset:         150
        .size:           2
        .value_kind:     hidden_remainder_z
      - .offset:         168
        .size:           8
        .value_kind:     hidden_global_offset_x
      - .offset:         176
        .size:           8
        .value_kind:     hidden_global_offset_y
      - .offset:         184
        .size:           8
        .value_kind:     hidden_global_offset_z
      - .offset:         192
        .size:           2
        .value_kind:     hidden_grid_dims
    .group_segment_fixed_size: 10496
    .kernarg_segment_align: 8
    .kernarg_segment_size: 384
    .language:       OpenCL C
    .language_version:
      - 2
      - 0
    .max_flat_workgroup_size: 256
    .name:           _ZL62rocblas_symv_kernel_upper_double_buffered_non_diagonal_genericILi32ELi8ELi2ELi1E24rocblas_internal_val_ptrIdEPKdPdEvbiT3_lT4_lllS6_lllT5_lllii
    .private_segment_fixed_size: 0
    .sgpr_count:     60
    .sgpr_spill_count: 0
    .symbol:         _ZL62rocblas_symv_kernel_upper_double_buffered_non_diagonal_genericILi32ELi8ELi2ELi1E24rocblas_internal_val_ptrIdEPKdPdEvbiT3_lT4_lllS6_lllT5_lllii.kd
    .uniform_work_group_size: 1
    .uses_dynamic_stack: false
    .vgpr_count:     75
    .vgpr_spill_count: 0
    .wavefront_size: 32
    .workgroup_processor_mode: 1
  - .args:
      - .offset:         0
        .size:           4
        .value_kind:     by_value
      - .address_space:  global
        .offset:         8
        .size:           8
        .value_kind:     global_buffer
      - .offset:         16
        .size:           8
        .value_kind:     by_value
      - .address_space:  global
        .offset:         24
        .size:           8
        .value_kind:     global_buffer
      - .offset:         32
        .size:           8
        .value_kind:     by_value
      - .offset:         40
        .size:           8
        .value_kind:     by_value
      - .offset:         48
        .size:           8
        .value_kind:     by_value
      - .address_space:  global
        .offset:         56
        .size:           8
        .value_kind:     global_buffer
      - .offset:         64
        .size:           8
        .value_kind:     by_value
      - .offset:         72
        .size:           8
        .value_kind:     by_value
      - .offset:         80
        .size:           8
        .value_kind:     by_value
      - .address_space:  global
        .offset:         88
        .size:           8
        .value_kind:     global_buffer
      - .offset:         96
        .size:           8
        .value_kind:     by_value
      - .address_space:  global
        .offset:         104
        .size:           8
        .value_kind:     global_buffer
      - .offset:         112
        .size:           4
        .value_kind:     by_value
      - .offset:         120
        .size:           4
        .value_kind:     hidden_block_count_x
      - .offset:         124
        .size:           4
        .value_kind:     hidden_block_count_y
      - .offset:         128
        .size:           4
        .value_kind:     hidden_block_count_z
      - .offset:         132
        .size:           2
        .value_kind:     hidden_group_size_x
      - .offset:         134
        .size:           2
        .value_kind:     hidden_group_size_y
      - .offset:         136
        .size:           2
        .value_kind:     hidden_group_size_z
      - .offset:         138
        .size:           2
        .value_kind:     hidden_remainder_x
      - .offset:         140
        .size:           2
        .value_kind:     hidden_remainder_y
      - .offset:         142
        .size:           2
        .value_kind:     hidden_remainder_z
      - .offset:         160
        .size:           8
        .value_kind:     hidden_global_offset_x
      - .offset:         168
        .size:           8
        .value_kind:     hidden_global_offset_y
      - .offset:         176
        .size:           8
        .value_kind:     hidden_global_offset_z
      - .offset:         184
        .size:           2
        .value_kind:     hidden_grid_dims
    .group_segment_fixed_size: 9600
    .kernarg_segment_align: 8
    .kernarg_segment_size: 376
    .language:       OpenCL C
    .language_version:
      - 2
      - 0
    .max_flat_workgroup_size: 256
    .name:           _ZL26rocblas_hemvn_kernel_upperILb0ELi64ELi4ELi33ELi32ELi16ElPKdS1_PdEviT6_lT7_lT5_lS4_lS5_lS3_lT8_i
    .private_segment_fixed_size: 0
    .sgpr_count:     76
    .sgpr_spill_count: 0
    .symbol:         _ZL26rocblas_hemvn_kernel_upperILb0ELi64ELi4ELi33ELi32ELi16ElPKdS1_PdEviT6_lT7_lT5_lS4_lS5_lS3_lT8_i.kd
    .uniform_work_group_size: 1
    .uses_dynamic_stack: false
    .vgpr_count:     211
    .vgpr_spill_count: 0
    .wavefront_size: 32
    .workgroup_processor_mode: 1
  - .args:
      - .offset:         0
        .size:           4
        .value_kind:     by_value
      - .address_space:  global
        .offset:         8
        .size:           8
        .value_kind:     global_buffer
      - .offset:         16
        .size:           8
        .value_kind:     by_value
      - .address_space:  global
        .offset:         24
        .size:           8
        .value_kind:     global_buffer
      - .offset:         32
        .size:           8
        .value_kind:     by_value
      - .address_space:  global
        .offset:         40
        .size:           8
        .value_kind:     global_buffer
      - .offset:         48
        .size:           8
        .value_kind:     by_value
      - .offset:         56
        .size:           8
        .value_kind:     by_value
      - .offset:         64
        .size:           8
        .value_kind:     by_value
      - .address_space:  global
        .offset:         72
        .size:           8
        .value_kind:     global_buffer
      - .offset:         80
        .size:           4
        .value_kind:     by_value
      - .offset:         88
        .size:           4
        .value_kind:     hidden_block_count_x
      - .offset:         92
        .size:           4
        .value_kind:     hidden_block_count_y
      - .offset:         96
        .size:           4
        .value_kind:     hidden_block_count_z
      - .offset:         100
        .size:           2
        .value_kind:     hidden_group_size_x
      - .offset:         102
        .size:           2
        .value_kind:     hidden_group_size_y
      - .offset:         104
        .size:           2
        .value_kind:     hidden_group_size_z
      - .offset:         106
        .size:           2
        .value_kind:     hidden_remainder_x
      - .offset:         108
        .size:           2
        .value_kind:     hidden_remainder_y
      - .offset:         110
        .size:           2
        .value_kind:     hidden_remainder_z
      - .offset:         128
        .size:           8
        .value_kind:     hidden_global_offset_x
      - .offset:         136
        .size:           8
        .value_kind:     hidden_global_offset_y
      - .offset:         144
        .size:           8
        .value_kind:     hidden_global_offset_z
      - .offset:         152
        .size:           2
        .value_kind:     hidden_grid_dims
    .group_segment_fixed_size: 0
    .kernarg_segment_align: 8
    .kernarg_segment_size: 344
    .language:       OpenCL C
    .language_version:
      - 2
      - 0
    .max_flat_workgroup_size: 64
    .name:           _ZL36rocblas_hemvn_kernel_upper_block_sumILi64ElPKdPddEviT1_lS3_lT2_lT0_lPT3_i
    .private_segment_fixed_size: 0
    .sgpr_count:     34
    .sgpr_spill_count: 0
    .symbol:         _ZL36rocblas_hemvn_kernel_upper_block_sumILi64ElPKdPddEviT1_lS3_lT2_lT0_lPT3_i.kd
    .uniform_work_group_size: 1
    .uses_dynamic_stack: false
    .vgpr_count:     10
    .vgpr_spill_count: 0
    .wavefront_size: 32
    .workgroup_processor_mode: 1
  - .args:
      - .offset:         0
        .size:           4
        .value_kind:     by_value
      - .address_space:  global
        .offset:         8
        .size:           8
        .value_kind:     global_buffer
      - .offset:         16
        .size:           8
        .value_kind:     by_value
      - .address_space:  global
        .offset:         24
        .size:           8
        .value_kind:     global_buffer
      - .offset:         32
        .size:           8
        .value_kind:     by_value
      - .offset:         40
        .size:           4
        .value_kind:     by_value
      - .offset:         48
        .size:           8
        .value_kind:     by_value
      - .address_space:  global
        .offset:         56
        .size:           8
        .value_kind:     global_buffer
      - .offset:         64
        .size:           8
        .value_kind:     by_value
      - .offset:         72
        .size:           4
        .value_kind:     by_value
      - .offset:         80
        .size:           8
        .value_kind:     by_value
      - .address_space:  global
        .offset:         88
        .size:           8
        .value_kind:     global_buffer
      - .offset:         96
        .size:           8
        .value_kind:     by_value
      - .address_space:  global
        .offset:         104
        .size:           8
        .value_kind:     global_buffer
      - .offset:         112
        .size:           4
        .value_kind:     by_value
      - .offset:         120
        .size:           4
        .value_kind:     hidden_block_count_x
      - .offset:         124
        .size:           4
        .value_kind:     hidden_block_count_y
      - .offset:         128
        .size:           4
        .value_kind:     hidden_block_count_z
      - .offset:         132
        .size:           2
        .value_kind:     hidden_group_size_x
      - .offset:         134
        .size:           2
        .value_kind:     hidden_group_size_y
      - .offset:         136
        .size:           2
        .value_kind:     hidden_group_size_z
      - .offset:         138
        .size:           2
        .value_kind:     hidden_remainder_x
      - .offset:         140
        .size:           2
        .value_kind:     hidden_remainder_y
      - .offset:         142
        .size:           2
        .value_kind:     hidden_remainder_z
      - .offset:         160
        .size:           8
        .value_kind:     hidden_global_offset_x
      - .offset:         168
        .size:           8
        .value_kind:     hidden_global_offset_y
      - .offset:         176
        .size:           8
        .value_kind:     hidden_global_offset_z
      - .offset:         184
        .size:           2
        .value_kind:     hidden_grid_dims
    .group_segment_fixed_size: 9600
    .kernarg_segment_align: 8
    .kernarg_segment_size: 376
    .language:       OpenCL C
    .language_version:
      - 2
      - 0
    .max_flat_workgroup_size: 256
    .name:           _ZL26rocblas_hemvn_kernel_upperILb0ELi64ELi4ELi33ELi32ELi16EiPKdS1_PdEviT6_lT7_lT5_lS4_lS5_lS3_lT8_i
    .private_segment_fixed_size: 0
    .sgpr_count:     106
    .sgpr_spill_count: 0
    .symbol:         _ZL26rocblas_hemvn_kernel_upperILb0ELi64ELi4ELi33ELi32ELi16EiPKdS1_PdEviT6_lT7_lT5_lS4_lS5_lS3_lT8_i.kd
    .uniform_work_group_size: 1
    .uses_dynamic_stack: false
    .vgpr_count:     193
    .vgpr_spill_count: 0
    .wavefront_size: 32
    .workgroup_processor_mode: 1
  - .args:
      - .offset:         0
        .size:           4
        .value_kind:     by_value
      - .address_space:  global
        .offset:         8
        .size:           8
        .value_kind:     global_buffer
      - .offset:         16
        .size:           8
        .value_kind:     by_value
      - .address_space:  global
        .offset:         24
        .size:           8
        .value_kind:     global_buffer
      - .offset:         32
        .size:           8
        .value_kind:     by_value
      - .address_space:  global
        .offset:         40
        .size:           8
        .value_kind:     global_buffer
      - .offset:         48
        .size:           8
        .value_kind:     by_value
      - .offset:         56
        .size:           4
        .value_kind:     by_value
      - .offset:         64
        .size:           8
        .value_kind:     by_value
      - .address_space:  global
        .offset:         72
        .size:           8
        .value_kind:     global_buffer
      - .offset:         80
        .size:           4
        .value_kind:     by_value
      - .offset:         88
        .size:           4
        .value_kind:     hidden_block_count_x
      - .offset:         92
        .size:           4
        .value_kind:     hidden_block_count_y
      - .offset:         96
        .size:           4
        .value_kind:     hidden_block_count_z
      - .offset:         100
        .size:           2
        .value_kind:     hidden_group_size_x
      - .offset:         102
        .size:           2
        .value_kind:     hidden_group_size_y
      - .offset:         104
        .size:           2
        .value_kind:     hidden_group_size_z
      - .offset:         106
        .size:           2
        .value_kind:     hidden_remainder_x
      - .offset:         108
        .size:           2
        .value_kind:     hidden_remainder_y
      - .offset:         110
        .size:           2
        .value_kind:     hidden_remainder_z
      - .offset:         128
        .size:           8
        .value_kind:     hidden_global_offset_x
      - .offset:         136
        .size:           8
        .value_kind:     hidden_global_offset_y
      - .offset:         144
        .size:           8
        .value_kind:     hidden_global_offset_z
      - .offset:         152
        .size:           2
        .value_kind:     hidden_grid_dims
    .group_segment_fixed_size: 0
    .kernarg_segment_align: 8
    .kernarg_segment_size: 344
    .language:       OpenCL C
    .language_version:
      - 2
      - 0
    .max_flat_workgroup_size: 64
    .name:           _ZL36rocblas_hemvn_kernel_upper_block_sumILi64EiPKdPddEviT1_lS3_lT2_lT0_lPT3_i
    .private_segment_fixed_size: 0
    .sgpr_count:     34
    .sgpr_spill_count: 0
    .symbol:         _ZL36rocblas_hemvn_kernel_upper_block_sumILi64EiPKdPddEviT1_lS3_lT2_lT0_lPT3_i.kd
    .uniform_work_group_size: 1
    .uses_dynamic_stack: false
    .vgpr_count:     10
    .vgpr_spill_count: 0
    .wavefront_size: 32
    .workgroup_processor_mode: 1
  - .args:
      - .offset:         0
        .size:           4
        .value_kind:     by_value
      - .offset:         8
        .size:           8
        .value_kind:     by_value
      - .offset:         16
        .size:           8
        .value_kind:     by_value
      - .address_space:  global
        .offset:         24
        .size:           8
        .value_kind:     global_buffer
      - .offset:         32
        .size:           8
        .value_kind:     by_value
      - .offset:         40
        .size:           8
        .value_kind:     by_value
      - .offset:         48
        .size:           8
        .value_kind:     by_value
      - .address_space:  global
        .offset:         56
        .size:           8
        .value_kind:     global_buffer
      - .offset:         64
        .size:           8
        .value_kind:     by_value
      - .offset:         72
        .size:           8
        .value_kind:     by_value
      - .offset:         80
        .size:           8
        .value_kind:     by_value
      - .offset:         88
        .size:           8
        .value_kind:     by_value
      - .offset:         96
        .size:           8
        .value_kind:     by_value
      - .address_space:  global
        .offset:         104
        .size:           8
        .value_kind:     global_buffer
      - .offset:         112
        .size:           4
        .value_kind:     by_value
      - .offset:         120
        .size:           4
        .value_kind:     hidden_block_count_x
      - .offset:         124
        .size:           4
        .value_kind:     hidden_block_count_y
      - .offset:         128
        .size:           4
        .value_kind:     hidden_block_count_z
      - .offset:         132
        .size:           2
        .value_kind:     hidden_group_size_x
      - .offset:         134
        .size:           2
        .value_kind:     hidden_group_size_y
      - .offset:         136
        .size:           2
        .value_kind:     hidden_group_size_z
      - .offset:         138
        .size:           2
        .value_kind:     hidden_remainder_x
      - .offset:         140
        .size:           2
        .value_kind:     hidden_remainder_y
      - .offset:         142
        .size:           2
        .value_kind:     hidden_remainder_z
      - .offset:         160
        .size:           8
        .value_kind:     hidden_global_offset_x
      - .offset:         168
        .size:           8
        .value_kind:     hidden_global_offset_y
      - .offset:         176
        .size:           8
        .value_kind:     hidden_global_offset_z
      - .offset:         184
        .size:           2
        .value_kind:     hidden_grid_dims
    .group_segment_fixed_size: 9600
    .kernarg_segment_align: 8
    .kernarg_segment_size: 376
    .language:       OpenCL C
    .language_version:
      - 2
      - 0
    .max_flat_workgroup_size: 256
    .name:           _ZL26rocblas_hemvn_kernel_upperILb0ELi64ELi4ELi33ELi32ELi16EldPKdPdEviT6_lT7_lT5_lS4_lS5_lS3_lT8_i
    .private_segment_fixed_size: 0
    .sgpr_count:     70
    .sgpr_spill_count: 0
    .symbol:         _ZL26rocblas_hemvn_kernel_upperILb0ELi64ELi4ELi33ELi32ELi16EldPKdPdEviT6_lT7_lT5_lS4_lS5_lS3_lT8_i.kd
    .uniform_work_group_size: 1
    .uses_dynamic_stack: false
    .vgpr_count:     211
    .vgpr_spill_count: 0
    .wavefront_size: 32
    .workgroup_processor_mode: 1
  - .args:
      - .offset:         0
        .size:           4
        .value_kind:     by_value
      - .offset:         8
        .size:           8
        .value_kind:     by_value
      - .offset:         16
        .size:           8
        .value_kind:     by_value
      - .offset:         24
        .size:           8
        .value_kind:     by_value
      - .offset:         32
        .size:           8
        .value_kind:     by_value
      - .address_space:  global
        .offset:         40
        .size:           8
        .value_kind:     global_buffer
      - .offset:         48
        .size:           8
        .value_kind:     by_value
      - .offset:         56
        .size:           8
        .value_kind:     by_value
      - .offset:         64
        .size:           8
        .value_kind:     by_value
      - .address_space:  global
        .offset:         72
        .size:           8
        .value_kind:     global_buffer
      - .offset:         80
        .size:           4
        .value_kind:     by_value
      - .offset:         88
        .size:           4
        .value_kind:     hidden_block_count_x
      - .offset:         92
        .size:           4
        .value_kind:     hidden_block_count_y
      - .offset:         96
        .size:           4
        .value_kind:     hidden_block_count_z
      - .offset:         100
        .size:           2
        .value_kind:     hidden_group_size_x
      - .offset:         102
        .size:           2
        .value_kind:     hidden_group_size_y
      - .offset:         104
        .size:           2
        .value_kind:     hidden_group_size_z
      - .offset:         106
        .size:           2
        .value_kind:     hidden_remainder_x
      - .offset:         108
        .size:           2
        .value_kind:     hidden_remainder_y
      - .offset:         110
        .size:           2
        .value_kind:     hidden_remainder_z
      - .offset:         128
        .size:           8
        .value_kind:     hidden_global_offset_x
      - .offset:         136
        .size:           8
        .value_kind:     hidden_global_offset_y
      - .offset:         144
        .size:           8
        .value_kind:     hidden_global_offset_z
      - .offset:         152
        .size:           2
        .value_kind:     hidden_grid_dims
    .group_segment_fixed_size: 0
    .kernarg_segment_align: 8
    .kernarg_segment_size: 344
    .language:       OpenCL C
    .language_version:
      - 2
      - 0
    .max_flat_workgroup_size: 64
    .name:           _ZL36rocblas_hemvn_kernel_upper_block_sumILi64EldPddEviT1_lS1_lT2_lT0_lPT3_i
    .private_segment_fixed_size: 0
    .sgpr_count:     30
    .sgpr_spill_count: 0
    .symbol:         _ZL36rocblas_hemvn_kernel_upper_block_sumILi64EldPddEviT1_lS1_lT2_lT0_lPT3_i.kd
    .uniform_work_group_size: 1
    .uses_dynamic_stack: false
    .vgpr_count:     10
    .vgpr_spill_count: 0
    .wavefront_size: 32
    .workgroup_processor_mode: 1
  - .args:
      - .offset:         0
        .size:           4
        .value_kind:     by_value
      - .offset:         8
        .size:           8
        .value_kind:     by_value
      - .offset:         16
        .size:           8
        .value_kind:     by_value
      - .address_space:  global
        .offset:         24
        .size:           8
        .value_kind:     global_buffer
      - .offset:         32
        .size:           8
        .value_kind:     by_value
      - .offset:         40
        .size:           4
        .value_kind:     by_value
      - .offset:         48
        .size:           8
        .value_kind:     by_value
      - .address_space:  global
        .offset:         56
        .size:           8
        .value_kind:     global_buffer
      - .offset:         64
        .size:           8
        .value_kind:     by_value
      - .offset:         72
        .size:           4
        .value_kind:     by_value
      - .offset:         80
        .size:           8
        .value_kind:     by_value
      - .offset:         88
        .size:           8
        .value_kind:     by_value
      - .offset:         96
        .size:           8
        .value_kind:     by_value
      - .address_space:  global
        .offset:         104
        .size:           8
        .value_kind:     global_buffer
      - .offset:         112
        .size:           4
        .value_kind:     by_value
      - .offset:         120
        .size:           4
        .value_kind:     hidden_block_count_x
      - .offset:         124
        .size:           4
        .value_kind:     hidden_block_count_y
      - .offset:         128
        .size:           4
        .value_kind:     hidden_block_count_z
      - .offset:         132
        .size:           2
        .value_kind:     hidden_group_size_x
      - .offset:         134
        .size:           2
        .value_kind:     hidden_group_size_y
      - .offset:         136
        .size:           2
        .value_kind:     hidden_group_size_z
      - .offset:         138
        .size:           2
        .value_kind:     hidden_remainder_x
      - .offset:         140
        .size:           2
        .value_kind:     hidden_remainder_y
      - .offset:         142
        .size:           2
        .value_kind:     hidden_remainder_z
      - .offset:         160
        .size:           8
        .value_kind:     hidden_global_offset_x
      - .offset:         168
        .size:           8
        .value_kind:     hidden_global_offset_y
      - .offset:         176
        .size:           8
        .value_kind:     hidden_global_offset_z
      - .offset:         184
        .size:           2
        .value_kind:     hidden_grid_dims
    .group_segment_fixed_size: 9600
    .kernarg_segment_align: 8
    .kernarg_segment_size: 376
    .language:       OpenCL C
    .language_version:
      - 2
      - 0
    .max_flat_workgroup_size: 256
    .name:           _ZL26rocblas_hemvn_kernel_upperILb0ELi64ELi4ELi33ELi32ELi16EidPKdPdEviT6_lT7_lT5_lS4_lS5_lS3_lT8_i
    .private_segment_fixed_size: 0
    .sgpr_count:     102
    .sgpr_spill_count: 0
    .symbol:         _ZL26rocblas_hemvn_kernel_upperILb0ELi64ELi4ELi33ELi32ELi16EidPKdPdEviT6_lT7_lT5_lS4_lS5_lS3_lT8_i.kd
    .uniform_work_group_size: 1
    .uses_dynamic_stack: false
    .vgpr_count:     192
    .vgpr_spill_count: 0
    .wavefront_size: 32
    .workgroup_processor_mode: 1
  - .args:
      - .offset:         0
        .size:           4
        .value_kind:     by_value
      - .offset:         8
        .size:           8
        .value_kind:     by_value
      - .offset:         16
        .size:           8
        .value_kind:     by_value
      - .offset:         24
        .size:           8
        .value_kind:     by_value
      - .offset:         32
        .size:           8
        .value_kind:     by_value
      - .address_space:  global
        .offset:         40
        .size:           8
        .value_kind:     global_buffer
      - .offset:         48
        .size:           8
        .value_kind:     by_value
      - .offset:         56
        .size:           4
        .value_kind:     by_value
      - .offset:         64
        .size:           8
        .value_kind:     by_value
      - .address_space:  global
        .offset:         72
        .size:           8
        .value_kind:     global_buffer
      - .offset:         80
        .size:           4
        .value_kind:     by_value
      - .offset:         88
        .size:           4
        .value_kind:     hidden_block_count_x
      - .offset:         92
        .size:           4
        .value_kind:     hidden_block_count_y
      - .offset:         96
        .size:           4
        .value_kind:     hidden_block_count_z
      - .offset:         100
        .size:           2
        .value_kind:     hidden_group_size_x
      - .offset:         102
        .size:           2
        .value_kind:     hidden_group_size_y
      - .offset:         104
        .size:           2
        .value_kind:     hidden_group_size_z
      - .offset:         106
        .size:           2
        .value_kind:     hidden_remainder_x
      - .offset:         108
        .size:           2
        .value_kind:     hidden_remainder_y
      - .offset:         110
        .size:           2
        .value_kind:     hidden_remainder_z
      - .offset:         128
        .size:           8
        .value_kind:     hidden_global_offset_x
      - .offset:         136
        .size:           8
        .value_kind:     hidden_global_offset_y
      - .offset:         144
        .size:           8
        .value_kind:     hidden_global_offset_z
      - .offset:         152
        .size:           2
        .value_kind:     hidden_grid_dims
    .group_segment_fixed_size: 0
    .kernarg_segment_align: 8
    .kernarg_segment_size: 344
    .language:       OpenCL C
    .language_version:
      - 2
      - 0
    .max_flat_workgroup_size: 64
    .name:           _ZL36rocblas_hemvn_kernel_upper_block_sumILi64EidPddEviT1_lS1_lT2_lT0_lPT3_i
    .private_segment_fixed_size: 0
    .sgpr_count:     30
    .sgpr_spill_count: 0
    .symbol:         _ZL36rocblas_hemvn_kernel_upper_block_sumILi64EidPddEviT1_lS1_lT2_lT0_lPT3_i.kd
    .uniform_work_group_size: 1
    .uses_dynamic_stack: false
    .vgpr_count:     10
    .vgpr_spill_count: 0
    .wavefront_size: 32
    .workgroup_processor_mode: 1
  - .args:
      - .offset:         0
        .size:           1
        .value_kind:     by_value
      - .offset:         4
        .size:           4
        .value_kind:     by_value
      - .offset:         8
        .size:           8
        .value_kind:     by_value
      - .offset:         16
        .size:           8
        .value_kind:     by_value
      - .address_space:  global
        .offset:         24
        .size:           8
        .value_kind:     global_buffer
      - .offset:         32
        .size:           8
        .value_kind:     by_value
      - .offset:         40
        .size:           8
        .value_kind:     by_value
      - .offset:         48
        .size:           8
        .value_kind:     by_value
      - .address_space:  global
        .offset:         56
        .size:           8
        .value_kind:     global_buffer
      - .offset:         64
        .size:           8
        .value_kind:     by_value
      - .offset:         72
        .size:           8
        .value_kind:     by_value
      - .offset:         80
        .size:           8
        .value_kind:     by_value
      - .offset:         88
        .size:           8
        .value_kind:     by_value
      - .offset:         96
        .size:           8
        .value_kind:     by_value
      - .address_space:  global
        .offset:         104
        .size:           8
        .value_kind:     global_buffer
      - .offset:         112
        .size:           8
        .value_kind:     by_value
      - .offset:         120
        .size:           8
        .value_kind:     by_value
      - .offset:         128
        .size:           8
        .value_kind:     by_value
      - .offset:         136
        .size:           4
        .value_kind:     by_value
    .group_segment_fixed_size: 10496
    .kernarg_segment_align: 8
    .kernarg_segment_size: 140
    .language:       OpenCL C
    .language_version:
      - 2
      - 0
    .max_flat_workgroup_size: 128
    .name:           _ZL50rocblas_symv_kernel_lower_double_buffered_diagonalILi32ELi4E24rocblas_internal_val_ptrIdEPKdPdEvbiT1_lT2_lllS6_lllS5_lT3_llli
    .private_segment_fixed_size: 24
    .sgpr_count:     42
    .sgpr_spill_count: 0
    .symbol:         _ZL50rocblas_symv_kernel_lower_double_buffered_diagonalILi32ELi4E24rocblas_internal_val_ptrIdEPKdPdEvbiT1_lT2_lllS6_lllS5_lT3_llli.kd
    .uniform_work_group_size: 1
    .uses_dynamic_stack: false
    .vgpr_count:     39
    .vgpr_spill_count: 0
    .wavefront_size: 32
    .workgroup_processor_mode: 1
  - .args:
      - .offset:         0
        .size:           1
        .value_kind:     by_value
      - .offset:         4
        .size:           4
        .value_kind:     by_value
      - .offset:         8
        .size:           8
        .value_kind:     by_value
      - .offset:         16
        .size:           8
        .value_kind:     by_value
      - .address_space:  global
        .offset:         24
        .size:           8
        .value_kind:     global_buffer
      - .offset:         32
        .size:           8
        .value_kind:     by_value
      - .offset:         40
        .size:           8
        .value_kind:     by_value
      - .offset:         48
        .size:           8
        .value_kind:     by_value
      - .address_space:  global
        .offset:         56
        .size:           8
        .value_kind:     global_buffer
      - .offset:         64
        .size:           8
        .value_kind:     by_value
      - .offset:         72
        .size:           8
        .value_kind:     by_value
      - .offset:         80
        .size:           8
        .value_kind:     by_value
      - .address_space:  global
        .offset:         88
        .size:           8
        .value_kind:     global_buffer
      - .offset:         96
        .size:           8
        .value_kind:     by_value
      - .offset:         104
        .size:           8
        .value_kind:     by_value
      - .offset:         112
        .size:           8
        .value_kind:     by_value
      - .offset:         120
        .size:           4
        .value_kind:     by_value
      - .offset:         128
        .size:           4
        .value_kind:     hidden_block_count_x
      - .offset:         132
        .size:           4
        .value_kind:     hidden_block_count_y
      - .offset:         136
        .size:           4
        .value_kind:     hidden_block_count_z
      - .offset:         140
        .size:           2
        .value_kind:     hidden_group_size_x
      - .offset:         142
        .size:           2
        .value_kind:     hidden_group_size_y
      - .offset:         144
        .size:           2
        .value_kind:     hidden_group_size_z
      - .offset:         146
        .size:           2
        .value_kind:     hidden_remainder_x
      - .offset:         148
        .size:           2
        .value_kind:     hidden_remainder_y
      - .offset:         150
        .size:           2
        .value_kind:     hidden_remainder_z
      - .offset:         168
        .size:           8
        .value_kind:     hidden_global_offset_x
      - .offset:         176
        .size:           8
        .value_kind:     hidden_global_offset_y
      - .offset:         184
        .size:           8
        .value_kind:     hidden_global_offset_z
      - .offset:         192
        .size:           2
        .value_kind:     hidden_grid_dims
    .group_segment_fixed_size: 7424
    .kernarg_segment_align: 8
    .kernarg_segment_size: 384
    .language:       OpenCL C
    .language_version:
      - 2
      - 0
    .max_flat_workgroup_size: 128
    .name:           _ZL54rocblas_symv_kernel_lower_double_buffered_non_diagonalILi32ELi4ELi4E24rocblas_internal_val_ptrIdEPKdPdEvbiT2_lT3_lllS6_lllT4_llli
    .private_segment_fixed_size: 0
    .sgpr_count:     52
    .sgpr_spill_count: 0
    .symbol:         _ZL54rocblas_symv_kernel_lower_double_buffered_non_diagonalILi32ELi4ELi4E24rocblas_internal_val_ptrIdEPKdPdEvbiT2_lT3_lllS6_lllT4_llli.kd
    .uniform_work_group_size: 1
    .uses_dynamic_stack: false
    .vgpr_count:     84
    .vgpr_spill_count: 0
    .wavefront_size: 32
    .workgroup_processor_mode: 1
  - .args:
      - .offset:         0
        .size:           1
        .value_kind:     by_value
      - .offset:         4
        .size:           4
        .value_kind:     by_value
      - .offset:         8
        .size:           8
        .value_kind:     by_value
      - .offset:         16
        .size:           8
        .value_kind:     by_value
      - .address_space:  global
        .offset:         24
        .size:           8
        .value_kind:     global_buffer
      - .offset:         32
        .size:           8
        .value_kind:     by_value
      - .offset:         40
        .size:           8
        .value_kind:     by_value
      - .offset:         48
        .size:           8
        .value_kind:     by_value
      - .address_space:  global
        .offset:         56
        .size:           8
        .value_kind:     global_buffer
      - .offset:         64
        .size:           8
        .value_kind:     by_value
      - .offset:         72
        .size:           8
        .value_kind:     by_value
      - .offset:         80
        .size:           8
        .value_kind:     by_value
      - .offset:         88
        .size:           8
        .value_kind:     by_value
      - .offset:         96
        .size:           8
        .value_kind:     by_value
      - .address_space:  global
        .offset:         104
        .size:           8
        .value_kind:     global_buffer
      - .offset:         112
        .size:           8
        .value_kind:     by_value
      - .offset:         120
        .size:           8
        .value_kind:     by_value
      - .offset:         128
        .size:           8
        .value_kind:     by_value
      - .offset:         136
        .size:           4
        .value_kind:     by_value
      - .offset:         140
        .size:           4
        .value_kind:     by_value
      - .offset:         144
        .size:           4
        .value_kind:     hidden_block_count_x
      - .offset:         148
        .size:           4
        .value_kind:     hidden_block_count_y
      - .offset:         152
        .size:           4
        .value_kind:     hidden_block_count_z
      - .offset:         156
        .size:           2
        .value_kind:     hidden_group_size_x
      - .offset:         158
        .size:           2
        .value_kind:     hidden_group_size_y
      - .offset:         160
        .size:           2
        .value_kind:     hidden_group_size_z
      - .offset:         162
        .size:           2
        .value_kind:     hidden_remainder_x
      - .offset:         164
        .size:           2
        .value_kind:     hidden_remainder_y
      - .offset:         166
        .size:           2
        .value_kind:     hidden_remainder_z
      - .offset:         184
        .size:           8
        .value_kind:     hidden_global_offset_x
      - .offset:         192
        .size:           8
        .value_kind:     hidden_global_offset_y
      - .offset:         200
        .size:           8
        .value_kind:     hidden_global_offset_z
      - .offset:         208
        .size:           2
        .value_kind:     hidden_grid_dims
    .group_segment_fixed_size: 10496
    .kernarg_segment_align: 8
    .kernarg_segment_size: 400
    .language:       OpenCL C
    .language_version:
      - 2
      - 0
    .max_flat_workgroup_size: 128
    .name:           _ZL58rocblas_symv_kernel_lower_double_buffered_diagonal_genericILi32ELi4E24rocblas_internal_val_ptrIdEPKdPdEvbiT1_lT2_lllS6_lllS5_lT3_lllii
    .private_segment_fixed_size: 24
    .sgpr_count:     52
    .sgpr_spill_count: 0
    .symbol:         _ZL58rocblas_symv_kernel_lower_double_buffered_diagonal_genericILi32ELi4E24rocblas_internal_val_ptrIdEPKdPdEvbiT1_lT2_lllS6_lllS5_lT3_lllii.kd
    .uniform_work_group_size: 1
    .uses_dynamic_stack: false
    .vgpr_count:     47
    .vgpr_spill_count: 0
    .wavefront_size: 32
    .workgroup_processor_mode: 1
  - .args:
      - .offset:         0
        .size:           1
        .value_kind:     by_value
      - .offset:         4
        .size:           4
        .value_kind:     by_value
      - .offset:         8
        .size:           8
        .value_kind:     by_value
      - .offset:         16
        .size:           8
        .value_kind:     by_value
      - .address_space:  global
        .offset:         24
        .size:           8
        .value_kind:     global_buffer
      - .offset:         32
        .size:           8
        .value_kind:     by_value
      - .offset:         40
        .size:           8
        .value_kind:     by_value
      - .offset:         48
        .size:           8
        .value_kind:     by_value
      - .address_space:  global
        .offset:         56
        .size:           8
        .value_kind:     global_buffer
      - .offset:         64
        .size:           8
        .value_kind:     by_value
      - .offset:         72
        .size:           8
        .value_kind:     by_value
      - .offset:         80
        .size:           8
        .value_kind:     by_value
      - .address_space:  global
        .offset:         88
        .size:           8
        .value_kind:     global_buffer
      - .offset:         96
        .size:           8
        .value_kind:     by_value
      - .offset:         104
        .size:           8
        .value_kind:     by_value
      - .offset:         112
        .size:           8
        .value_kind:     by_value
      - .offset:         120
        .size:           4
        .value_kind:     by_value
      - .offset:         124
        .size:           4
        .value_kind:     by_value
      - .offset:         128
        .size:           4
        .value_kind:     hidden_block_count_x
      - .offset:         132
        .size:           4
        .value_kind:     hidden_block_count_y
      - .offset:         136
        .size:           4
        .value_kind:     hidden_block_count_z
      - .offset:         140
        .size:           2
        .value_kind:     hidden_group_size_x
      - .offset:         142
        .size:           2
        .value_kind:     hidden_group_size_y
      - .offset:         144
        .size:           2
        .value_kind:     hidden_group_size_z
      - .offset:         146
        .size:           2
        .value_kind:     hidden_remainder_x
      - .offset:         148
        .size:           2
        .value_kind:     hidden_remainder_y
      - .offset:         150
        .size:           2
        .value_kind:     hidden_remainder_z
      - .offset:         168
        .size:           8
        .value_kind:     hidden_global_offset_x
      - .offset:         176
        .size:           8
        .value_kind:     hidden_global_offset_y
      - .offset:         184
        .size:           8
        .value_kind:     hidden_global_offset_z
      - .offset:         192
        .size:           2
        .value_kind:     hidden_grid_dims
    .group_segment_fixed_size: 7424
    .kernarg_segment_align: 8
    .kernarg_segment_size: 384
    .language:       OpenCL C
    .language_version:
      - 2
      - 0
    .max_flat_workgroup_size: 128
    .name:           _ZL62rocblas_symv_kernel_lower_double_buffered_non_diagonal_genericILi32ELi4ELi4E24rocblas_internal_val_ptrIdEPKdPdEvbiT2_lT3_lllS6_lllT4_lllii
    .private_segment_fixed_size: 0
    .sgpr_count:     64
    .sgpr_spill_count: 0
    .symbol:         _ZL62rocblas_symv_kernel_lower_double_buffered_non_diagonal_genericILi32ELi4ELi4E24rocblas_internal_val_ptrIdEPKdPdEvbiT2_lT3_lllS6_lllT4_lllii.kd
    .uniform_work_group_size: 1
    .uses_dynamic_stack: false
    .vgpr_count:     86
    .vgpr_spill_count: 0
    .wavefront_size: 32
    .workgroup_processor_mode: 1
  - .args:
      - .offset:         0
        .size:           4
        .value_kind:     by_value
      - .address_space:  global
        .offset:         8
        .size:           8
        .value_kind:     global_buffer
      - .offset:         16
        .size:           8
        .value_kind:     by_value
      - .address_space:  global
        .offset:         24
        .size:           8
        .value_kind:     global_buffer
      - .offset:         32
        .size:           8
        .value_kind:     by_value
      - .offset:         40
        .size:           8
        .value_kind:     by_value
      - .offset:         48
        .size:           8
        .value_kind:     by_value
      - .address_space:  global
        .offset:         56
        .size:           8
        .value_kind:     global_buffer
      - .offset:         64
        .size:           8
        .value_kind:     by_value
      - .offset:         72
        .size:           8
        .value_kind:     by_value
      - .offset:         80
        .size:           8
        .value_kind:     by_value
      - .address_space:  global
        .offset:         88
        .size:           8
        .value_kind:     global_buffer
      - .offset:         96
        .size:           8
        .value_kind:     by_value
      - .address_space:  global
        .offset:         104
        .size:           8
        .value_kind:     global_buffer
      - .offset:         112
        .size:           4
        .value_kind:     by_value
      - .offset:         120
        .size:           4
        .value_kind:     hidden_block_count_x
      - .offset:         124
        .size:           4
        .value_kind:     hidden_block_count_y
      - .offset:         128
        .size:           4
        .value_kind:     hidden_block_count_z
      - .offset:         132
        .size:           2
        .value_kind:     hidden_group_size_x
      - .offset:         134
        .size:           2
        .value_kind:     hidden_group_size_y
      - .offset:         136
        .size:           2
        .value_kind:     hidden_group_size_z
      - .offset:         138
        .size:           2
        .value_kind:     hidden_remainder_x
      - .offset:         140
        .size:           2
        .value_kind:     hidden_remainder_y
      - .offset:         142
        .size:           2
        .value_kind:     hidden_remainder_z
      - .offset:         160
        .size:           8
        .value_kind:     hidden_global_offset_x
      - .offset:         168
        .size:           8
        .value_kind:     hidden_global_offset_y
      - .offset:         176
        .size:           8
        .value_kind:     hidden_global_offset_z
      - .offset:         184
        .size:           2
        .value_kind:     hidden_grid_dims
    .group_segment_fixed_size: 9600
    .kernarg_segment_align: 8
    .kernarg_segment_size: 376
    .language:       OpenCL C
    .language_version:
      - 2
      - 0
    .max_flat_workgroup_size: 256
    .name:           _ZL26rocblas_hemvn_kernel_lowerILb0ELi64ELi4ELi33ELi32ELi16ElPKdS1_PdEviT6_lT7_lT5_lS4_lS5_lS3_lT8_i
    .private_segment_fixed_size: 0
    .sgpr_count:     102
    .sgpr_spill_count: 0
    .symbol:         _ZL26rocblas_hemvn_kernel_lowerILb0ELi64ELi4ELi33ELi32ELi16ElPKdS1_PdEviT6_lT7_lT5_lS4_lS5_lS3_lT8_i.kd
    .uniform_work_group_size: 1
    .uses_dynamic_stack: false
    .vgpr_count:     119
    .vgpr_spill_count: 0
    .wavefront_size: 32
    .workgroup_processor_mode: 1
  - .args:
      - .offset:         0
        .size:           4
        .value_kind:     by_value
      - .address_space:  global
        .offset:         8
        .size:           8
        .value_kind:     global_buffer
      - .offset:         16
        .size:           8
        .value_kind:     by_value
      - .address_space:  global
        .offset:         24
        .size:           8
        .value_kind:     global_buffer
      - .offset:         32
        .size:           8
        .value_kind:     by_value
      - .address_space:  global
        .offset:         40
        .size:           8
        .value_kind:     global_buffer
      - .offset:         48
        .size:           8
        .value_kind:     by_value
      - .offset:         56
        .size:           8
        .value_kind:     by_value
      - .offset:         64
        .size:           8
        .value_kind:     by_value
      - .actual_access:  read_only
        .address_space:  global
        .offset:         72
        .size:           8
        .value_kind:     global_buffer
      - .offset:         80
        .size:           4
        .value_kind:     by_value
      - .offset:         88
        .size:           4
        .value_kind:     hidden_block_count_x
      - .offset:         92
        .size:           4
        .value_kind:     hidden_block_count_y
      - .offset:         96
        .size:           4
        .value_kind:     hidden_block_count_z
      - .offset:         100
        .size:           2
        .value_kind:     hidden_group_size_x
      - .offset:         102
        .size:           2
        .value_kind:     hidden_group_size_y
      - .offset:         104
        .size:           2
        .value_kind:     hidden_group_size_z
      - .offset:         106
        .size:           2
        .value_kind:     hidden_remainder_x
      - .offset:         108
        .size:           2
        .value_kind:     hidden_remainder_y
      - .offset:         110
        .size:           2
        .value_kind:     hidden_remainder_z
      - .offset:         128
        .size:           8
        .value_kind:     hidden_global_offset_x
      - .offset:         136
        .size:           8
        .value_kind:     hidden_global_offset_y
      - .offset:         144
        .size:           8
        .value_kind:     hidden_global_offset_z
      - .offset:         152
        .size:           2
        .value_kind:     hidden_grid_dims
    .group_segment_fixed_size: 0
    .kernarg_segment_align: 8
    .kernarg_segment_size: 344
    .language:       OpenCL C
    .language_version:
      - 2
      - 0
    .max_flat_workgroup_size: 64
    .name:           _ZL36rocblas_hemvn_kernel_lower_block_sumILi64ElPKdPddEviT1_lS3_lT2_lT0_lPT3_i
    .private_segment_fixed_size: 0
    .sgpr_count:     38
    .sgpr_spill_count: 0
    .symbol:         _ZL36rocblas_hemvn_kernel_lower_block_sumILi64ElPKdPddEviT1_lS3_lT2_lT0_lPT3_i.kd
    .uniform_work_group_size: 1
    .uses_dynamic_stack: false
    .vgpr_count:     10
    .vgpr_spill_count: 0
    .wavefront_size: 32
    .workgroup_processor_mode: 1
  - .args:
      - .offset:         0
        .size:           4
        .value_kind:     by_value
      - .address_space:  global
        .offset:         8
        .size:           8
        .value_kind:     global_buffer
      - .offset:         16
        .size:           8
        .value_kind:     by_value
      - .address_space:  global
        .offset:         24
        .size:           8
        .value_kind:     global_buffer
      - .offset:         32
        .size:           8
        .value_kind:     by_value
      - .offset:         40
        .size:           4
        .value_kind:     by_value
      - .offset:         48
        .size:           8
        .value_kind:     by_value
      - .address_space:  global
        .offset:         56
        .size:           8
        .value_kind:     global_buffer
      - .offset:         64
        .size:           8
        .value_kind:     by_value
      - .offset:         72
        .size:           4
        .value_kind:     by_value
      - .offset:         80
        .size:           8
        .value_kind:     by_value
      - .address_space:  global
        .offset:         88
        .size:           8
        .value_kind:     global_buffer
      - .offset:         96
        .size:           8
        .value_kind:     by_value
      - .address_space:  global
        .offset:         104
        .size:           8
        .value_kind:     global_buffer
      - .offset:         112
        .size:           4
        .value_kind:     by_value
      - .offset:         120
        .size:           4
        .value_kind:     hidden_block_count_x
      - .offset:         124
        .size:           4
        .value_kind:     hidden_block_count_y
      - .offset:         128
        .size:           4
        .value_kind:     hidden_block_count_z
      - .offset:         132
        .size:           2
        .value_kind:     hidden_group_size_x
      - .offset:         134
        .size:           2
        .value_kind:     hidden_group_size_y
      - .offset:         136
        .size:           2
        .value_kind:     hidden_group_size_z
      - .offset:         138
        .size:           2
        .value_kind:     hidden_remainder_x
      - .offset:         140
        .size:           2
        .value_kind:     hidden_remainder_y
      - .offset:         142
        .size:           2
        .value_kind:     hidden_remainder_z
      - .offset:         160
        .size:           8
        .value_kind:     hidden_global_offset_x
      - .offset:         168
        .size:           8
        .value_kind:     hidden_global_offset_y
      - .offset:         176
        .size:           8
        .value_kind:     hidden_global_offset_z
      - .offset:         184
        .size:           2
        .value_kind:     hidden_grid_dims
    .group_segment_fixed_size: 9600
    .kernarg_segment_align: 8
    .kernarg_segment_size: 376
    .language:       OpenCL C
    .language_version:
      - 2
      - 0
    .max_flat_workgroup_size: 256
    .name:           _ZL26rocblas_hemvn_kernel_lowerILb0ELi64ELi4ELi33ELi32ELi16EiPKdS1_PdEviT6_lT7_lT5_lS4_lS5_lS3_lT8_i
    .private_segment_fixed_size: 0
    .sgpr_count:     106
    .sgpr_spill_count: 0
    .symbol:         _ZL26rocblas_hemvn_kernel_lowerILb0ELi64ELi4ELi33ELi32ELi16EiPKdS1_PdEviT6_lT7_lT5_lS4_lS5_lS3_lT8_i.kd
    .uniform_work_group_size: 1
    .uses_dynamic_stack: false
    .vgpr_count:     141
    .vgpr_spill_count: 0
    .wavefront_size: 32
    .workgroup_processor_mode: 1
  - .args:
      - .offset:         0
        .size:           4
        .value_kind:     by_value
      - .address_space:  global
        .offset:         8
        .size:           8
        .value_kind:     global_buffer
      - .offset:         16
        .size:           8
        .value_kind:     by_value
      - .address_space:  global
        .offset:         24
        .size:           8
        .value_kind:     global_buffer
      - .offset:         32
        .size:           8
        .value_kind:     by_value
      - .address_space:  global
        .offset:         40
        .size:           8
        .value_kind:     global_buffer
      - .offset:         48
        .size:           8
        .value_kind:     by_value
      - .offset:         56
        .size:           4
        .value_kind:     by_value
      - .offset:         64
        .size:           8
        .value_kind:     by_value
      - .actual_access:  read_only
        .address_space:  global
        .offset:         72
        .size:           8
        .value_kind:     global_buffer
      - .offset:         80
        .size:           4
        .value_kind:     by_value
      - .offset:         88
        .size:           4
        .value_kind:     hidden_block_count_x
      - .offset:         92
        .size:           4
        .value_kind:     hidden_block_count_y
      - .offset:         96
        .size:           4
        .value_kind:     hidden_block_count_z
      - .offset:         100
        .size:           2
        .value_kind:     hidden_group_size_x
      - .offset:         102
        .size:           2
        .value_kind:     hidden_group_size_y
      - .offset:         104
        .size:           2
        .value_kind:     hidden_group_size_z
      - .offset:         106
        .size:           2
        .value_kind:     hidden_remainder_x
      - .offset:         108
        .size:           2
        .value_kind:     hidden_remainder_y
      - .offset:         110
        .size:           2
        .value_kind:     hidden_remainder_z
      - .offset:         128
        .size:           8
        .value_kind:     hidden_global_offset_x
      - .offset:         136
        .size:           8
        .value_kind:     hidden_global_offset_y
      - .offset:         144
        .size:           8
        .value_kind:     hidden_global_offset_z
      - .offset:         152
        .size:           2
        .value_kind:     hidden_grid_dims
    .group_segment_fixed_size: 0
    .kernarg_segment_align: 8
    .kernarg_segment_size: 344
    .language:       OpenCL C
    .language_version:
      - 2
      - 0
    .max_flat_workgroup_size: 64
    .name:           _ZL36rocblas_hemvn_kernel_lower_block_sumILi64EiPKdPddEviT1_lS3_lT2_lT0_lPT3_i
    .private_segment_fixed_size: 0
    .sgpr_count:     38
    .sgpr_spill_count: 0
    .symbol:         _ZL36rocblas_hemvn_kernel_lower_block_sumILi64EiPKdPddEviT1_lS3_lT2_lT0_lPT3_i.kd
    .uniform_work_group_size: 1
    .uses_dynamic_stack: false
    .vgpr_count:     10
    .vgpr_spill_count: 0
    .wavefront_size: 32
    .workgroup_processor_mode: 1
  - .args:
      - .offset:         0
        .size:           4
        .value_kind:     by_value
      - .offset:         8
        .size:           8
        .value_kind:     by_value
      - .offset:         16
        .size:           8
        .value_kind:     by_value
      - .address_space:  global
        .offset:         24
        .size:           8
        .value_kind:     global_buffer
      - .offset:         32
        .size:           8
        .value_kind:     by_value
      - .offset:         40
        .size:           8
        .value_kind:     by_value
      - .offset:         48
        .size:           8
        .value_kind:     by_value
      - .address_space:  global
        .offset:         56
        .size:           8
        .value_kind:     global_buffer
      - .offset:         64
        .size:           8
        .value_kind:     by_value
      - .offset:         72
        .size:           8
        .value_kind:     by_value
      - .offset:         80
        .size:           8
        .value_kind:     by_value
      - .offset:         88
        .size:           8
        .value_kind:     by_value
      - .offset:         96
        .size:           8
        .value_kind:     by_value
      - .address_space:  global
        .offset:         104
        .size:           8
        .value_kind:     global_buffer
      - .offset:         112
        .size:           4
        .value_kind:     by_value
      - .offset:         120
        .size:           4
        .value_kind:     hidden_block_count_x
      - .offset:         124
        .size:           4
        .value_kind:     hidden_block_count_y
      - .offset:         128
        .size:           4
        .value_kind:     hidden_block_count_z
      - .offset:         132
        .size:           2
        .value_kind:     hidden_group_size_x
      - .offset:         134
        .size:           2
        .value_kind:     hidden_group_size_y
      - .offset:         136
        .size:           2
        .value_kind:     hidden_group_size_z
      - .offset:         138
        .size:           2
        .value_kind:     hidden_remainder_x
      - .offset:         140
        .size:           2
        .value_kind:     hidden_remainder_y
      - .offset:         142
        .size:           2
        .value_kind:     hidden_remainder_z
      - .offset:         160
        .size:           8
        .value_kind:     hidden_global_offset_x
      - .offset:         168
        .size:           8
        .value_kind:     hidden_global_offset_y
      - .offset:         176
        .size:           8
        .value_kind:     hidden_global_offset_z
      - .offset:         184
        .size:           2
        .value_kind:     hidden_grid_dims
    .group_segment_fixed_size: 9600
    .kernarg_segment_align: 8
    .kernarg_segment_size: 376
    .language:       OpenCL C
    .language_version:
      - 2
      - 0
    .max_flat_workgroup_size: 256
    .name:           _ZL26rocblas_hemvn_kernel_lowerILb0ELi64ELi4ELi33ELi32ELi16EldPKdPdEviT6_lT7_lT5_lS4_lS5_lS3_lT8_i
    .private_segment_fixed_size: 0
    .sgpr_count:     94
    .sgpr_spill_count: 0
    .symbol:         _ZL26rocblas_hemvn_kernel_lowerILb0ELi64ELi4ELi33ELi32ELi16EldPKdPdEviT6_lT7_lT5_lS4_lS5_lS3_lT8_i.kd
    .uniform_work_group_size: 1
    .uses_dynamic_stack: false
    .vgpr_count:     140
    .vgpr_spill_count: 0
    .wavefront_size: 32
    .workgroup_processor_mode: 1
  - .args:
      - .offset:         0
        .size:           4
        .value_kind:     by_value
      - .offset:         8
        .size:           8
        .value_kind:     by_value
      - .offset:         16
        .size:           8
        .value_kind:     by_value
      - .offset:         24
        .size:           8
        .value_kind:     by_value
      - .offset:         32
        .size:           8
        .value_kind:     by_value
      - .address_space:  global
        .offset:         40
        .size:           8
        .value_kind:     global_buffer
      - .offset:         48
        .size:           8
        .value_kind:     by_value
      - .offset:         56
        .size:           8
        .value_kind:     by_value
      - .offset:         64
        .size:           8
        .value_kind:     by_value
      - .actual_access:  read_only
        .address_space:  global
        .offset:         72
        .size:           8
        .value_kind:     global_buffer
      - .offset:         80
        .size:           4
        .value_kind:     by_value
      - .offset:         88
        .size:           4
        .value_kind:     hidden_block_count_x
      - .offset:         92
        .size:           4
        .value_kind:     hidden_block_count_y
      - .offset:         96
        .size:           4
        .value_kind:     hidden_block_count_z
      - .offset:         100
        .size:           2
        .value_kind:     hidden_group_size_x
      - .offset:         102
        .size:           2
        .value_kind:     hidden_group_size_y
      - .offset:         104
        .size:           2
        .value_kind:     hidden_group_size_z
      - .offset:         106
        .size:           2
        .value_kind:     hidden_remainder_x
      - .offset:         108
        .size:           2
        .value_kind:     hidden_remainder_y
      - .offset:         110
        .size:           2
        .value_kind:     hidden_remainder_z
      - .offset:         128
        .size:           8
        .value_kind:     hidden_global_offset_x
      - .offset:         136
        .size:           8
        .value_kind:     hidden_global_offset_y
      - .offset:         144
        .size:           8
        .value_kind:     hidden_global_offset_z
      - .offset:         152
        .size:           2
        .value_kind:     hidden_grid_dims
    .group_segment_fixed_size: 0
    .kernarg_segment_align: 8
    .kernarg_segment_size: 344
    .language:       OpenCL C
    .language_version:
      - 2
      - 0
    .max_flat_workgroup_size: 64
    .name:           _ZL36rocblas_hemvn_kernel_lower_block_sumILi64EldPddEviT1_lS1_lT2_lT0_lPT3_i
    .private_segment_fixed_size: 0
    .sgpr_count:     32
    .sgpr_spill_count: 0
    .symbol:         _ZL36rocblas_hemvn_kernel_lower_block_sumILi64EldPddEviT1_lS1_lT2_lT0_lPT3_i.kd
    .uniform_work_group_size: 1
    .uses_dynamic_stack: false
    .vgpr_count:     10
    .vgpr_spill_count: 0
    .wavefront_size: 32
    .workgroup_processor_mode: 1
  - .args:
      - .offset:         0
        .size:           4
        .value_kind:     by_value
      - .offset:         8
        .size:           8
        .value_kind:     by_value
      - .offset:         16
        .size:           8
        .value_kind:     by_value
      - .address_space:  global
        .offset:         24
        .size:           8
        .value_kind:     global_buffer
      - .offset:         32
        .size:           8
        .value_kind:     by_value
      - .offset:         40
        .size:           4
        .value_kind:     by_value
      - .offset:         48
        .size:           8
        .value_kind:     by_value
      - .address_space:  global
        .offset:         56
        .size:           8
        .value_kind:     global_buffer
      - .offset:         64
        .size:           8
        .value_kind:     by_value
      - .offset:         72
        .size:           4
        .value_kind:     by_value
      - .offset:         80
        .size:           8
        .value_kind:     by_value
      - .offset:         88
        .size:           8
        .value_kind:     by_value
      - .offset:         96
        .size:           8
        .value_kind:     by_value
      - .address_space:  global
        .offset:         104
        .size:           8
        .value_kind:     global_buffer
      - .offset:         112
        .size:           4
        .value_kind:     by_value
      - .offset:         120
        .size:           4
        .value_kind:     hidden_block_count_x
      - .offset:         124
        .size:           4
        .value_kind:     hidden_block_count_y
      - .offset:         128
        .size:           4
        .value_kind:     hidden_block_count_z
      - .offset:         132
        .size:           2
        .value_kind:     hidden_group_size_x
      - .offset:         134
        .size:           2
        .value_kind:     hidden_group_size_y
      - .offset:         136
        .size:           2
        .value_kind:     hidden_group_size_z
      - .offset:         138
        .size:           2
        .value_kind:     hidden_remainder_x
      - .offset:         140
        .size:           2
        .value_kind:     hidden_remainder_y
      - .offset:         142
        .size:           2
        .value_kind:     hidden_remainder_z
      - .offset:         160
        .size:           8
        .value_kind:     hidden_global_offset_x
      - .offset:         168
        .size:           8
        .value_kind:     hidden_global_offset_y
      - .offset:         176
        .size:           8
        .value_kind:     hidden_global_offset_z
      - .offset:         184
        .size:           2
        .value_kind:     hidden_grid_dims
    .group_segment_fixed_size: 9600
    .kernarg_segment_align: 8
    .kernarg_segment_size: 376
    .language:       OpenCL C
    .language_version:
      - 2
      - 0
    .max_flat_workgroup_size: 256
    .name:           _ZL26rocblas_hemvn_kernel_lowerILb0ELi64ELi4ELi33ELi32ELi16EidPKdPdEviT6_lT7_lT5_lS4_lS5_lS3_lT8_i
    .private_segment_fixed_size: 0
    .sgpr_count:     98
    .sgpr_spill_count: 0
    .symbol:         _ZL26rocblas_hemvn_kernel_lowerILb0ELi64ELi4ELi33ELi32ELi16EidPKdPdEviT6_lT7_lT5_lS4_lS5_lS3_lT8_i.kd
    .uniform_work_group_size: 1
    .uses_dynamic_stack: false
    .vgpr_count:     142
    .vgpr_spill_count: 0
    .wavefront_size: 32
    .workgroup_processor_mode: 1
  - .args:
      - .offset:         0
        .size:           4
        .value_kind:     by_value
      - .offset:         8
        .size:           8
        .value_kind:     by_value
      - .offset:         16
        .size:           8
        .value_kind:     by_value
      - .offset:         24
        .size:           8
        .value_kind:     by_value
      - .offset:         32
        .size:           8
        .value_kind:     by_value
      - .address_space:  global
        .offset:         40
        .size:           8
        .value_kind:     global_buffer
      - .offset:         48
        .size:           8
        .value_kind:     by_value
      - .offset:         56
        .size:           4
        .value_kind:     by_value
      - .offset:         64
        .size:           8
        .value_kind:     by_value
      - .actual_access:  read_only
        .address_space:  global
        .offset:         72
        .size:           8
        .value_kind:     global_buffer
      - .offset:         80
        .size:           4
        .value_kind:     by_value
      - .offset:         88
        .size:           4
        .value_kind:     hidden_block_count_x
      - .offset:         92
        .size:           4
        .value_kind:     hidden_block_count_y
      - .offset:         96
        .size:           4
        .value_kind:     hidden_block_count_z
      - .offset:         100
        .size:           2
        .value_kind:     hidden_group_size_x
      - .offset:         102
        .size:           2
        .value_kind:     hidden_group_size_y
      - .offset:         104
        .size:           2
        .value_kind:     hidden_group_size_z
      - .offset:         106
        .size:           2
        .value_kind:     hidden_remainder_x
      - .offset:         108
        .size:           2
        .value_kind:     hidden_remainder_y
      - .offset:         110
        .size:           2
        .value_kind:     hidden_remainder_z
      - .offset:         128
        .size:           8
        .value_kind:     hidden_global_offset_x
      - .offset:         136
        .size:           8
        .value_kind:     hidden_global_offset_y
      - .offset:         144
        .size:           8
        .value_kind:     hidden_global_offset_z
      - .offset:         152
        .size:           2
        .value_kind:     hidden_grid_dims
    .group_segment_fixed_size: 0
    .kernarg_segment_align: 8
    .kernarg_segment_size: 344
    .language:       OpenCL C
    .language_version:
      - 2
      - 0
    .max_flat_workgroup_size: 64
    .name:           _ZL36rocblas_hemvn_kernel_lower_block_sumILi64EidPddEviT1_lS1_lT2_lT0_lPT3_i
    .private_segment_fixed_size: 0
    .sgpr_count:     32
    .sgpr_spill_count: 0
    .symbol:         _ZL36rocblas_hemvn_kernel_lower_block_sumILi64EidPddEviT1_lS1_lT2_lT0_lPT3_i.kd
    .uniform_work_group_size: 1
    .uses_dynamic_stack: false
    .vgpr_count:     10
    .vgpr_spill_count: 0
    .wavefront_size: 32
    .workgroup_processor_mode: 1
  - .args:
      - .offset:         0
        .size:           4
        .value_kind:     by_value
      - .address_space:  global
        .offset:         8
        .size:           8
        .value_kind:     global_buffer
      - .offset:         16
        .size:           8
        .value_kind:     by_value
      - .address_space:  global
        .offset:         24
        .size:           8
        .value_kind:     global_buffer
      - .offset:         32
        .size:           8
        .value_kind:     by_value
      - .offset:         40
        .size:           8
        .value_kind:     by_value
      - .offset:         48
        .size:           8
        .value_kind:     by_value
      - .address_space:  global
        .offset:         56
        .size:           8
        .value_kind:     global_buffer
      - .offset:         64
        .size:           8
        .value_kind:     by_value
      - .offset:         72
        .size:           8
        .value_kind:     by_value
      - .offset:         80
        .size:           8
        .value_kind:     by_value
      - .address_space:  global
        .offset:         88
        .size:           8
        .value_kind:     global_buffer
      - .offset:         96
        .size:           8
        .value_kind:     by_value
      - .address_space:  global
        .offset:         104
        .size:           8
        .value_kind:     global_buffer
      - .offset:         112
        .size:           4
        .value_kind:     by_value
      - .offset:         120
        .size:           4
        .value_kind:     hidden_block_count_x
      - .offset:         124
        .size:           4
        .value_kind:     hidden_block_count_y
      - .offset:         128
        .size:           4
        .value_kind:     hidden_block_count_z
      - .offset:         132
        .size:           2
        .value_kind:     hidden_group_size_x
      - .offset:         134
        .size:           2
        .value_kind:     hidden_group_size_y
      - .offset:         136
        .size:           2
        .value_kind:     hidden_group_size_z
      - .offset:         138
        .size:           2
        .value_kind:     hidden_remainder_x
      - .offset:         140
        .size:           2
        .value_kind:     hidden_remainder_y
      - .offset:         142
        .size:           2
        .value_kind:     hidden_remainder_z
      - .offset:         160
        .size:           8
        .value_kind:     hidden_global_offset_x
      - .offset:         168
        .size:           8
        .value_kind:     hidden_global_offset_y
      - .offset:         176
        .size:           8
        .value_kind:     hidden_global_offset_z
      - .offset:         184
        .size:           2
        .value_kind:     hidden_grid_dims
    .group_segment_fixed_size: 9600
    .kernarg_segment_align: 8
    .kernarg_segment_size: 376
    .language:       OpenCL C
    .language_version:
      - 2
      - 0
    .max_flat_workgroup_size: 256
    .name:           _ZL26rocblas_hemvn_kernel_upperILb0ELi64ELi4ELi33ELi32ELi16ElPK19rocblas_complex_numIfES3_PS1_EviT6_lT7_lT5_lS6_lS7_lS5_lT8_i
    .private_segment_fixed_size: 0
    .sgpr_count:     76
    .sgpr_spill_count: 0
    .symbol:         _ZL26rocblas_hemvn_kernel_upperILb0ELi64ELi4ELi33ELi32ELi16ElPK19rocblas_complex_numIfES3_PS1_EviT6_lT7_lT5_lS6_lS7_lS5_lT8_i.kd
    .uniform_work_group_size: 1
    .uses_dynamic_stack: false
    .vgpr_count:     211
    .vgpr_spill_count: 0
    .wavefront_size: 32
    .workgroup_processor_mode: 1
  - .args:
      - .offset:         0
        .size:           4
        .value_kind:     by_value
      - .address_space:  global
        .offset:         8
        .size:           8
        .value_kind:     global_buffer
      - .offset:         16
        .size:           8
        .value_kind:     by_value
      - .address_space:  global
        .offset:         24
        .size:           8
        .value_kind:     global_buffer
      - .offset:         32
        .size:           8
        .value_kind:     by_value
      - .offset:         40
        .size:           4
        .value_kind:     by_value
      - .offset:         48
        .size:           8
        .value_kind:     by_value
      - .address_space:  global
        .offset:         56
        .size:           8
        .value_kind:     global_buffer
      - .offset:         64
        .size:           8
        .value_kind:     by_value
      - .offset:         72
        .size:           4
        .value_kind:     by_value
      - .offset:         80
        .size:           8
        .value_kind:     by_value
      - .address_space:  global
        .offset:         88
        .size:           8
        .value_kind:     global_buffer
      - .offset:         96
        .size:           8
        .value_kind:     by_value
      - .address_space:  global
        .offset:         104
        .size:           8
        .value_kind:     global_buffer
      - .offset:         112
        .size:           4
        .value_kind:     by_value
      - .offset:         120
        .size:           4
        .value_kind:     hidden_block_count_x
      - .offset:         124
        .size:           4
        .value_kind:     hidden_block_count_y
      - .offset:         128
        .size:           4
        .value_kind:     hidden_block_count_z
      - .offset:         132
        .size:           2
        .value_kind:     hidden_group_size_x
      - .offset:         134
        .size:           2
        .value_kind:     hidden_group_size_y
      - .offset:         136
        .size:           2
        .value_kind:     hidden_group_size_z
      - .offset:         138
        .size:           2
        .value_kind:     hidden_remainder_x
      - .offset:         140
        .size:           2
        .value_kind:     hidden_remainder_y
      - .offset:         142
        .size:           2
        .value_kind:     hidden_remainder_z
      - .offset:         160
        .size:           8
        .value_kind:     hidden_global_offset_x
      - .offset:         168
        .size:           8
        .value_kind:     hidden_global_offset_y
      - .offset:         176
        .size:           8
        .value_kind:     hidden_global_offset_z
      - .offset:         184
        .size:           2
        .value_kind:     hidden_grid_dims
    .group_segment_fixed_size: 9600
    .kernarg_segment_align: 8
    .kernarg_segment_size: 376
    .language:       OpenCL C
    .language_version:
      - 2
      - 0
    .max_flat_workgroup_size: 256
    .name:           _ZL26rocblas_hemvn_kernel_upperILb0ELi64ELi4ELi33ELi32ELi16EiPK19rocblas_complex_numIfES3_PS1_EviT6_lT7_lT5_lS6_lS7_lS5_lT8_i
    .private_segment_fixed_size: 0
    .sgpr_count:     85
    .sgpr_spill_count: 0
    .symbol:         _ZL26rocblas_hemvn_kernel_upperILb0ELi64ELi4ELi33ELi32ELi16EiPK19rocblas_complex_numIfES3_PS1_EviT6_lT7_lT5_lS6_lS7_lS5_lT8_i.kd
    .uniform_work_group_size: 1
    .uses_dynamic_stack: false
    .vgpr_count:     218
    .vgpr_spill_count: 0
    .wavefront_size: 32
    .workgroup_processor_mode: 1
  - .args:
      - .offset:         0
        .size:           4
        .value_kind:     by_value
      - .offset:         4
        .size:           8
        .value_kind:     by_value
      - .offset:         16
        .size:           8
        .value_kind:     by_value
      - .address_space:  global
        .offset:         24
        .size:           8
        .value_kind:     global_buffer
      - .offset:         32
        .size:           8
        .value_kind:     by_value
      - .offset:         40
        .size:           8
        .value_kind:     by_value
      - .offset:         48
        .size:           8
        .value_kind:     by_value
      - .address_space:  global
        .offset:         56
        .size:           8
        .value_kind:     global_buffer
      - .offset:         64
        .size:           8
        .value_kind:     by_value
      - .offset:         72
        .size:           8
        .value_kind:     by_value
      - .offset:         80
        .size:           8
        .value_kind:     by_value
      - .offset:         88
        .size:           8
        .value_kind:     by_value
      - .offset:         96
        .size:           8
        .value_kind:     by_value
      - .address_space:  global
        .offset:         104
        .size:           8
        .value_kind:     global_buffer
      - .offset:         112
        .size:           4
        .value_kind:     by_value
      - .offset:         120
        .size:           4
        .value_kind:     hidden_block_count_x
      - .offset:         124
        .size:           4
        .value_kind:     hidden_block_count_y
      - .offset:         128
        .size:           4
        .value_kind:     hidden_block_count_z
      - .offset:         132
        .size:           2
        .value_kind:     hidden_group_size_x
      - .offset:         134
        .size:           2
        .value_kind:     hidden_group_size_y
      - .offset:         136
        .size:           2
        .value_kind:     hidden_group_size_z
      - .offset:         138
        .size:           2
        .value_kind:     hidden_remainder_x
      - .offset:         140
        .size:           2
        .value_kind:     hidden_remainder_y
      - .offset:         142
        .size:           2
        .value_kind:     hidden_remainder_z
      - .offset:         160
        .size:           8
        .value_kind:     hidden_global_offset_x
      - .offset:         168
        .size:           8
        .value_kind:     hidden_global_offset_y
      - .offset:         176
        .size:           8
        .value_kind:     hidden_global_offset_z
      - .offset:         184
        .size:           2
        .value_kind:     hidden_grid_dims
    .group_segment_fixed_size: 9600
    .kernarg_segment_align: 8
    .kernarg_segment_size: 376
    .language:       OpenCL C
    .language_version:
      - 2
      - 0
    .max_flat_workgroup_size: 256
    .name:           _ZL26rocblas_hemvn_kernel_upperILb0ELi64ELi4ELi33ELi32ELi16El19rocblas_complex_numIfEPKS1_PS1_EviT6_lT7_lT5_lS6_lS7_lS5_lT8_i
    .private_segment_fixed_size: 0
    .sgpr_count:     68
    .sgpr_spill_count: 0
    .symbol:         _ZL26rocblas_hemvn_kernel_upperILb0ELi64ELi4ELi33ELi32ELi16El19rocblas_complex_numIfEPKS1_PS1_EviT6_lT7_lT5_lS6_lS7_lS5_lT8_i.kd
    .uniform_work_group_size: 1
    .uses_dynamic_stack: false
    .vgpr_count:     212
    .vgpr_spill_count: 0
    .wavefront_size: 32
    .workgroup_processor_mode: 1
  - .args:
      - .offset:         0
        .size:           4
        .value_kind:     by_value
      - .offset:         4
        .size:           8
        .value_kind:     by_value
      - .offset:         16
        .size:           8
        .value_kind:     by_value
      - .address_space:  global
        .offset:         24
        .size:           8
        .value_kind:     global_buffer
      - .offset:         32
        .size:           8
        .value_kind:     by_value
      - .offset:         40
        .size:           4
        .value_kind:     by_value
      - .offset:         48
        .size:           8
        .value_kind:     by_value
      - .address_space:  global
        .offset:         56
        .size:           8
        .value_kind:     global_buffer
      - .offset:         64
        .size:           8
        .value_kind:     by_value
      - .offset:         72
        .size:           4
        .value_kind:     by_value
      - .offset:         80
        .size:           8
        .value_kind:     by_value
      - .offset:         88
        .size:           8
        .value_kind:     by_value
      - .offset:         96
        .size:           8
        .value_kind:     by_value
      - .address_space:  global
        .offset:         104
        .size:           8
        .value_kind:     global_buffer
      - .offset:         112
        .size:           4
        .value_kind:     by_value
      - .offset:         120
        .size:           4
        .value_kind:     hidden_block_count_x
      - .offset:         124
        .size:           4
        .value_kind:     hidden_block_count_y
      - .offset:         128
        .size:           4
        .value_kind:     hidden_block_count_z
      - .offset:         132
        .size:           2
        .value_kind:     hidden_group_size_x
      - .offset:         134
        .size:           2
        .value_kind:     hidden_group_size_y
      - .offset:         136
        .size:           2
        .value_kind:     hidden_group_size_z
      - .offset:         138
        .size:           2
        .value_kind:     hidden_remainder_x
      - .offset:         140
        .size:           2
        .value_kind:     hidden_remainder_y
      - .offset:         142
        .size:           2
        .value_kind:     hidden_remainder_z
      - .offset:         160
        .size:           8
        .value_kind:     hidden_global_offset_x
      - .offset:         168
        .size:           8
        .value_kind:     hidden_global_offset_y
      - .offset:         176
        .size:           8
        .value_kind:     hidden_global_offset_z
      - .offset:         184
        .size:           2
        .value_kind:     hidden_grid_dims
    .group_segment_fixed_size: 9600
    .kernarg_segment_align: 8
    .kernarg_segment_size: 376
    .language:       OpenCL C
    .language_version:
      - 2
      - 0
    .max_flat_workgroup_size: 256
    .name:           _ZL26rocblas_hemvn_kernel_upperILb0ELi64ELi4ELi33ELi32ELi16Ei19rocblas_complex_numIfEPKS1_PS1_EviT6_lT7_lT5_lS6_lS7_lS5_lT8_i
    .private_segment_fixed_size: 0
    .sgpr_count:     80
    .sgpr_spill_count: 0
    .symbol:         _ZL26rocblas_hemvn_kernel_upperILb0ELi64ELi4ELi33ELi32ELi16Ei19rocblas_complex_numIfEPKS1_PS1_EviT6_lT7_lT5_lS6_lS7_lS5_lT8_i.kd
    .uniform_work_group_size: 1
    .uses_dynamic_stack: false
    .vgpr_count:     233
    .vgpr_spill_count: 0
    .wavefront_size: 32
    .workgroup_processor_mode: 1
  - .args:
      - .offset:         0
        .size:           4
        .value_kind:     by_value
      - .address_space:  global
        .offset:         8
        .size:           8
        .value_kind:     global_buffer
      - .offset:         16
        .size:           8
        .value_kind:     by_value
      - .address_space:  global
        .offset:         24
        .size:           8
        .value_kind:     global_buffer
      - .offset:         32
        .size:           8
        .value_kind:     by_value
      - .offset:         40
        .size:           8
        .value_kind:     by_value
      - .offset:         48
        .size:           8
        .value_kind:     by_value
      - .address_space:  global
        .offset:         56
        .size:           8
        .value_kind:     global_buffer
      - .offset:         64
        .size:           8
        .value_kind:     by_value
      - .offset:         72
        .size:           8
        .value_kind:     by_value
      - .offset:         80
        .size:           8
        .value_kind:     by_value
      - .address_space:  global
        .offset:         88
        .size:           8
        .value_kind:     global_buffer
      - .offset:         96
        .size:           8
        .value_kind:     by_value
      - .address_space:  global
        .offset:         104
        .size:           8
        .value_kind:     global_buffer
      - .offset:         112
        .size:           4
        .value_kind:     by_value
      - .offset:         120
        .size:           4
        .value_kind:     hidden_block_count_x
      - .offset:         124
        .size:           4
        .value_kind:     hidden_block_count_y
      - .offset:         128
        .size:           4
        .value_kind:     hidden_block_count_z
      - .offset:         132
        .size:           2
        .value_kind:     hidden_group_size_x
      - .offset:         134
        .size:           2
        .value_kind:     hidden_group_size_y
      - .offset:         136
        .size:           2
        .value_kind:     hidden_group_size_z
      - .offset:         138
        .size:           2
        .value_kind:     hidden_remainder_x
      - .offset:         140
        .size:           2
        .value_kind:     hidden_remainder_y
      - .offset:         142
        .size:           2
        .value_kind:     hidden_remainder_z
      - .offset:         160
        .size:           8
        .value_kind:     hidden_global_offset_x
      - .offset:         168
        .size:           8
        .value_kind:     hidden_global_offset_y
      - .offset:         176
        .size:           8
        .value_kind:     hidden_global_offset_z
      - .offset:         184
        .size:           2
        .value_kind:     hidden_grid_dims
    .group_segment_fixed_size: 9600
    .kernarg_segment_align: 8
    .kernarg_segment_size: 376
    .language:       OpenCL C
    .language_version:
      - 2
      - 0
    .max_flat_workgroup_size: 256
    .name:           _ZL26rocblas_hemvn_kernel_lowerILb0ELi64ELi4ELi33ELi32ELi16ElPK19rocblas_complex_numIfES3_PS1_EviT6_lT7_lT5_lS6_lS7_lS5_lT8_i
    .private_segment_fixed_size: 0
    .sgpr_count:     102
    .sgpr_spill_count: 0
    .symbol:         _ZL26rocblas_hemvn_kernel_lowerILb0ELi64ELi4ELi33ELi32ELi16ElPK19rocblas_complex_numIfES3_PS1_EviT6_lT7_lT5_lS6_lS7_lS5_lT8_i.kd
    .uniform_work_group_size: 1
    .uses_dynamic_stack: false
    .vgpr_count:     138
    .vgpr_spill_count: 0
    .wavefront_size: 32
    .workgroup_processor_mode: 1
  - .args:
      - .offset:         0
        .size:           4
        .value_kind:     by_value
      - .address_space:  global
        .offset:         8
        .size:           8
        .value_kind:     global_buffer
      - .offset:         16
        .size:           8
        .value_kind:     by_value
      - .address_space:  global
        .offset:         24
        .size:           8
        .value_kind:     global_buffer
      - .offset:         32
        .size:           8
        .value_kind:     by_value
      - .offset:         40
        .size:           4
        .value_kind:     by_value
      - .offset:         48
        .size:           8
        .value_kind:     by_value
      - .address_space:  global
        .offset:         56
        .size:           8
        .value_kind:     global_buffer
      - .offset:         64
        .size:           8
        .value_kind:     by_value
      - .offset:         72
        .size:           4
        .value_kind:     by_value
      - .offset:         80
        .size:           8
        .value_kind:     by_value
      - .address_space:  global
        .offset:         88
        .size:           8
        .value_kind:     global_buffer
      - .offset:         96
        .size:           8
        .value_kind:     by_value
      - .address_space:  global
        .offset:         104
        .size:           8
        .value_kind:     global_buffer
      - .offset:         112
        .size:           4
        .value_kind:     by_value
      - .offset:         120
        .size:           4
        .value_kind:     hidden_block_count_x
      - .offset:         124
        .size:           4
        .value_kind:     hidden_block_count_y
      - .offset:         128
        .size:           4
        .value_kind:     hidden_block_count_z
      - .offset:         132
        .size:           2
        .value_kind:     hidden_group_size_x
      - .offset:         134
        .size:           2
        .value_kind:     hidden_group_size_y
      - .offset:         136
        .size:           2
        .value_kind:     hidden_group_size_z
      - .offset:         138
        .size:           2
        .value_kind:     hidden_remainder_x
      - .offset:         140
        .size:           2
        .value_kind:     hidden_remainder_y
      - .offset:         142
        .size:           2
        .value_kind:     hidden_remainder_z
      - .offset:         160
        .size:           8
        .value_kind:     hidden_global_offset_x
      - .offset:         168
        .size:           8
        .value_kind:     hidden_global_offset_y
      - .offset:         176
        .size:           8
        .value_kind:     hidden_global_offset_z
      - .offset:         184
        .size:           2
        .value_kind:     hidden_grid_dims
    .group_segment_fixed_size: 9600
    .kernarg_segment_align: 8
    .kernarg_segment_size: 376
    .language:       OpenCL C
    .language_version:
      - 2
      - 0
    .max_flat_workgroup_size: 256
    .name:           _ZL26rocblas_hemvn_kernel_lowerILb0ELi64ELi4ELi33ELi32ELi16EiPK19rocblas_complex_numIfES3_PS1_EviT6_lT7_lT5_lS6_lS7_lS5_lT8_i
    .private_segment_fixed_size: 0
    .sgpr_count:     106
    .sgpr_spill_count: 0
    .symbol:         _ZL26rocblas_hemvn_kernel_lowerILb0ELi64ELi4ELi33ELi32ELi16EiPK19rocblas_complex_numIfES3_PS1_EviT6_lT7_lT5_lS6_lS7_lS5_lT8_i.kd
    .uniform_work_group_size: 1
    .uses_dynamic_stack: false
    .vgpr_count:     140
    .vgpr_spill_count: 0
    .wavefront_size: 32
    .workgroup_processor_mode: 1
  - .args:
      - .offset:         0
        .size:           4
        .value_kind:     by_value
      - .offset:         4
        .size:           8
        .value_kind:     by_value
      - .offset:         16
        .size:           8
        .value_kind:     by_value
      - .address_space:  global
        .offset:         24
        .size:           8
        .value_kind:     global_buffer
      - .offset:         32
        .size:           8
        .value_kind:     by_value
      - .offset:         40
        .size:           8
        .value_kind:     by_value
      - .offset:         48
        .size:           8
        .value_kind:     by_value
      - .address_space:  global
        .offset:         56
        .size:           8
        .value_kind:     global_buffer
      - .offset:         64
        .size:           8
        .value_kind:     by_value
      - .offset:         72
        .size:           8
        .value_kind:     by_value
      - .offset:         80
        .size:           8
        .value_kind:     by_value
      - .offset:         88
        .size:           8
        .value_kind:     by_value
      - .offset:         96
        .size:           8
        .value_kind:     by_value
      - .address_space:  global
        .offset:         104
        .size:           8
        .value_kind:     global_buffer
      - .offset:         112
        .size:           4
        .value_kind:     by_value
      - .offset:         120
        .size:           4
        .value_kind:     hidden_block_count_x
      - .offset:         124
        .size:           4
        .value_kind:     hidden_block_count_y
      - .offset:         128
        .size:           4
        .value_kind:     hidden_block_count_z
      - .offset:         132
        .size:           2
        .value_kind:     hidden_group_size_x
      - .offset:         134
        .size:           2
        .value_kind:     hidden_group_size_y
      - .offset:         136
        .size:           2
        .value_kind:     hidden_group_size_z
      - .offset:         138
        .size:           2
        .value_kind:     hidden_remainder_x
      - .offset:         140
        .size:           2
        .value_kind:     hidden_remainder_y
      - .offset:         142
        .size:           2
        .value_kind:     hidden_remainder_z
      - .offset:         160
        .size:           8
        .value_kind:     hidden_global_offset_x
      - .offset:         168
        .size:           8
        .value_kind:     hidden_global_offset_y
      - .offset:         176
        .size:           8
        .value_kind:     hidden_global_offset_z
      - .offset:         184
        .size:           2
        .value_kind:     hidden_grid_dims
    .group_segment_fixed_size: 9600
    .kernarg_segment_align: 8
    .kernarg_segment_size: 376
    .language:       OpenCL C
    .language_version:
      - 2
      - 0
    .max_flat_workgroup_size: 256
    .name:           _ZL26rocblas_hemvn_kernel_lowerILb0ELi64ELi4ELi33ELi32ELi16El19rocblas_complex_numIfEPKS1_PS1_EviT6_lT7_lT5_lS6_lS7_lS5_lT8_i
    .private_segment_fixed_size: 0
    .sgpr_count:     94
    .sgpr_spill_count: 0
    .symbol:         _ZL26rocblas_hemvn_kernel_lowerILb0ELi64ELi4ELi33ELi32ELi16El19rocblas_complex_numIfEPKS1_PS1_EviT6_lT7_lT5_lS6_lS7_lS5_lT8_i.kd
    .uniform_work_group_size: 1
    .uses_dynamic_stack: false
    .vgpr_count:     139
    .vgpr_spill_count: 0
    .wavefront_size: 32
    .workgroup_processor_mode: 1
  - .args:
      - .offset:         0
        .size:           4
        .value_kind:     by_value
      - .offset:         4
        .size:           8
        .value_kind:     by_value
      - .offset:         16
        .size:           8
        .value_kind:     by_value
      - .address_space:  global
        .offset:         24
        .size:           8
        .value_kind:     global_buffer
      - .offset:         32
        .size:           8
        .value_kind:     by_value
      - .offset:         40
        .size:           4
        .value_kind:     by_value
      - .offset:         48
        .size:           8
        .value_kind:     by_value
      - .address_space:  global
        .offset:         56
        .size:           8
        .value_kind:     global_buffer
      - .offset:         64
        .size:           8
        .value_kind:     by_value
      - .offset:         72
        .size:           4
        .value_kind:     by_value
      - .offset:         80
        .size:           8
        .value_kind:     by_value
      - .offset:         88
        .size:           8
        .value_kind:     by_value
      - .offset:         96
        .size:           8
        .value_kind:     by_value
      - .address_space:  global
        .offset:         104
        .size:           8
        .value_kind:     global_buffer
      - .offset:         112
        .size:           4
        .value_kind:     by_value
      - .offset:         120
        .size:           4
        .value_kind:     hidden_block_count_x
      - .offset:         124
        .size:           4
        .value_kind:     hidden_block_count_y
      - .offset:         128
        .size:           4
        .value_kind:     hidden_block_count_z
      - .offset:         132
        .size:           2
        .value_kind:     hidden_group_size_x
      - .offset:         134
        .size:           2
        .value_kind:     hidden_group_size_y
      - .offset:         136
        .size:           2
        .value_kind:     hidden_group_size_z
      - .offset:         138
        .size:           2
        .value_kind:     hidden_remainder_x
      - .offset:         140
        .size:           2
        .value_kind:     hidden_remainder_y
      - .offset:         142
        .size:           2
        .value_kind:     hidden_remainder_z
      - .offset:         160
        .size:           8
        .value_kind:     hidden_global_offset_x
      - .offset:         168
        .size:           8
        .value_kind:     hidden_global_offset_y
      - .offset:         176
        .size:           8
        .value_kind:     hidden_global_offset_z
      - .offset:         184
        .size:           2
        .value_kind:     hidden_grid_dims
    .group_segment_fixed_size: 9600
    .kernarg_segment_align: 8
    .kernarg_segment_size: 376
    .language:       OpenCL C
    .language_version:
      - 2
      - 0
    .max_flat_workgroup_size: 256
    .name:           _ZL26rocblas_hemvn_kernel_lowerILb0ELi64ELi4ELi33ELi32ELi16Ei19rocblas_complex_numIfEPKS1_PS1_EviT6_lT7_lT5_lS6_lS7_lS5_lT8_i
    .private_segment_fixed_size: 0
    .sgpr_count:     98
    .sgpr_spill_count: 0
    .symbol:         _ZL26rocblas_hemvn_kernel_lowerILb0ELi64ELi4ELi33ELi32ELi16Ei19rocblas_complex_numIfEPKS1_PS1_EviT6_lT7_lT5_lS6_lS7_lS5_lT8_i.kd
    .uniform_work_group_size: 1
    .uses_dynamic_stack: false
    .vgpr_count:     141
    .vgpr_spill_count: 0
    .wavefront_size: 32
    .workgroup_processor_mode: 1
  - .args:
      - .offset:         0
        .size:           4
        .value_kind:     by_value
      - .address_space:  global
        .offset:         8
        .size:           8
        .value_kind:     global_buffer
      - .offset:         16
        .size:           8
        .value_kind:     by_value
      - .address_space:  global
        .offset:         24
        .size:           8
        .value_kind:     global_buffer
      - .offset:         32
        .size:           8
        .value_kind:     by_value
      - .offset:         40
        .size:           8
        .value_kind:     by_value
      - .offset:         48
        .size:           8
        .value_kind:     by_value
      - .address_space:  global
        .offset:         56
        .size:           8
        .value_kind:     global_buffer
      - .offset:         64
        .size:           8
        .value_kind:     by_value
      - .offset:         72
        .size:           8
        .value_kind:     by_value
      - .offset:         80
        .size:           8
        .value_kind:     by_value
      - .address_space:  global
        .offset:         88
        .size:           8
        .value_kind:     global_buffer
      - .offset:         96
        .size:           8
        .value_kind:     by_value
      - .address_space:  global
        .offset:         104
        .size:           8
        .value_kind:     global_buffer
      - .offset:         112
        .size:           4
        .value_kind:     by_value
      - .offset:         120
        .size:           4
        .value_kind:     hidden_block_count_x
      - .offset:         124
        .size:           4
        .value_kind:     hidden_block_count_y
      - .offset:         128
        .size:           4
        .value_kind:     hidden_block_count_z
      - .offset:         132
        .size:           2
        .value_kind:     hidden_group_size_x
      - .offset:         134
        .size:           2
        .value_kind:     hidden_group_size_y
      - .offset:         136
        .size:           2
        .value_kind:     hidden_group_size_z
      - .offset:         138
        .size:           2
        .value_kind:     hidden_remainder_x
      - .offset:         140
        .size:           2
        .value_kind:     hidden_remainder_y
      - .offset:         142
        .size:           2
        .value_kind:     hidden_remainder_z
      - .offset:         160
        .size:           8
        .value_kind:     hidden_global_offset_x
      - .offset:         168
        .size:           8
        .value_kind:     hidden_global_offset_y
      - .offset:         176
        .size:           8
        .value_kind:     hidden_global_offset_z
      - .offset:         184
        .size:           2
        .value_kind:     hidden_grid_dims
    .group_segment_fixed_size: 19200
    .kernarg_segment_align: 8
    .kernarg_segment_size: 376
    .language:       OpenCL C
    .language_version:
      - 2
      - 0
    .max_flat_workgroup_size: 256
    .name:           _ZL26rocblas_hemvn_kernel_upperILb0ELi64ELi4ELi33ELi32ELi16ElPK19rocblas_complex_numIdES3_PS1_EviT6_lT7_lT5_lS6_lS7_lS5_lT8_i
    .private_segment_fixed_size: 156
    .sgpr_count:     76
    .sgpr_spill_count: 0
    .symbol:         _ZL26rocblas_hemvn_kernel_upperILb0ELi64ELi4ELi33ELi32ELi16ElPK19rocblas_complex_numIdES3_PS1_EviT6_lT7_lT5_lS6_lS7_lS5_lT8_i.kd
    .uniform_work_group_size: 1
    .uses_dynamic_stack: false
    .vgpr_count:     256
    .vgpr_spill_count: 38
    .wavefront_size: 32
    .workgroup_processor_mode: 1
  - .args:
      - .offset:         0
        .size:           4
        .value_kind:     by_value
      - .address_space:  global
        .offset:         8
        .size:           8
        .value_kind:     global_buffer
      - .offset:         16
        .size:           8
        .value_kind:     by_value
      - .address_space:  global
        .offset:         24
        .size:           8
        .value_kind:     global_buffer
      - .offset:         32
        .size:           8
        .value_kind:     by_value
      - .offset:         40
        .size:           4
        .value_kind:     by_value
      - .offset:         48
        .size:           8
        .value_kind:     by_value
      - .address_space:  global
        .offset:         56
        .size:           8
        .value_kind:     global_buffer
      - .offset:         64
        .size:           8
        .value_kind:     by_value
      - .offset:         72
        .size:           4
        .value_kind:     by_value
      - .offset:         80
        .size:           8
        .value_kind:     by_value
      - .address_space:  global
        .offset:         88
        .size:           8
        .value_kind:     global_buffer
      - .offset:         96
        .size:           8
        .value_kind:     by_value
      - .address_space:  global
        .offset:         104
        .size:           8
        .value_kind:     global_buffer
      - .offset:         112
        .size:           4
        .value_kind:     by_value
      - .offset:         120
        .size:           4
        .value_kind:     hidden_block_count_x
      - .offset:         124
        .size:           4
        .value_kind:     hidden_block_count_y
      - .offset:         128
        .size:           4
        .value_kind:     hidden_block_count_z
      - .offset:         132
        .size:           2
        .value_kind:     hidden_group_size_x
      - .offset:         134
        .size:           2
        .value_kind:     hidden_group_size_y
      - .offset:         136
        .size:           2
        .value_kind:     hidden_group_size_z
      - .offset:         138
        .size:           2
        .value_kind:     hidden_remainder_x
      - .offset:         140
        .size:           2
        .value_kind:     hidden_remainder_y
      - .offset:         142
        .size:           2
        .value_kind:     hidden_remainder_z
      - .offset:         160
        .size:           8
        .value_kind:     hidden_global_offset_x
      - .offset:         168
        .size:           8
        .value_kind:     hidden_global_offset_y
      - .offset:         176
        .size:           8
        .value_kind:     hidden_global_offset_z
      - .offset:         184
        .size:           2
        .value_kind:     hidden_grid_dims
    .group_segment_fixed_size: 19200
    .kernarg_segment_align: 8
    .kernarg_segment_size: 376
    .language:       OpenCL C
    .language_version:
      - 2
      - 0
    .max_flat_workgroup_size: 256
    .name:           _ZL26rocblas_hemvn_kernel_upperILb0ELi64ELi4ELi33ELi32ELi16EiPK19rocblas_complex_numIdES3_PS1_EviT6_lT7_lT5_lS6_lS7_lS5_lT8_i
    .private_segment_fixed_size: 212
    .sgpr_count:     86
    .sgpr_spill_count: 0
    .symbol:         _ZL26rocblas_hemvn_kernel_upperILb0ELi64ELi4ELi33ELi32ELi16EiPK19rocblas_complex_numIdES3_PS1_EviT6_lT7_lT5_lS6_lS7_lS5_lT8_i.kd
    .uniform_work_group_size: 1
    .uses_dynamic_stack: false
    .vgpr_count:     256
    .vgpr_spill_count: 52
    .wavefront_size: 32
    .workgroup_processor_mode: 1
  - .args:
      - .offset:         0
        .size:           4
        .value_kind:     by_value
      - .offset:         8
        .size:           16
        .value_kind:     by_value
      - .offset:         24
        .size:           8
        .value_kind:     by_value
      - .address_space:  global
        .offset:         32
        .size:           8
        .value_kind:     global_buffer
      - .offset:         40
        .size:           8
        .value_kind:     by_value
      - .offset:         48
        .size:           8
        .value_kind:     by_value
      - .offset:         56
        .size:           8
        .value_kind:     by_value
      - .address_space:  global
        .offset:         64
        .size:           8
        .value_kind:     global_buffer
      - .offset:         72
        .size:           8
        .value_kind:     by_value
      - .offset:         80
        .size:           8
        .value_kind:     by_value
      - .offset:         88
        .size:           8
        .value_kind:     by_value
      - .offset:         96
        .size:           16
        .value_kind:     by_value
      - .offset:         112
        .size:           8
        .value_kind:     by_value
      - .address_space:  global
        .offset:         120
        .size:           8
        .value_kind:     global_buffer
      - .offset:         128
        .size:           4
        .value_kind:     by_value
      - .offset:         136
        .size:           4
        .value_kind:     hidden_block_count_x
      - .offset:         140
        .size:           4
        .value_kind:     hidden_block_count_y
      - .offset:         144
        .size:           4
        .value_kind:     hidden_block_count_z
      - .offset:         148
        .size:           2
        .value_kind:     hidden_group_size_x
      - .offset:         150
        .size:           2
        .value_kind:     hidden_group_size_y
      - .offset:         152
        .size:           2
        .value_kind:     hidden_group_size_z
      - .offset:         154
        .size:           2
        .value_kind:     hidden_remainder_x
      - .offset:         156
        .size:           2
        .value_kind:     hidden_remainder_y
      - .offset:         158
        .size:           2
        .value_kind:     hidden_remainder_z
      - .offset:         176
        .size:           8
        .value_kind:     hidden_global_offset_x
      - .offset:         184
        .size:           8
        .value_kind:     hidden_global_offset_y
      - .offset:         192
        .size:           8
        .value_kind:     hidden_global_offset_z
      - .offset:         200
        .size:           2
        .value_kind:     hidden_grid_dims
    .group_segment_fixed_size: 19200
    .kernarg_segment_align: 8
    .kernarg_segment_size: 392
    .language:       OpenCL C
    .language_version:
      - 2
      - 0
    .max_flat_workgroup_size: 256
    .name:           _ZL26rocblas_hemvn_kernel_upperILb0ELi64ELi4ELi33ELi32ELi16El19rocblas_complex_numIdEPKS1_PS1_EviT6_lT7_lT5_lS6_lS7_lS5_lT8_i
    .private_segment_fixed_size: 160
    .sgpr_count:     68
    .sgpr_spill_count: 0
    .symbol:         _ZL26rocblas_hemvn_kernel_upperILb0ELi64ELi4ELi33ELi32ELi16El19rocblas_complex_numIdEPKS1_PS1_EviT6_lT7_lT5_lS6_lS7_lS5_lT8_i.kd
    .uniform_work_group_size: 1
    .uses_dynamic_stack: false
    .vgpr_count:     256
    .vgpr_spill_count: 39
    .wavefront_size: 32
    .workgroup_processor_mode: 1
  - .args:
      - .offset:         0
        .size:           4
        .value_kind:     by_value
      - .offset:         8
        .size:           16
        .value_kind:     by_value
      - .offset:         24
        .size:           8
        .value_kind:     by_value
      - .address_space:  global
        .offset:         32
        .size:           8
        .value_kind:     global_buffer
      - .offset:         40
        .size:           8
        .value_kind:     by_value
      - .offset:         48
        .size:           4
        .value_kind:     by_value
      - .offset:         56
        .size:           8
        .value_kind:     by_value
      - .address_space:  global
        .offset:         64
        .size:           8
        .value_kind:     global_buffer
      - .offset:         72
        .size:           8
        .value_kind:     by_value
      - .offset:         80
        .size:           4
        .value_kind:     by_value
      - .offset:         88
        .size:           8
        .value_kind:     by_value
      - .offset:         96
        .size:           16
        .value_kind:     by_value
      - .offset:         112
        .size:           8
        .value_kind:     by_value
      - .address_space:  global
        .offset:         120
        .size:           8
        .value_kind:     global_buffer
      - .offset:         128
        .size:           4
        .value_kind:     by_value
      - .offset:         136
        .size:           4
        .value_kind:     hidden_block_count_x
      - .offset:         140
        .size:           4
        .value_kind:     hidden_block_count_y
      - .offset:         144
        .size:           4
        .value_kind:     hidden_block_count_z
      - .offset:         148
        .size:           2
        .value_kind:     hidden_group_size_x
      - .offset:         150
        .size:           2
        .value_kind:     hidden_group_size_y
      - .offset:         152
        .size:           2
        .value_kind:     hidden_group_size_z
      - .offset:         154
        .size:           2
        .value_kind:     hidden_remainder_x
      - .offset:         156
        .size:           2
        .value_kind:     hidden_remainder_y
      - .offset:         158
        .size:           2
        .value_kind:     hidden_remainder_z
      - .offset:         176
        .size:           8
        .value_kind:     hidden_global_offset_x
      - .offset:         184
        .size:           8
        .value_kind:     hidden_global_offset_y
      - .offset:         192
        .size:           8
        .value_kind:     hidden_global_offset_z
      - .offset:         200
        .size:           2
        .value_kind:     hidden_grid_dims
    .group_segment_fixed_size: 19200
    .kernarg_segment_align: 8
    .kernarg_segment_size: 392
    .language:       OpenCL C
    .language_version:
      - 2
      - 0
    .max_flat_workgroup_size: 256
    .name:           _ZL26rocblas_hemvn_kernel_upperILb0ELi64ELi4ELi33ELi32ELi16Ei19rocblas_complex_numIdEPKS1_PS1_EviT6_lT7_lT5_lS6_lS7_lS5_lT8_i
    .private_segment_fixed_size: 212
    .sgpr_count:     80
    .sgpr_spill_count: 0
    .symbol:         _ZL26rocblas_hemvn_kernel_upperILb0ELi64ELi4ELi33ELi32ELi16Ei19rocblas_complex_numIdEPKS1_PS1_EviT6_lT7_lT5_lS6_lS7_lS5_lT8_i.kd
    .uniform_work_group_size: 1
    .uses_dynamic_stack: false
    .vgpr_count:     256
    .vgpr_spill_count: 52
    .wavefront_size: 32
    .workgroup_processor_mode: 1
  - .args:
      - .offset:         0
        .size:           4
        .value_kind:     by_value
      - .address_space:  global
        .offset:         8
        .size:           8
        .value_kind:     global_buffer
      - .offset:         16
        .size:           8
        .value_kind:     by_value
      - .address_space:  global
        .offset:         24
        .size:           8
        .value_kind:     global_buffer
      - .offset:         32
        .size:           8
        .value_kind:     by_value
      - .offset:         40
        .size:           8
        .value_kind:     by_value
      - .offset:         48
        .size:           8
        .value_kind:     by_value
      - .address_space:  global
        .offset:         56
        .size:           8
        .value_kind:     global_buffer
      - .offset:         64
        .size:           8
        .value_kind:     by_value
      - .offset:         72
        .size:           8
        .value_kind:     by_value
      - .offset:         80
        .size:           8
        .value_kind:     by_value
      - .address_space:  global
        .offset:         88
        .size:           8
        .value_kind:     global_buffer
      - .offset:         96
        .size:           8
        .value_kind:     by_value
      - .address_space:  global
        .offset:         104
        .size:           8
        .value_kind:     global_buffer
      - .offset:         112
        .size:           4
        .value_kind:     by_value
      - .offset:         120
        .size:           4
        .value_kind:     hidden_block_count_x
      - .offset:         124
        .size:           4
        .value_kind:     hidden_block_count_y
      - .offset:         128
        .size:           4
        .value_kind:     hidden_block_count_z
      - .offset:         132
        .size:           2
        .value_kind:     hidden_group_size_x
      - .offset:         134
        .size:           2
        .value_kind:     hidden_group_size_y
      - .offset:         136
        .size:           2
        .value_kind:     hidden_group_size_z
      - .offset:         138
        .size:           2
        .value_kind:     hidden_remainder_x
      - .offset:         140
        .size:           2
        .value_kind:     hidden_remainder_y
      - .offset:         142
        .size:           2
        .value_kind:     hidden_remainder_z
      - .offset:         160
        .size:           8
        .value_kind:     hidden_global_offset_x
      - .offset:         168
        .size:           8
        .value_kind:     hidden_global_offset_y
      - .offset:         176
        .size:           8
        .value_kind:     hidden_global_offset_z
      - .offset:         184
        .size:           2
        .value_kind:     hidden_grid_dims
    .group_segment_fixed_size: 19200
    .kernarg_segment_align: 8
    .kernarg_segment_size: 376
    .language:       OpenCL C
    .language_version:
      - 2
      - 0
    .max_flat_workgroup_size: 256
    .name:           _ZL26rocblas_hemvn_kernel_lowerILb0ELi64ELi4ELi33ELi32ELi16ElPK19rocblas_complex_numIdES3_PS1_EviT6_lT7_lT5_lS6_lS7_lS5_lT8_i
    .private_segment_fixed_size: 0
    .sgpr_count:     76
    .sgpr_spill_count: 0
    .symbol:         _ZL26rocblas_hemvn_kernel_lowerILb0ELi64ELi4ELi33ELi32ELi16ElPK19rocblas_complex_numIdES3_PS1_EviT6_lT7_lT5_lS6_lS7_lS5_lT8_i.kd
    .uniform_work_group_size: 1
    .uses_dynamic_stack: false
    .vgpr_count:     217
    .vgpr_spill_count: 0
    .wavefront_size: 32
    .workgroup_processor_mode: 1
  - .args:
      - .offset:         0
        .size:           4
        .value_kind:     by_value
      - .address_space:  global
        .offset:         8
        .size:           8
        .value_kind:     global_buffer
      - .offset:         16
        .size:           8
        .value_kind:     by_value
      - .address_space:  global
        .offset:         24
        .size:           8
        .value_kind:     global_buffer
      - .offset:         32
        .size:           8
        .value_kind:     by_value
      - .offset:         40
        .size:           4
        .value_kind:     by_value
      - .offset:         48
        .size:           8
        .value_kind:     by_value
      - .address_space:  global
        .offset:         56
        .size:           8
        .value_kind:     global_buffer
      - .offset:         64
        .size:           8
        .value_kind:     by_value
      - .offset:         72
        .size:           4
        .value_kind:     by_value
      - .offset:         80
        .size:           8
        .value_kind:     by_value
      - .address_space:  global
        .offset:         88
        .size:           8
        .value_kind:     global_buffer
      - .offset:         96
        .size:           8
        .value_kind:     by_value
      - .address_space:  global
        .offset:         104
        .size:           8
        .value_kind:     global_buffer
      - .offset:         112
        .size:           4
        .value_kind:     by_value
      - .offset:         120
        .size:           4
        .value_kind:     hidden_block_count_x
      - .offset:         124
        .size:           4
        .value_kind:     hidden_block_count_y
      - .offset:         128
        .size:           4
        .value_kind:     hidden_block_count_z
      - .offset:         132
        .size:           2
        .value_kind:     hidden_group_size_x
      - .offset:         134
        .size:           2
        .value_kind:     hidden_group_size_y
      - .offset:         136
        .size:           2
        .value_kind:     hidden_group_size_z
      - .offset:         138
        .size:           2
        .value_kind:     hidden_remainder_x
      - .offset:         140
        .size:           2
        .value_kind:     hidden_remainder_y
      - .offset:         142
        .size:           2
        .value_kind:     hidden_remainder_z
      - .offset:         160
        .size:           8
        .value_kind:     hidden_global_offset_x
      - .offset:         168
        .size:           8
        .value_kind:     hidden_global_offset_y
      - .offset:         176
        .size:           8
        .value_kind:     hidden_global_offset_z
      - .offset:         184
        .size:           2
        .value_kind:     hidden_grid_dims
    .group_segment_fixed_size: 19200
    .kernarg_segment_align: 8
    .kernarg_segment_size: 376
    .language:       OpenCL C
    .language_version:
      - 2
      - 0
    .max_flat_workgroup_size: 256
    .name:           _ZL26rocblas_hemvn_kernel_lowerILb0ELi64ELi4ELi33ELi32ELi16EiPK19rocblas_complex_numIdES3_PS1_EviT6_lT7_lT5_lS6_lS7_lS5_lT8_i
    .private_segment_fixed_size: 0
    .sgpr_count:     78
    .sgpr_spill_count: 0
    .symbol:         _ZL26rocblas_hemvn_kernel_lowerILb0ELi64ELi4ELi33ELi32ELi16EiPK19rocblas_complex_numIdES3_PS1_EviT6_lT7_lT5_lS6_lS7_lS5_lT8_i.kd
    .uniform_work_group_size: 1
    .uses_dynamic_stack: false
    .vgpr_count:     215
    .vgpr_spill_count: 0
    .wavefront_size: 32
    .workgroup_processor_mode: 1
  - .args:
      - .offset:         0
        .size:           4
        .value_kind:     by_value
      - .offset:         8
        .size:           16
        .value_kind:     by_value
      - .offset:         24
        .size:           8
        .value_kind:     by_value
      - .address_space:  global
        .offset:         32
        .size:           8
        .value_kind:     global_buffer
      - .offset:         40
        .size:           8
        .value_kind:     by_value
      - .offset:         48
        .size:           8
        .value_kind:     by_value
      - .offset:         56
        .size:           8
        .value_kind:     by_value
      - .address_space:  global
        .offset:         64
        .size:           8
        .value_kind:     global_buffer
      - .offset:         72
        .size:           8
        .value_kind:     by_value
      - .offset:         80
        .size:           8
        .value_kind:     by_value
      - .offset:         88
        .size:           8
        .value_kind:     by_value
      - .offset:         96
        .size:           16
        .value_kind:     by_value
      - .offset:         112
        .size:           8
        .value_kind:     by_value
      - .address_space:  global
        .offset:         120
        .size:           8
        .value_kind:     global_buffer
      - .offset:         128
        .size:           4
        .value_kind:     by_value
      - .offset:         136
        .size:           4
        .value_kind:     hidden_block_count_x
      - .offset:         140
        .size:           4
        .value_kind:     hidden_block_count_y
      - .offset:         144
        .size:           4
        .value_kind:     hidden_block_count_z
      - .offset:         148
        .size:           2
        .value_kind:     hidden_group_size_x
      - .offset:         150
        .size:           2
        .value_kind:     hidden_group_size_y
      - .offset:         152
        .size:           2
        .value_kind:     hidden_group_size_z
      - .offset:         154
        .size:           2
        .value_kind:     hidden_remainder_x
      - .offset:         156
        .size:           2
        .value_kind:     hidden_remainder_y
      - .offset:         158
        .size:           2
        .value_kind:     hidden_remainder_z
      - .offset:         176
        .size:           8
        .value_kind:     hidden_global_offset_x
      - .offset:         184
        .size:           8
        .value_kind:     hidden_global_offset_y
      - .offset:         192
        .size:           8
        .value_kind:     hidden_global_offset_z
      - .offset:         200
        .size:           2
        .value_kind:     hidden_grid_dims
    .group_segment_fixed_size: 19200
    .kernarg_segment_align: 8
    .kernarg_segment_size: 392
    .language:       OpenCL C
    .language_version:
      - 2
      - 0
    .max_flat_workgroup_size: 256
    .name:           _ZL26rocblas_hemvn_kernel_lowerILb0ELi64ELi4ELi33ELi32ELi16El19rocblas_complex_numIdEPKS1_PS1_EviT6_lT7_lT5_lS6_lS7_lS5_lT8_i
    .private_segment_fixed_size: 0
    .sgpr_count:     68
    .sgpr_spill_count: 0
    .symbol:         _ZL26rocblas_hemvn_kernel_lowerILb0ELi64ELi4ELi33ELi32ELi16El19rocblas_complex_numIdEPKS1_PS1_EviT6_lT7_lT5_lS6_lS7_lS5_lT8_i.kd
    .uniform_work_group_size: 1
    .uses_dynamic_stack: false
    .vgpr_count:     250
    .vgpr_spill_count: 0
    .wavefront_size: 32
    .workgroup_processor_mode: 1
  - .args:
      - .offset:         0
        .size:           4
        .value_kind:     by_value
      - .offset:         8
        .size:           16
        .value_kind:     by_value
      - .offset:         24
        .size:           8
        .value_kind:     by_value
      - .address_space:  global
        .offset:         32
        .size:           8
        .value_kind:     global_buffer
      - .offset:         40
        .size:           8
        .value_kind:     by_value
      - .offset:         48
        .size:           4
        .value_kind:     by_value
      - .offset:         56
        .size:           8
        .value_kind:     by_value
      - .address_space:  global
        .offset:         64
        .size:           8
        .value_kind:     global_buffer
      - .offset:         72
        .size:           8
        .value_kind:     by_value
      - .offset:         80
        .size:           4
        .value_kind:     by_value
      - .offset:         88
        .size:           8
        .value_kind:     by_value
      - .offset:         96
        .size:           16
        .value_kind:     by_value
      - .offset:         112
        .size:           8
        .value_kind:     by_value
      - .address_space:  global
        .offset:         120
        .size:           8
        .value_kind:     global_buffer
      - .offset:         128
        .size:           4
        .value_kind:     by_value
      - .offset:         136
        .size:           4
        .value_kind:     hidden_block_count_x
      - .offset:         140
        .size:           4
        .value_kind:     hidden_block_count_y
      - .offset:         144
        .size:           4
        .value_kind:     hidden_block_count_z
      - .offset:         148
        .size:           2
        .value_kind:     hidden_group_size_x
      - .offset:         150
        .size:           2
        .value_kind:     hidden_group_size_y
      - .offset:         152
        .size:           2
        .value_kind:     hidden_group_size_z
      - .offset:         154
        .size:           2
        .value_kind:     hidden_remainder_x
      - .offset:         156
        .size:           2
        .value_kind:     hidden_remainder_y
      - .offset:         158
        .size:           2
        .value_kind:     hidden_remainder_z
      - .offset:         176
        .size:           8
        .value_kind:     hidden_global_offset_x
      - .offset:         184
        .size:           8
        .value_kind:     hidden_global_offset_y
      - .offset:         192
        .size:           8
        .value_kind:     hidden_global_offset_z
      - .offset:         200
        .size:           2
        .value_kind:     hidden_grid_dims
    .group_segment_fixed_size: 19200
    .kernarg_segment_align: 8
    .kernarg_segment_size: 392
    .language:       OpenCL C
    .language_version:
      - 2
      - 0
    .max_flat_workgroup_size: 256
    .name:           _ZL26rocblas_hemvn_kernel_lowerILb0ELi64ELi4ELi33ELi32ELi16Ei19rocblas_complex_numIdEPKS1_PS1_EviT6_lT7_lT5_lS6_lS7_lS5_lT8_i
    .private_segment_fixed_size: 0
    .sgpr_count:     70
    .sgpr_spill_count: 0
    .symbol:         _ZL26rocblas_hemvn_kernel_lowerILb0ELi64ELi4ELi33ELi32ELi16Ei19rocblas_complex_numIdEPKS1_PS1_EviT6_lT7_lT5_lS6_lS7_lS5_lT8_i.kd
    .uniform_work_group_size: 1
    .uses_dynamic_stack: false
    .vgpr_count:     251
    .vgpr_spill_count: 0
    .wavefront_size: 32
    .workgroup_processor_mode: 1
  - .args:
      - .offset:         0
        .size:           1
        .value_kind:     by_value
      - .offset:         4
        .size:           4
        .value_kind:     by_value
      - .offset:         8
        .size:           8
        .value_kind:     by_value
      - .offset:         16
        .size:           8
        .value_kind:     by_value
      - .address_space:  global
        .offset:         24
        .size:           8
        .value_kind:     global_buffer
      - .offset:         32
        .size:           8
        .value_kind:     by_value
      - .offset:         40
        .size:           8
        .value_kind:     by_value
      - .offset:         48
        .size:           8
        .value_kind:     by_value
      - .address_space:  global
        .offset:         56
        .size:           8
        .value_kind:     global_buffer
      - .offset:         64
        .size:           8
        .value_kind:     by_value
      - .offset:         72
        .size:           8
        .value_kind:     by_value
      - .offset:         80
        .size:           8
        .value_kind:     by_value
      - .offset:         88
        .size:           8
        .value_kind:     by_value
      - .offset:         96
        .size:           8
        .value_kind:     by_value
      - .actual_access:  read_only
        .address_space:  global
        .offset:         104
        .size:           8
        .value_kind:     global_buffer
      - .offset:         112
        .size:           8
        .value_kind:     by_value
      - .offset:         120
        .size:           8
        .value_kind:     by_value
      - .offset:         128
        .size:           8
        .value_kind:     by_value
      - .offset:         136
        .size:           4
        .value_kind:     by_value
    .group_segment_fixed_size: 7296
    .kernarg_segment_align: 8
    .kernarg_segment_size: 140
    .language:       OpenCL C
    .language_version:
      - 2
      - 0
    .max_flat_workgroup_size: 128
    .name:           _ZL50rocblas_symv_kernel_upper_double_buffered_diagonalILi32ELi4E24rocblas_internal_val_ptrIfEPKPKfPKPfEvbiT1_lT2_lllSA_lllS9_lT3_llli
    .private_segment_fixed_size: 0
    .sgpr_count:     52
    .sgpr_spill_count: 0
    .symbol:         _ZL50rocblas_symv_kernel_upper_double_buffered_diagonalILi32ELi4E24rocblas_internal_val_ptrIfEPKPKfPKPfEvbiT1_lT2_lllSA_lllS9_lT3_llli.kd
    .uniform_work_group_size: 1
    .uses_dynamic_stack: false
    .vgpr_count:     42
    .vgpr_spill_count: 0
    .wavefront_size: 32
    .workgroup_processor_mode: 1
  - .args:
      - .offset:         0
        .size:           1
        .value_kind:     by_value
      - .offset:         4
        .size:           4
        .value_kind:     by_value
      - .offset:         8
        .size:           8
        .value_kind:     by_value
      - .offset:         16
        .size:           8
        .value_kind:     by_value
      - .address_space:  global
        .offset:         24
        .size:           8
        .value_kind:     global_buffer
      - .offset:         32
        .size:           8
        .value_kind:     by_value
      - .offset:         40
        .size:           8
        .value_kind:     by_value
      - .offset:         48
        .size:           8
        .value_kind:     by_value
      - .address_space:  global
        .offset:         56
        .size:           8
        .value_kind:     global_buffer
      - .offset:         64
        .size:           8
        .value_kind:     by_value
      - .offset:         72
        .size:           8
        .value_kind:     by_value
      - .offset:         80
        .size:           8
        .value_kind:     by_value
      - .actual_access:  read_only
        .address_space:  global
        .offset:         88
        .size:           8
        .value_kind:     global_buffer
      - .offset:         96
        .size:           8
        .value_kind:     by_value
      - .offset:         104
        .size:           8
        .value_kind:     by_value
      - .offset:         112
        .size:           8
        .value_kind:     by_value
      - .offset:         120
        .size:           4
        .value_kind:     by_value
      - .offset:         128
        .size:           4
        .value_kind:     hidden_block_count_x
      - .offset:         132
        .size:           4
        .value_kind:     hidden_block_count_y
      - .offset:         136
        .size:           4
        .value_kind:     hidden_block_count_z
      - .offset:         140
        .size:           2
        .value_kind:     hidden_group_size_x
      - .offset:         142
        .size:           2
        .value_kind:     hidden_group_size_y
      - .offset:         144
        .size:           2
        .value_kind:     hidden_group_size_z
      - .offset:         146
        .size:           2
        .value_kind:     hidden_remainder_x
      - .offset:         148
        .size:           2
        .value_kind:     hidden_remainder_y
      - .offset:         150
        .size:           2
        .value_kind:     hidden_remainder_z
      - .offset:         168
        .size:           8
        .value_kind:     hidden_global_offset_x
      - .offset:         176
        .size:           8
        .value_kind:     hidden_global_offset_y
      - .offset:         184
        .size:           8
        .value_kind:     hidden_global_offset_z
      - .offset:         192
        .size:           2
        .value_kind:     hidden_grid_dims
    .group_segment_fixed_size: 4224
    .kernarg_segment_align: 8
    .kernarg_segment_size: 384
    .language:       OpenCL C
    .language_version:
      - 2
      - 0
    .max_flat_workgroup_size: 128
    .name:           _ZL54rocblas_symv_kernel_upper_double_buffered_non_diagonalILi32ELi4ELi4E24rocblas_internal_val_ptrIfEPKPKfPKPfEvbiT2_lT3_lllSA_lllT4_llli
    .private_segment_fixed_size: 0
    .sgpr_count:     58
    .sgpr_spill_count: 0
    .symbol:         _ZL54rocblas_symv_kernel_upper_double_buffered_non_diagonalILi32ELi4ELi4E24rocblas_internal_val_ptrIfEPKPKfPKPfEvbiT2_lT3_lllSA_lllT4_llli.kd
    .uniform_work_group_size: 1
    .uses_dynamic_stack: false
    .vgpr_count:     89
    .vgpr_spill_count: 0
    .wavefront_size: 32
    .workgroup_processor_mode: 1
  - .args:
      - .offset:         0
        .size:           1
        .value_kind:     by_value
      - .offset:         4
        .size:           4
        .value_kind:     by_value
      - .offset:         8
        .size:           8
        .value_kind:     by_value
      - .offset:         16
        .size:           8
        .value_kind:     by_value
      - .address_space:  global
        .offset:         24
        .size:           8
        .value_kind:     global_buffer
      - .offset:         32
        .size:           8
        .value_kind:     by_value
      - .offset:         40
        .size:           8
        .value_kind:     by_value
      - .offset:         48
        .size:           8
        .value_kind:     by_value
      - .address_space:  global
        .offset:         56
        .size:           8
        .value_kind:     global_buffer
      - .offset:         64
        .size:           8
        .value_kind:     by_value
      - .offset:         72
        .size:           8
        .value_kind:     by_value
      - .offset:         80
        .size:           8
        .value_kind:     by_value
      - .offset:         88
        .size:           8
        .value_kind:     by_value
      - .offset:         96
        .size:           8
        .value_kind:     by_value
      - .actual_access:  read_only
        .address_space:  global
        .offset:         104
        .size:           8
        .value_kind:     global_buffer
      - .offset:         112
        .size:           8
        .value_kind:     by_value
      - .offset:         120
        .size:           8
        .value_kind:     by_value
      - .offset:         128
        .size:           8
        .value_kind:     by_value
      - .offset:         136
        .size:           4
        .value_kind:     by_value
      - .offset:         140
        .size:           4
        .value_kind:     by_value
      - .offset:         144
        .size:           4
        .value_kind:     hidden_block_count_x
      - .offset:         148
        .size:           4
        .value_kind:     hidden_block_count_y
      - .offset:         152
        .size:           4
        .value_kind:     hidden_block_count_z
      - .offset:         156
        .size:           2
        .value_kind:     hidden_group_size_x
      - .offset:         158
        .size:           2
        .value_kind:     hidden_group_size_y
      - .offset:         160
        .size:           2
        .value_kind:     hidden_group_size_z
      - .offset:         162
        .size:           2
        .value_kind:     hidden_remainder_x
      - .offset:         164
        .size:           2
        .value_kind:     hidden_remainder_y
      - .offset:         166
        .size:           2
        .value_kind:     hidden_remainder_z
      - .offset:         184
        .size:           8
        .value_kind:     hidden_global_offset_x
      - .offset:         192
        .size:           8
        .value_kind:     hidden_global_offset_y
      - .offset:         200
        .size:           8
        .value_kind:     hidden_global_offset_z
      - .offset:         208
        .size:           2
        .value_kind:     hidden_grid_dims
    .group_segment_fixed_size: 10368
    .kernarg_segment_align: 8
    .kernarg_segment_size: 400
    .language:       OpenCL C
    .language_version:
      - 2
      - 0
    .max_flat_workgroup_size: 256
    .name:           _ZL58rocblas_symv_kernel_upper_double_buffered_diagonal_genericILi32ELi8E24rocblas_internal_val_ptrIfEPKPKfPKPfEvbiT1_lT2_lllSA_lllS9_lT3_lllii
    .private_segment_fixed_size: 0
    .sgpr_count:     54
    .sgpr_spill_count: 0
    .symbol:         _ZL58rocblas_symv_kernel_upper_double_buffered_diagonal_genericILi32ELi8E24rocblas_internal_val_ptrIfEPKPKfPKPfEvbiT1_lT2_lllSA_lllS9_lT3_lllii.kd
    .uniform_work_group_size: 1
    .uses_dynamic_stack: false
    .vgpr_count:     37
    .vgpr_spill_count: 0
    .wavefront_size: 32
    .workgroup_processor_mode: 1
  - .args:
      - .offset:         0
        .size:           1
        .value_kind:     by_value
      - .offset:         4
        .size:           4
        .value_kind:     by_value
      - .offset:         8
        .size:           8
        .value_kind:     by_value
      - .offset:         16
        .size:           8
        .value_kind:     by_value
      - .address_space:  global
        .offset:         24
        .size:           8
        .value_kind:     global_buffer
      - .offset:         32
        .size:           8
        .value_kind:     by_value
      - .offset:         40
        .size:           8
        .value_kind:     by_value
      - .offset:         48
        .size:           8
        .value_kind:     by_value
      - .address_space:  global
        .offset:         56
        .size:           8
        .value_kind:     global_buffer
      - .offset:         64
        .size:           8
        .value_kind:     by_value
      - .offset:         72
        .size:           8
        .value_kind:     by_value
      - .offset:         80
        .size:           8
        .value_kind:     by_value
      - .actual_access:  read_only
        .address_space:  global
        .offset:         88
        .size:           8
        .value_kind:     global_buffer
      - .offset:         96
        .size:           8
        .value_kind:     by_value
      - .offset:         104
        .size:           8
        .value_kind:     by_value
      - .offset:         112
        .size:           8
        .value_kind:     by_value
      - .offset:         120
        .size:           4
        .value_kind:     by_value
      - .offset:         124
        .size:           4
        .value_kind:     by_value
      - .offset:         128
        .size:           4
        .value_kind:     hidden_block_count_x
      - .offset:         132
        .size:           4
        .value_kind:     hidden_block_count_y
      - .offset:         136
        .size:           4
        .value_kind:     hidden_block_count_z
      - .offset:         140
        .size:           2
        .value_kind:     hidden_group_size_x
      - .offset:         142
        .size:           2
        .value_kind:     hidden_group_size_y
      - .offset:         144
        .size:           2
        .value_kind:     hidden_group_size_z
      - .offset:         146
        .size:           2
        .value_kind:     hidden_remainder_x
      - .offset:         148
        .size:           2
        .value_kind:     hidden_remainder_y
      - .offset:         150
        .size:           2
        .value_kind:     hidden_remainder_z
      - .offset:         168
        .size:           8
        .value_kind:     hidden_global_offset_x
      - .offset:         176
        .size:           8
        .value_kind:     hidden_global_offset_y
      - .offset:         184
        .size:           8
        .value_kind:     hidden_global_offset_z
      - .offset:         192
        .size:           2
        .value_kind:     hidden_grid_dims
    .group_segment_fixed_size: 6272
    .kernarg_segment_align: 8
    .kernarg_segment_size: 384
    .language:       OpenCL C
    .language_version:
      - 2
      - 0
    .max_flat_workgroup_size: 256
    .name:           _ZL62rocblas_symv_kernel_upper_double_buffered_non_diagonal_genericILi32ELi8ELi2ELi0E24rocblas_internal_val_ptrIfEPKPKfPKPfEvbiT3_lT4_lllSA_lllT5_lllii
    .private_segment_fixed_size: 0
    .sgpr_count:     64
    .sgpr_spill_count: 0
    .symbol:         _ZL62rocblas_symv_kernel_upper_double_buffered_non_diagonal_genericILi32ELi8ELi2ELi0E24rocblas_internal_val_ptrIfEPKPKfPKPfEvbiT3_lT4_lllSA_lllT5_lllii.kd
    .uniform_work_group_size: 1
    .uses_dynamic_stack: false
    .vgpr_count:     74
    .vgpr_spill_count: 0
    .wavefront_size: 32
    .workgroup_processor_mode: 1
  - .args:
      - .offset:         0
        .size:           1
        .value_kind:     by_value
      - .offset:         4
        .size:           4
        .value_kind:     by_value
      - .offset:         8
        .size:           8
        .value_kind:     by_value
      - .offset:         16
        .size:           8
        .value_kind:     by_value
      - .address_space:  global
        .offset:         24
        .size:           8
        .value_kind:     global_buffer
      - .offset:         32
        .size:           8
        .value_kind:     by_value
      - .offset:         40
        .size:           8
        .value_kind:     by_value
      - .offset:         48
        .size:           8
        .value_kind:     by_value
      - .address_space:  global
        .offset:         56
        .size:           8
        .value_kind:     global_buffer
      - .offset:         64
        .size:           8
        .value_kind:     by_value
      - .offset:         72
        .size:           8
        .value_kind:     by_value
      - .offset:         80
        .size:           8
        .value_kind:     by_value
      - .actual_access:  read_only
        .address_space:  global
        .offset:         88
        .size:           8
        .value_kind:     global_buffer
      - .offset:         96
        .size:           8
        .value_kind:     by_value
      - .offset:         104
        .size:           8
        .value_kind:     by_value
      - .offset:         112
        .size:           8
        .value_kind:     by_value
      - .offset:         120
        .size:           4
        .value_kind:     by_value
      - .offset:         124
        .size:           4
        .value_kind:     by_value
      - .offset:         128
        .size:           4
        .value_kind:     hidden_block_count_x
      - .offset:         132
        .size:           4
        .value_kind:     hidden_block_count_y
      - .offset:         136
        .size:           4
        .value_kind:     hidden_block_count_z
      - .offset:         140
        .size:           2
        .value_kind:     hidden_group_size_x
      - .offset:         142
        .size:           2
        .value_kind:     hidden_group_size_y
      - .offset:         144
        .size:           2
        .value_kind:     hidden_group_size_z
      - .offset:         146
        .size:           2
        .value_kind:     hidden_remainder_x
      - .offset:         148
        .size:           2
        .value_kind:     hidden_remainder_y
      - .offset:         150
        .size:           2
        .value_kind:     hidden_remainder_z
      - .offset:         168
        .size:           8
        .value_kind:     hidden_global_offset_x
      - .offset:         176
        .size:           8
        .value_kind:     hidden_global_offset_y
      - .offset:         184
        .size:           8
        .value_kind:     hidden_global_offset_z
      - .offset:         192
        .size:           2
        .value_kind:     hidden_grid_dims
    .group_segment_fixed_size: 6272
    .kernarg_segment_align: 8
    .kernarg_segment_size: 384
    .language:       OpenCL C
    .language_version:
      - 2
      - 0
    .max_flat_workgroup_size: 256
    .name:           _ZL62rocblas_symv_kernel_upper_double_buffered_non_diagonal_genericILi32ELi8ELi2ELi1E24rocblas_internal_val_ptrIfEPKPKfPKPfEvbiT3_lT4_lllSA_lllT5_lllii
    .private_segment_fixed_size: 0
    .sgpr_count:     64
    .sgpr_spill_count: 0
    .symbol:         _ZL62rocblas_symv_kernel_upper_double_buffered_non_diagonal_genericILi32ELi8ELi2ELi1E24rocblas_internal_val_ptrIfEPKPKfPKPfEvbiT3_lT4_lllSA_lllT5_lllii.kd
    .uniform_work_group_size: 1
    .uses_dynamic_stack: false
    .vgpr_count:     75
    .vgpr_spill_count: 0
    .wavefront_size: 32
    .workgroup_processor_mode: 1
  - .args:
      - .offset:         0
        .size:           4
        .value_kind:     by_value
      - .address_space:  global
        .offset:         8
        .size:           8
        .value_kind:     global_buffer
      - .offset:         16
        .size:           8
        .value_kind:     by_value
      - .address_space:  global
        .offset:         24
        .size:           8
        .value_kind:     global_buffer
      - .offset:         32
        .size:           8
        .value_kind:     by_value
      - .offset:         40
        .size:           8
        .value_kind:     by_value
      - .offset:         48
        .size:           8
        .value_kind:     by_value
      - .address_space:  global
        .offset:         56
        .size:           8
        .value_kind:     global_buffer
      - .offset:         64
        .size:           8
        .value_kind:     by_value
      - .offset:         72
        .size:           8
        .value_kind:     by_value
      - .offset:         80
        .size:           8
        .value_kind:     by_value
      - .address_space:  global
        .offset:         88
        .size:           8
        .value_kind:     global_buffer
      - .offset:         96
        .size:           8
        .value_kind:     by_value
      - .address_space:  global
        .offset:         104
        .size:           8
        .value_kind:     global_buffer
      - .offset:         112
        .size:           4
        .value_kind:     by_value
      - .offset:         120
        .size:           4
        .value_kind:     hidden_block_count_x
      - .offset:         124
        .size:           4
        .value_kind:     hidden_block_count_y
      - .offset:         128
        .size:           4
        .value_kind:     hidden_block_count_z
      - .offset:         132
        .size:           2
        .value_kind:     hidden_group_size_x
      - .offset:         134
        .size:           2
        .value_kind:     hidden_group_size_y
      - .offset:         136
        .size:           2
        .value_kind:     hidden_group_size_z
      - .offset:         138
        .size:           2
        .value_kind:     hidden_remainder_x
      - .offset:         140
        .size:           2
        .value_kind:     hidden_remainder_y
      - .offset:         142
        .size:           2
        .value_kind:     hidden_remainder_z
      - .offset:         160
        .size:           8
        .value_kind:     hidden_global_offset_x
      - .offset:         168
        .size:           8
        .value_kind:     hidden_global_offset_y
      - .offset:         176
        .size:           8
        .value_kind:     hidden_global_offset_z
      - .offset:         184
        .size:           2
        .value_kind:     hidden_grid_dims
    .group_segment_fixed_size: 4800
    .kernarg_segment_align: 8
    .kernarg_segment_size: 376
    .language:       OpenCL C
    .language_version:
      - 2
      - 0
    .max_flat_workgroup_size: 256
    .name:           _ZL26rocblas_hemvn_kernel_upperILb0ELi64ELi4ELi33ELi32ELi16ElPKfPKS1_PfEviT6_lT7_lT5_lS6_lS7_lS5_lT8_i
    .private_segment_fixed_size: 0
    .sgpr_count:     82
    .sgpr_spill_count: 0
    .symbol:         _ZL26rocblas_hemvn_kernel_upperILb0ELi64ELi4ELi33ELi32ELi16ElPKfPKS1_PfEviT6_lT7_lT5_lS6_lS7_lS5_lT8_i.kd
    .uniform_work_group_size: 1
    .uses_dynamic_stack: false
    .vgpr_count:     164
    .vgpr_spill_count: 0
    .wavefront_size: 32
    .workgroup_processor_mode: 1
  - .args:
      - .offset:         0
        .size:           4
        .value_kind:     by_value
      - .address_space:  global
        .offset:         8
        .size:           8
        .value_kind:     global_buffer
      - .offset:         16
        .size:           8
        .value_kind:     by_value
      - .address_space:  global
        .offset:         24
        .size:           8
        .value_kind:     global_buffer
      - .offset:         32
        .size:           8
        .value_kind:     by_value
      - .actual_access:  read_only
        .address_space:  global
        .offset:         40
        .size:           8
        .value_kind:     global_buffer
      - .offset:         48
        .size:           8
        .value_kind:     by_value
      - .offset:         56
        .size:           8
        .value_kind:     by_value
      - .offset:         64
        .size:           8
        .value_kind:     by_value
      - .address_space:  global
        .offset:         72
        .size:           8
        .value_kind:     global_buffer
      - .offset:         80
        .size:           4
        .value_kind:     by_value
      - .offset:         88
        .size:           4
        .value_kind:     hidden_block_count_x
      - .offset:         92
        .size:           4
        .value_kind:     hidden_block_count_y
      - .offset:         96
        .size:           4
        .value_kind:     hidden_block_count_z
      - .offset:         100
        .size:           2
        .value_kind:     hidden_group_size_x
      - .offset:         102
        .size:           2
        .value_kind:     hidden_group_size_y
      - .offset:         104
        .size:           2
        .value_kind:     hidden_group_size_z
      - .offset:         106
        .size:           2
        .value_kind:     hidden_remainder_x
      - .offset:         108
        .size:           2
        .value_kind:     hidden_remainder_y
      - .offset:         110
        .size:           2
        .value_kind:     hidden_remainder_z
      - .offset:         128
        .size:           8
        .value_kind:     hidden_global_offset_x
      - .offset:         136
        .size:           8
        .value_kind:     hidden_global_offset_y
      - .offset:         144
        .size:           8
        .value_kind:     hidden_global_offset_z
      - .offset:         152
        .size:           2
        .value_kind:     hidden_grid_dims
    .group_segment_fixed_size: 0
    .kernarg_segment_align: 8
    .kernarg_segment_size: 344
    .language:       OpenCL C
    .language_version:
      - 2
      - 0
    .max_flat_workgroup_size: 64
    .name:           _ZL36rocblas_hemvn_kernel_upper_block_sumILi64ElPKfPKPffEviT1_lS5_lT2_lT0_lPT3_i
    .private_segment_fixed_size: 0
    .sgpr_count:     32
    .sgpr_spill_count: 0
    .symbol:         _ZL36rocblas_hemvn_kernel_upper_block_sumILi64ElPKfPKPffEviT1_lS5_lT2_lT0_lPT3_i.kd
    .uniform_work_group_size: 1
    .uses_dynamic_stack: false
    .vgpr_count:     10
    .vgpr_spill_count: 0
    .wavefront_size: 32
    .workgroup_processor_mode: 1
  - .args:
      - .offset:         0
        .size:           4
        .value_kind:     by_value
      - .address_space:  global
        .offset:         8
        .size:           8
        .value_kind:     global_buffer
      - .offset:         16
        .size:           8
        .value_kind:     by_value
      - .address_space:  global
        .offset:         24
        .size:           8
        .value_kind:     global_buffer
      - .offset:         32
        .size:           8
        .value_kind:     by_value
      - .offset:         40
        .size:           4
        .value_kind:     by_value
      - .offset:         48
        .size:           8
        .value_kind:     by_value
      - .address_space:  global
        .offset:         56
        .size:           8
        .value_kind:     global_buffer
      - .offset:         64
        .size:           8
        .value_kind:     by_value
      - .offset:         72
        .size:           4
        .value_kind:     by_value
      - .offset:         80
        .size:           8
        .value_kind:     by_value
      - .address_space:  global
        .offset:         88
        .size:           8
        .value_kind:     global_buffer
      - .offset:         96
        .size:           8
        .value_kind:     by_value
      - .address_space:  global
        .offset:         104
        .size:           8
        .value_kind:     global_buffer
      - .offset:         112
        .size:           4
        .value_kind:     by_value
      - .offset:         120
        .size:           4
        .value_kind:     hidden_block_count_x
      - .offset:         124
        .size:           4
        .value_kind:     hidden_block_count_y
      - .offset:         128
        .size:           4
        .value_kind:     hidden_block_count_z
      - .offset:         132
        .size:           2
        .value_kind:     hidden_group_size_x
      - .offset:         134
        .size:           2
        .value_kind:     hidden_group_size_y
      - .offset:         136
        .size:           2
        .value_kind:     hidden_group_size_z
      - .offset:         138
        .size:           2
        .value_kind:     hidden_remainder_x
      - .offset:         140
        .size:           2
        .value_kind:     hidden_remainder_y
      - .offset:         142
        .size:           2
        .value_kind:     hidden_remainder_z
      - .offset:         160
        .size:           8
        .value_kind:     hidden_global_offset_x
      - .offset:         168
        .size:           8
        .value_kind:     hidden_global_offset_y
      - .offset:         176
        .size:           8
        .value_kind:     hidden_global_offset_z
      - .offset:         184
        .size:           2
        .value_kind:     hidden_grid_dims
    .group_segment_fixed_size: 4800
    .kernarg_segment_align: 8
    .kernarg_segment_size: 376
    .language:       OpenCL C
    .language_version:
      - 2
      - 0
    .max_flat_workgroup_size: 256
    .name:           _ZL26rocblas_hemvn_kernel_upperILb0ELi64ELi4ELi33ELi32ELi16EiPKfPKS1_PfEviT6_lT7_lT5_lS6_lS7_lS5_lT8_i
    .private_segment_fixed_size: 0
    .sgpr_count:     107
    .sgpr_spill_count: 5
    .symbol:         _ZL26rocblas_hemvn_kernel_upperILb0ELi64ELi4ELi33ELi32ELi16EiPKfPKS1_PfEviT6_lT7_lT5_lS6_lS7_lS5_lT8_i.kd
    .uniform_work_group_size: 1
    .uses_dynamic_stack: false
    .vgpr_count:     170
    .vgpr_spill_count: 0
    .wavefront_size: 32
    .workgroup_processor_mode: 1
  - .args:
      - .offset:         0
        .size:           4
        .value_kind:     by_value
      - .address_space:  global
        .offset:         8
        .size:           8
        .value_kind:     global_buffer
      - .offset:         16
        .size:           8
        .value_kind:     by_value
      - .address_space:  global
        .offset:         24
        .size:           8
        .value_kind:     global_buffer
      - .offset:         32
        .size:           8
        .value_kind:     by_value
      - .actual_access:  read_only
        .address_space:  global
        .offset:         40
        .size:           8
        .value_kind:     global_buffer
      - .offset:         48
        .size:           8
        .value_kind:     by_value
      - .offset:         56
        .size:           4
        .value_kind:     by_value
      - .offset:         64
        .size:           8
        .value_kind:     by_value
      - .address_space:  global
        .offset:         72
        .size:           8
        .value_kind:     global_buffer
      - .offset:         80
        .size:           4
        .value_kind:     by_value
      - .offset:         88
        .size:           4
        .value_kind:     hidden_block_count_x
      - .offset:         92
        .size:           4
        .value_kind:     hidden_block_count_y
      - .offset:         96
        .size:           4
        .value_kind:     hidden_block_count_z
      - .offset:         100
        .size:           2
        .value_kind:     hidden_group_size_x
      - .offset:         102
        .size:           2
        .value_kind:     hidden_group_size_y
      - .offset:         104
        .size:           2
        .value_kind:     hidden_group_size_z
      - .offset:         106
        .size:           2
        .value_kind:     hidden_remainder_x
      - .offset:         108
        .size:           2
        .value_kind:     hidden_remainder_y
      - .offset:         110
        .size:           2
        .value_kind:     hidden_remainder_z
      - .offset:         128
        .size:           8
        .value_kind:     hidden_global_offset_x
      - .offset:         136
        .size:           8
        .value_kind:     hidden_global_offset_y
      - .offset:         144
        .size:           8
        .value_kind:     hidden_global_offset_z
      - .offset:         152
        .size:           2
        .value_kind:     hidden_grid_dims
    .group_segment_fixed_size: 0
    .kernarg_segment_align: 8
    .kernarg_segment_size: 344
    .language:       OpenCL C
    .language_version:
      - 2
      - 0
    .max_flat_workgroup_size: 64
    .name:           _ZL36rocblas_hemvn_kernel_upper_block_sumILi64EiPKfPKPffEviT1_lS5_lT2_lT0_lPT3_i
    .private_segment_fixed_size: 0
    .sgpr_count:     32
    .sgpr_spill_count: 0
    .symbol:         _ZL36rocblas_hemvn_kernel_upper_block_sumILi64EiPKfPKPffEviT1_lS5_lT2_lT0_lPT3_i.kd
    .uniform_work_group_size: 1
    .uses_dynamic_stack: false
    .vgpr_count:     10
    .vgpr_spill_count: 0
    .wavefront_size: 32
    .workgroup_processor_mode: 1
  - .args:
      - .offset:         0
        .size:           4
        .value_kind:     by_value
      - .offset:         4
        .size:           4
        .value_kind:     by_value
      - .offset:         8
        .size:           8
        .value_kind:     by_value
      - .address_space:  global
        .offset:         16
        .size:           8
        .value_kind:     global_buffer
      - .offset:         24
        .size:           8
        .value_kind:     by_value
      - .offset:         32
        .size:           8
        .value_kind:     by_value
      - .offset:         40
        .size:           8
        .value_kind:     by_value
      - .address_space:  global
        .offset:         48
        .size:           8
        .value_kind:     global_buffer
      - .offset:         56
        .size:           8
        .value_kind:     by_value
      - .offset:         64
        .size:           8
        .value_kind:     by_value
      - .offset:         72
        .size:           8
        .value_kind:     by_value
      - .offset:         80
        .size:           4
        .value_kind:     by_value
      - .offset:         88
        .size:           8
        .value_kind:     by_value
      - .address_space:  global
        .offset:         96
        .size:           8
        .value_kind:     global_buffer
      - .offset:         104
        .size:           4
        .value_kind:     by_value
      - .offset:         112
        .size:           4
        .value_kind:     hidden_block_count_x
      - .offset:         116
        .size:           4
        .value_kind:     hidden_block_count_y
      - .offset:         120
        .size:           4
        .value_kind:     hidden_block_count_z
      - .offset:         124
        .size:           2
        .value_kind:     hidden_group_size_x
      - .offset:         126
        .size:           2
        .value_kind:     hidden_group_size_y
      - .offset:         128
        .size:           2
        .value_kind:     hidden_group_size_z
      - .offset:         130
        .size:           2
        .value_kind:     hidden_remainder_x
      - .offset:         132
        .size:           2
        .value_kind:     hidden_remainder_y
      - .offset:         134
        .size:           2
        .value_kind:     hidden_remainder_z
      - .offset:         152
        .size:           8
        .value_kind:     hidden_global_offset_x
      - .offset:         160
        .size:           8
        .value_kind:     hidden_global_offset_y
      - .offset:         168
        .size:           8
        .value_kind:     hidden_global_offset_z
      - .offset:         176
        .size:           2
        .value_kind:     hidden_grid_dims
    .group_segment_fixed_size: 4800
    .kernarg_segment_align: 8
    .kernarg_segment_size: 368
    .language:       OpenCL C
    .language_version:
      - 2
      - 0
    .max_flat_workgroup_size: 256
    .name:           _ZL26rocblas_hemvn_kernel_upperILb0ELi64ELi4ELi33ELi32ELi16ElfPKPKfPfEviT6_lT7_lT5_lS6_lS7_lS5_lT8_i
    .private_segment_fixed_size: 0
    .sgpr_count:     76
    .sgpr_spill_count: 0
    .symbol:         _ZL26rocblas_hemvn_kernel_upperILb0ELi64ELi4ELi33ELi32ELi16ElfPKPKfPfEviT6_lT7_lT5_lS6_lS7_lS5_lT8_i.kd
    .uniform_work_group_size: 1
    .uses_dynamic_stack: false
    .vgpr_count:     164
    .vgpr_spill_count: 0
    .wavefront_size: 32
    .workgroup_processor_mode: 1
  - .args:
      - .offset:         0
        .size:           4
        .value_kind:     by_value
      - .offset:         4
        .size:           4
        .value_kind:     by_value
      - .offset:         8
        .size:           8
        .value_kind:     by_value
      - .offset:         16
        .size:           4
        .value_kind:     by_value
      - .offset:         24
        .size:           8
        .value_kind:     by_value
      - .actual_access:  read_only
        .address_space:  global
        .offset:         32
        .size:           8
        .value_kind:     global_buffer
      - .offset:         40
        .size:           8
        .value_kind:     by_value
      - .offset:         48
        .size:           8
        .value_kind:     by_value
      - .offset:         56
        .size:           8
        .value_kind:     by_value
      - .address_space:  global
        .offset:         64
        .size:           8
        .value_kind:     global_buffer
      - .offset:         72
        .size:           4
        .value_kind:     by_value
      - .offset:         80
        .size:           4
        .value_kind:     hidden_block_count_x
      - .offset:         84
        .size:           4
        .value_kind:     hidden_block_count_y
      - .offset:         88
        .size:           4
        .value_kind:     hidden_block_count_z
      - .offset:         92
        .size:           2
        .value_kind:     hidden_group_size_x
      - .offset:         94
        .size:           2
        .value_kind:     hidden_group_size_y
      - .offset:         96
        .size:           2
        .value_kind:     hidden_group_size_z
      - .offset:         98
        .size:           2
        .value_kind:     hidden_remainder_x
      - .offset:         100
        .size:           2
        .value_kind:     hidden_remainder_y
      - .offset:         102
        .size:           2
        .value_kind:     hidden_remainder_z
      - .offset:         120
        .size:           8
        .value_kind:     hidden_global_offset_x
      - .offset:         128
        .size:           8
        .value_kind:     hidden_global_offset_y
      - .offset:         136
        .size:           8
        .value_kind:     hidden_global_offset_z
      - .offset:         144
        .size:           2
        .value_kind:     hidden_grid_dims
    .group_segment_fixed_size: 0
    .kernarg_segment_align: 8
    .kernarg_segment_size: 336
    .language:       OpenCL C
    .language_version:
      - 2
      - 0
    .max_flat_workgroup_size: 64
    .name:           _ZL36rocblas_hemvn_kernel_upper_block_sumILi64ElfPKPffEviT1_lS3_lT2_lT0_lPT3_i
    .private_segment_fixed_size: 0
    .sgpr_count:     28
    .sgpr_spill_count: 0
    .symbol:         _ZL36rocblas_hemvn_kernel_upper_block_sumILi64ElfPKPffEviT1_lS3_lT2_lT0_lPT3_i.kd
    .uniform_work_group_size: 1
    .uses_dynamic_stack: false
    .vgpr_count:     8
    .vgpr_spill_count: 0
    .wavefront_size: 32
    .workgroup_processor_mode: 1
  - .args:
      - .offset:         0
        .size:           4
        .value_kind:     by_value
      - .offset:         4
        .size:           4
        .value_kind:     by_value
      - .offset:         8
        .size:           8
        .value_kind:     by_value
      - .address_space:  global
        .offset:         16
        .size:           8
        .value_kind:     global_buffer
      - .offset:         24
        .size:           8
        .value_kind:     by_value
      - .offset:         32
        .size:           4
        .value_kind:     by_value
      - .offset:         40
        .size:           8
        .value_kind:     by_value
      - .address_space:  global
        .offset:         48
        .size:           8
        .value_kind:     global_buffer
      - .offset:         56
        .size:           8
        .value_kind:     by_value
      - .offset:         64
        .size:           4
        .value_kind:     by_value
      - .offset:         72
        .size:           8
        .value_kind:     by_value
      - .offset:         80
        .size:           4
        .value_kind:     by_value
      - .offset:         88
        .size:           8
        .value_kind:     by_value
      - .address_space:  global
        .offset:         96
        .size:           8
        .value_kind:     global_buffer
      - .offset:         104
        .size:           4
        .value_kind:     by_value
      - .offset:         112
        .size:           4
        .value_kind:     hidden_block_count_x
      - .offset:         116
        .size:           4
        .value_kind:     hidden_block_count_y
      - .offset:         120
        .size:           4
        .value_kind:     hidden_block_count_z
      - .offset:         124
        .size:           2
        .value_kind:     hidden_group_size_x
      - .offset:         126
        .size:           2
        .value_kind:     hidden_group_size_y
      - .offset:         128
        .size:           2
        .value_kind:     hidden_group_size_z
      - .offset:         130
        .size:           2
        .value_kind:     hidden_remainder_x
      - .offset:         132
        .size:           2
        .value_kind:     hidden_remainder_y
      - .offset:         134
        .size:           2
        .value_kind:     hidden_remainder_z
      - .offset:         152
        .size:           8
        .value_kind:     hidden_global_offset_x
      - .offset:         160
        .size:           8
        .value_kind:     hidden_global_offset_y
      - .offset:         168
        .size:           8
        .value_kind:     hidden_global_offset_z
      - .offset:         176
        .size:           2
        .value_kind:     hidden_grid_dims
    .group_segment_fixed_size: 4800
    .kernarg_segment_align: 8
    .kernarg_segment_size: 368
    .language:       OpenCL C
    .language_version:
      - 2
      - 0
    .max_flat_workgroup_size: 256
    .name:           _ZL26rocblas_hemvn_kernel_upperILb0ELi64ELi4ELi33ELi32ELi16EifPKPKfPfEviT6_lT7_lT5_lS6_lS7_lS5_lT8_i
    .private_segment_fixed_size: 0
    .sgpr_count:     105
    .sgpr_spill_count: 0
    .symbol:         _ZL26rocblas_hemvn_kernel_upperILb0ELi64ELi4ELi33ELi32ELi16EifPKPKfPfEviT6_lT7_lT5_lS6_lS7_lS5_lT8_i.kd
    .uniform_work_group_size: 1
    .uses_dynamic_stack: false
    .vgpr_count:     166
    .vgpr_spill_count: 0
    .wavefront_size: 32
    .workgroup_processor_mode: 1
  - .args:
      - .offset:         0
        .size:           4
        .value_kind:     by_value
      - .offset:         4
        .size:           4
        .value_kind:     by_value
      - .offset:         8
        .size:           8
        .value_kind:     by_value
      - .offset:         16
        .size:           4
        .value_kind:     by_value
      - .offset:         24
        .size:           8
        .value_kind:     by_value
      - .actual_access:  read_only
        .address_space:  global
        .offset:         32
        .size:           8
        .value_kind:     global_buffer
      - .offset:         40
        .size:           8
        .value_kind:     by_value
      - .offset:         48
        .size:           4
        .value_kind:     by_value
      - .offset:         56
        .size:           8
        .value_kind:     by_value
      - .address_space:  global
        .offset:         64
        .size:           8
        .value_kind:     global_buffer
      - .offset:         72
        .size:           4
        .value_kind:     by_value
      - .offset:         80
        .size:           4
        .value_kind:     hidden_block_count_x
      - .offset:         84
        .size:           4
        .value_kind:     hidden_block_count_y
      - .offset:         88
        .size:           4
        .value_kind:     hidden_block_count_z
      - .offset:         92
        .size:           2
        .value_kind:     hidden_group_size_x
      - .offset:         94
        .size:           2
        .value_kind:     hidden_group_size_y
      - .offset:         96
        .size:           2
        .value_kind:     hidden_group_size_z
      - .offset:         98
        .size:           2
        .value_kind:     hidden_remainder_x
      - .offset:         100
        .size:           2
        .value_kind:     hidden_remainder_y
      - .offset:         102
        .size:           2
        .value_kind:     hidden_remainder_z
      - .offset:         120
        .size:           8
        .value_kind:     hidden_global_offset_x
      - .offset:         128
        .size:           8
        .value_kind:     hidden_global_offset_y
      - .offset:         136
        .size:           8
        .value_kind:     hidden_global_offset_z
      - .offset:         144
        .size:           2
        .value_kind:     hidden_grid_dims
    .group_segment_fixed_size: 0
    .kernarg_segment_align: 8
    .kernarg_segment_size: 336
    .language:       OpenCL C
    .language_version:
      - 2
      - 0
    .max_flat_workgroup_size: 64
    .name:           _ZL36rocblas_hemvn_kernel_upper_block_sumILi64EifPKPffEviT1_lS3_lT2_lT0_lPT3_i
    .private_segment_fixed_size: 0
    .sgpr_count:     28
    .sgpr_spill_count: 0
    .symbol:         _ZL36rocblas_hemvn_kernel_upper_block_sumILi64EifPKPffEviT1_lS3_lT2_lT0_lPT3_i.kd
    .uniform_work_group_size: 1
    .uses_dynamic_stack: false
    .vgpr_count:     8
    .vgpr_spill_count: 0
    .wavefront_size: 32
    .workgroup_processor_mode: 1
  - .args:
      - .offset:         0
        .size:           1
        .value_kind:     by_value
      - .offset:         4
        .size:           4
        .value_kind:     by_value
      - .offset:         8
        .size:           8
        .value_kind:     by_value
      - .offset:         16
        .size:           8
        .value_kind:     by_value
      - .address_space:  global
        .offset:         24
        .size:           8
        .value_kind:     global_buffer
      - .offset:         32
        .size:           8
        .value_kind:     by_value
      - .offset:         40
        .size:           8
        .value_kind:     by_value
      - .offset:         48
        .size:           8
        .value_kind:     by_value
      - .address_space:  global
        .offset:         56
        .size:           8
        .value_kind:     global_buffer
      - .offset:         64
        .size:           8
        .value_kind:     by_value
      - .offset:         72
        .size:           8
        .value_kind:     by_value
      - .offset:         80
        .size:           8
        .value_kind:     by_value
      - .offset:         88
        .size:           8
        .value_kind:     by_value
      - .offset:         96
        .size:           8
        .value_kind:     by_value
      - .actual_access:  read_only
        .address_space:  global
        .offset:         104
        .size:           8
        .value_kind:     global_buffer
      - .offset:         112
        .size:           8
        .value_kind:     by_value
      - .offset:         120
        .size:           8
        .value_kind:     by_value
      - .offset:         128
        .size:           8
        .value_kind:     by_value
      - .offset:         136
        .size:           4
        .value_kind:     by_value
    .group_segment_fixed_size: 7296
    .kernarg_segment_align: 8
    .kernarg_segment_size: 140
    .language:       OpenCL C
    .language_version:
      - 2
      - 0
    .max_flat_workgroup_size: 128
    .name:           _ZL50rocblas_symv_kernel_lower_double_buffered_diagonalILi32ELi4E24rocblas_internal_val_ptrIfEPKPKfPKPfEvbiT1_lT2_lllSA_lllS9_lT3_llli
    .private_segment_fixed_size: 0
    .sgpr_count:     50
    .sgpr_spill_count: 0
    .symbol:         _ZL50rocblas_symv_kernel_lower_double_buffered_diagonalILi32ELi4E24rocblas_internal_val_ptrIfEPKPKfPKPfEvbiT1_lT2_lllSA_lllS9_lT3_llli.kd
    .uniform_work_group_size: 1
    .uses_dynamic_stack: false
    .vgpr_count:     42
    .vgpr_spill_count: 0
    .wavefront_size: 32
    .workgroup_processor_mode: 1
  - .args:
      - .offset:         0
        .size:           1
        .value_kind:     by_value
      - .offset:         4
        .size:           4
        .value_kind:     by_value
      - .offset:         8
        .size:           8
        .value_kind:     by_value
      - .offset:         16
        .size:           8
        .value_kind:     by_value
      - .address_space:  global
        .offset:         24
        .size:           8
        .value_kind:     global_buffer
      - .offset:         32
        .size:           8
        .value_kind:     by_value
      - .offset:         40
        .size:           8
        .value_kind:     by_value
      - .offset:         48
        .size:           8
        .value_kind:     by_value
      - .address_space:  global
        .offset:         56
        .size:           8
        .value_kind:     global_buffer
      - .offset:         64
        .size:           8
        .value_kind:     by_value
      - .offset:         72
        .size:           8
        .value_kind:     by_value
      - .offset:         80
        .size:           8
        .value_kind:     by_value
      - .actual_access:  read_only
        .address_space:  global
        .offset:         88
        .size:           8
        .value_kind:     global_buffer
      - .offset:         96
        .size:           8
        .value_kind:     by_value
      - .offset:         104
        .size:           8
        .value_kind:     by_value
      - .offset:         112
        .size:           8
        .value_kind:     by_value
      - .offset:         120
        .size:           4
        .value_kind:     by_value
      - .offset:         128
        .size:           4
        .value_kind:     hidden_block_count_x
      - .offset:         132
        .size:           4
        .value_kind:     hidden_block_count_y
      - .offset:         136
        .size:           4
        .value_kind:     hidden_block_count_z
      - .offset:         140
        .size:           2
        .value_kind:     hidden_group_size_x
      - .offset:         142
        .size:           2
        .value_kind:     hidden_group_size_y
      - .offset:         144
        .size:           2
        .value_kind:     hidden_group_size_z
      - .offset:         146
        .size:           2
        .value_kind:     hidden_remainder_x
      - .offset:         148
        .size:           2
        .value_kind:     hidden_remainder_y
      - .offset:         150
        .size:           2
        .value_kind:     hidden_remainder_z
      - .offset:         168
        .size:           8
        .value_kind:     hidden_global_offset_x
      - .offset:         176
        .size:           8
        .value_kind:     hidden_global_offset_y
      - .offset:         184
        .size:           8
        .value_kind:     hidden_global_offset_z
      - .offset:         192
        .size:           2
        .value_kind:     hidden_grid_dims
    .group_segment_fixed_size: 4224
    .kernarg_segment_align: 8
    .kernarg_segment_size: 384
    .language:       OpenCL C
    .language_version:
      - 2
      - 0
    .max_flat_workgroup_size: 128
    .name:           _ZL54rocblas_symv_kernel_lower_double_buffered_non_diagonalILi32ELi4ELi4E24rocblas_internal_val_ptrIfEPKPKfPKPfEvbiT2_lT3_lllSA_lllT4_llli
    .private_segment_fixed_size: 0
    .sgpr_count:     59
    .sgpr_spill_count: 0
    .symbol:         _ZL54rocblas_symv_kernel_lower_double_buffered_non_diagonalILi32ELi4ELi4E24rocblas_internal_val_ptrIfEPKPKfPKPfEvbiT2_lT3_lllSA_lllT4_llli.kd
    .uniform_work_group_size: 1
    .uses_dynamic_stack: false
    .vgpr_count:     78
    .vgpr_spill_count: 0
    .wavefront_size: 32
    .workgroup_processor_mode: 1
  - .args:
      - .offset:         0
        .size:           1
        .value_kind:     by_value
      - .offset:         4
        .size:           4
        .value_kind:     by_value
      - .offset:         8
        .size:           8
        .value_kind:     by_value
      - .offset:         16
        .size:           8
        .value_kind:     by_value
      - .address_space:  global
        .offset:         24
        .size:           8
        .value_kind:     global_buffer
      - .offset:         32
        .size:           8
        .value_kind:     by_value
      - .offset:         40
        .size:           8
        .value_kind:     by_value
      - .offset:         48
        .size:           8
        .value_kind:     by_value
      - .address_space:  global
        .offset:         56
        .size:           8
        .value_kind:     global_buffer
      - .offset:         64
        .size:           8
        .value_kind:     by_value
      - .offset:         72
        .size:           8
        .value_kind:     by_value
      - .offset:         80
        .size:           8
        .value_kind:     by_value
      - .offset:         88
        .size:           8
        .value_kind:     by_value
      - .offset:         96
        .size:           8
        .value_kind:     by_value
      - .actual_access:  read_only
        .address_space:  global
        .offset:         104
        .size:           8
        .value_kind:     global_buffer
      - .offset:         112
        .size:           8
        .value_kind:     by_value
      - .offset:         120
        .size:           8
        .value_kind:     by_value
      - .offset:         128
        .size:           8
        .value_kind:     by_value
      - .offset:         136
        .size:           4
        .value_kind:     by_value
      - .offset:         140
        .size:           4
        .value_kind:     by_value
      - .offset:         144
        .size:           4
        .value_kind:     hidden_block_count_x
      - .offset:         148
        .size:           4
        .value_kind:     hidden_block_count_y
      - .offset:         152
        .size:           4
        .value_kind:     hidden_block_count_z
      - .offset:         156
        .size:           2
        .value_kind:     hidden_group_size_x
      - .offset:         158
        .size:           2
        .value_kind:     hidden_group_size_y
      - .offset:         160
        .size:           2
        .value_kind:     hidden_group_size_z
      - .offset:         162
        .size:           2
        .value_kind:     hidden_remainder_x
      - .offset:         164
        .size:           2
        .value_kind:     hidden_remainder_y
      - .offset:         166
        .size:           2
        .value_kind:     hidden_remainder_z
      - .offset:         184
        .size:           8
        .value_kind:     hidden_global_offset_x
      - .offset:         192
        .size:           8
        .value_kind:     hidden_global_offset_y
      - .offset:         200
        .size:           8
        .value_kind:     hidden_global_offset_z
      - .offset:         208
        .size:           2
        .value_kind:     hidden_grid_dims
    .group_segment_fixed_size: 7296
    .kernarg_segment_align: 8
    .kernarg_segment_size: 400
    .language:       OpenCL C
    .language_version:
      - 2
      - 0
    .max_flat_workgroup_size: 128
    .name:           _ZL58rocblas_symv_kernel_lower_double_buffered_diagonal_genericILi32ELi4E24rocblas_internal_val_ptrIfEPKPKfPKPfEvbiT1_lT2_lllSA_lllS9_lT3_lllii
    .private_segment_fixed_size: 0
    .sgpr_count:     56
    .sgpr_spill_count: 0
    .symbol:         _ZL58rocblas_symv_kernel_lower_double_buffered_diagonal_genericILi32ELi4E24rocblas_internal_val_ptrIfEPKPKfPKPfEvbiT1_lT2_lllSA_lllS9_lT3_lllii.kd
    .uniform_work_group_size: 1
    .uses_dynamic_stack: false
    .vgpr_count:     49
    .vgpr_spill_count: 0
    .wavefront_size: 32
    .workgroup_processor_mode: 1
  - .args:
      - .offset:         0
        .size:           1
        .value_kind:     by_value
      - .offset:         4
        .size:           4
        .value_kind:     by_value
      - .offset:         8
        .size:           8
        .value_kind:     by_value
      - .offset:         16
        .size:           8
        .value_kind:     by_value
      - .address_space:  global
        .offset:         24
        .size:           8
        .value_kind:     global_buffer
      - .offset:         32
        .size:           8
        .value_kind:     by_value
      - .offset:         40
        .size:           8
        .value_kind:     by_value
      - .offset:         48
        .size:           8
        .value_kind:     by_value
      - .address_space:  global
        .offset:         56
        .size:           8
        .value_kind:     global_buffer
      - .offset:         64
        .size:           8
        .value_kind:     by_value
      - .offset:         72
        .size:           8
        .value_kind:     by_value
      - .offset:         80
        .size:           8
        .value_kind:     by_value
      - .actual_access:  read_only
        .address_space:  global
        .offset:         88
        .size:           8
        .value_kind:     global_buffer
      - .offset:         96
        .size:           8
        .value_kind:     by_value
      - .offset:         104
        .size:           8
        .value_kind:     by_value
      - .offset:         112
        .size:           8
        .value_kind:     by_value
      - .offset:         120
        .size:           4
        .value_kind:     by_value
      - .offset:         124
        .size:           4
        .value_kind:     by_value
      - .offset:         128
        .size:           4
        .value_kind:     hidden_block_count_x
      - .offset:         132
        .size:           4
        .value_kind:     hidden_block_count_y
      - .offset:         136
        .size:           4
        .value_kind:     hidden_block_count_z
      - .offset:         140
        .size:           2
        .value_kind:     hidden_group_size_x
      - .offset:         142
        .size:           2
        .value_kind:     hidden_group_size_y
      - .offset:         144
        .size:           2
        .value_kind:     hidden_group_size_z
      - .offset:         146
        .size:           2
        .value_kind:     hidden_remainder_x
      - .offset:         148
        .size:           2
        .value_kind:     hidden_remainder_y
      - .offset:         150
        .size:           2
        .value_kind:     hidden_remainder_z
      - .offset:         168
        .size:           8
        .value_kind:     hidden_global_offset_x
      - .offset:         176
        .size:           8
        .value_kind:     hidden_global_offset_y
      - .offset:         184
        .size:           8
        .value_kind:     hidden_global_offset_z
      - .offset:         192
        .size:           2
        .value_kind:     hidden_grid_dims
    .group_segment_fixed_size: 4224
    .kernarg_segment_align: 8
    .kernarg_segment_size: 384
    .language:       OpenCL C
    .language_version:
      - 2
      - 0
    .max_flat_workgroup_size: 128
    .name:           _ZL62rocblas_symv_kernel_lower_double_buffered_non_diagonal_genericILi32ELi4ELi4E24rocblas_internal_val_ptrIfEPKPKfPKPfEvbiT2_lT3_lllSA_lllT4_lllii
    .private_segment_fixed_size: 0
    .sgpr_count:     76
    .sgpr_spill_count: 0
    .symbol:         _ZL62rocblas_symv_kernel_lower_double_buffered_non_diagonal_genericILi32ELi4ELi4E24rocblas_internal_val_ptrIfEPKPKfPKPfEvbiT2_lT3_lllSA_lllT4_lllii.kd
    .uniform_work_group_size: 1
    .uses_dynamic_stack: false
    .vgpr_count:     79
    .vgpr_spill_count: 0
    .wavefront_size: 32
    .workgroup_processor_mode: 1
  - .args:
      - .offset:         0
        .size:           4
        .value_kind:     by_value
      - .address_space:  global
        .offset:         8
        .size:           8
        .value_kind:     global_buffer
      - .offset:         16
        .size:           8
        .value_kind:     by_value
      - .address_space:  global
        .offset:         24
        .size:           8
        .value_kind:     global_buffer
      - .offset:         32
        .size:           8
        .value_kind:     by_value
      - .offset:         40
        .size:           8
        .value_kind:     by_value
      - .offset:         48
        .size:           8
        .value_kind:     by_value
      - .address_space:  global
        .offset:         56
        .size:           8
        .value_kind:     global_buffer
      - .offset:         64
        .size:           8
        .value_kind:     by_value
      - .offset:         72
        .size:           8
        .value_kind:     by_value
      - .offset:         80
        .size:           8
        .value_kind:     by_value
      - .address_space:  global
        .offset:         88
        .size:           8
        .value_kind:     global_buffer
      - .offset:         96
        .size:           8
        .value_kind:     by_value
      - .address_space:  global
        .offset:         104
        .size:           8
        .value_kind:     global_buffer
      - .offset:         112
        .size:           4
        .value_kind:     by_value
      - .offset:         120
        .size:           4
        .value_kind:     hidden_block_count_x
      - .offset:         124
        .size:           4
        .value_kind:     hidden_block_count_y
      - .offset:         128
        .size:           4
        .value_kind:     hidden_block_count_z
      - .offset:         132
        .size:           2
        .value_kind:     hidden_group_size_x
      - .offset:         134
        .size:           2
        .value_kind:     hidden_group_size_y
      - .offset:         136
        .size:           2
        .value_kind:     hidden_group_size_z
      - .offset:         138
        .size:           2
        .value_kind:     hidden_remainder_x
      - .offset:         140
        .size:           2
        .value_kind:     hidden_remainder_y
      - .offset:         142
        .size:           2
        .value_kind:     hidden_remainder_z
      - .offset:         160
        .size:           8
        .value_kind:     hidden_global_offset_x
      - .offset:         168
        .size:           8
        .value_kind:     hidden_global_offset_y
      - .offset:         176
        .size:           8
        .value_kind:     hidden_global_offset_z
      - .offset:         184
        .size:           2
        .value_kind:     hidden_grid_dims
    .group_segment_fixed_size: 4800
    .kernarg_segment_align: 8
    .kernarg_segment_size: 376
    .language:       OpenCL C
    .language_version:
      - 2
      - 0
    .max_flat_workgroup_size: 256
    .name:           _ZL26rocblas_hemvn_kernel_lowerILb0ELi64ELi4ELi33ELi32ELi16ElPKfPKS1_PfEviT6_lT7_lT5_lS6_lS7_lS5_lT8_i
    .private_segment_fixed_size: 0
    .sgpr_count:     105
    .sgpr_spill_count: 0
    .symbol:         _ZL26rocblas_hemvn_kernel_lowerILb0ELi64ELi4ELi33ELi32ELi16ElPKfPKS1_PfEviT6_lT7_lT5_lS6_lS7_lS5_lT8_i.kd
    .uniform_work_group_size: 1
    .uses_dynamic_stack: false
    .vgpr_count:     91
    .vgpr_spill_count: 0
    .wavefront_size: 32
    .workgroup_processor_mode: 1
  - .args:
      - .offset:         0
        .size:           4
        .value_kind:     by_value
      - .address_space:  global
        .offset:         8
        .size:           8
        .value_kind:     global_buffer
      - .offset:         16
        .size:           8
        .value_kind:     by_value
      - .address_space:  global
        .offset:         24
        .size:           8
        .value_kind:     global_buffer
      - .offset:         32
        .size:           8
        .value_kind:     by_value
      - .actual_access:  read_only
        .address_space:  global
        .offset:         40
        .size:           8
        .value_kind:     global_buffer
      - .offset:         48
        .size:           8
        .value_kind:     by_value
      - .offset:         56
        .size:           8
        .value_kind:     by_value
      - .offset:         64
        .size:           8
        .value_kind:     by_value
      - .actual_access:  read_only
        .address_space:  global
        .offset:         72
        .size:           8
        .value_kind:     global_buffer
      - .offset:         80
        .size:           4
        .value_kind:     by_value
      - .offset:         88
        .size:           4
        .value_kind:     hidden_block_count_x
      - .offset:         92
        .size:           4
        .value_kind:     hidden_block_count_y
      - .offset:         96
        .size:           4
        .value_kind:     hidden_block_count_z
      - .offset:         100
        .size:           2
        .value_kind:     hidden_group_size_x
      - .offset:         102
        .size:           2
        .value_kind:     hidden_group_size_y
      - .offset:         104
        .size:           2
        .value_kind:     hidden_group_size_z
      - .offset:         106
        .size:           2
        .value_kind:     hidden_remainder_x
      - .offset:         108
        .size:           2
        .value_kind:     hidden_remainder_y
      - .offset:         110
        .size:           2
        .value_kind:     hidden_remainder_z
      - .offset:         128
        .size:           8
        .value_kind:     hidden_global_offset_x
      - .offset:         136
        .size:           8
        .value_kind:     hidden_global_offset_y
      - .offset:         144
        .size:           8
        .value_kind:     hidden_global_offset_z
      - .offset:         152
        .size:           2
        .value_kind:     hidden_grid_dims
    .group_segment_fixed_size: 0
    .kernarg_segment_align: 8
    .kernarg_segment_size: 344
    .language:       OpenCL C
    .language_version:
      - 2
      - 0
    .max_flat_workgroup_size: 64
    .name:           _ZL36rocblas_hemvn_kernel_lower_block_sumILi64ElPKfPKPffEviT1_lS5_lT2_lT0_lPT3_i
    .private_segment_fixed_size: 0
    .sgpr_count:     32
    .sgpr_spill_count: 0
    .symbol:         _ZL36rocblas_hemvn_kernel_lower_block_sumILi64ElPKfPKPffEviT1_lS5_lT2_lT0_lPT3_i.kd
    .uniform_work_group_size: 1
    .uses_dynamic_stack: false
    .vgpr_count:     10
    .vgpr_spill_count: 0
    .wavefront_size: 32
    .workgroup_processor_mode: 1
  - .args:
      - .offset:         0
        .size:           4
        .value_kind:     by_value
      - .address_space:  global
        .offset:         8
        .size:           8
        .value_kind:     global_buffer
      - .offset:         16
        .size:           8
        .value_kind:     by_value
      - .address_space:  global
        .offset:         24
        .size:           8
        .value_kind:     global_buffer
      - .offset:         32
        .size:           8
        .value_kind:     by_value
      - .offset:         40
        .size:           4
        .value_kind:     by_value
      - .offset:         48
        .size:           8
        .value_kind:     by_value
      - .address_space:  global
        .offset:         56
        .size:           8
        .value_kind:     global_buffer
      - .offset:         64
        .size:           8
        .value_kind:     by_value
      - .offset:         72
        .size:           4
        .value_kind:     by_value
      - .offset:         80
        .size:           8
        .value_kind:     by_value
      - .address_space:  global
        .offset:         88
        .size:           8
        .value_kind:     global_buffer
      - .offset:         96
        .size:           8
        .value_kind:     by_value
      - .address_space:  global
        .offset:         104
        .size:           8
        .value_kind:     global_buffer
      - .offset:         112
        .size:           4
        .value_kind:     by_value
      - .offset:         120
        .size:           4
        .value_kind:     hidden_block_count_x
      - .offset:         124
        .size:           4
        .value_kind:     hidden_block_count_y
      - .offset:         128
        .size:           4
        .value_kind:     hidden_block_count_z
      - .offset:         132
        .size:           2
        .value_kind:     hidden_group_size_x
      - .offset:         134
        .size:           2
        .value_kind:     hidden_group_size_y
      - .offset:         136
        .size:           2
        .value_kind:     hidden_group_size_z
      - .offset:         138
        .size:           2
        .value_kind:     hidden_remainder_x
      - .offset:         140
        .size:           2
        .value_kind:     hidden_remainder_y
      - .offset:         142
        .size:           2
        .value_kind:     hidden_remainder_z
      - .offset:         160
        .size:           8
        .value_kind:     hidden_global_offset_x
      - .offset:         168
        .size:           8
        .value_kind:     hidden_global_offset_y
      - .offset:         176
        .size:           8
        .value_kind:     hidden_global_offset_z
      - .offset:         184
        .size:           2
        .value_kind:     hidden_grid_dims
    .group_segment_fixed_size: 4800
    .kernarg_segment_align: 8
    .kernarg_segment_size: 376
    .language:       OpenCL C
    .language_version:
      - 2
      - 0
    .max_flat_workgroup_size: 256
    .name:           _ZL26rocblas_hemvn_kernel_lowerILb0ELi64ELi4ELi33ELi32ELi16EiPKfPKS1_PfEviT6_lT7_lT5_lS6_lS7_lS5_lT8_i
    .private_segment_fixed_size: 0
    .sgpr_count:     107
    .sgpr_spill_count: 5
    .symbol:         _ZL26rocblas_hemvn_kernel_lowerILb0ELi64ELi4ELi33ELi32ELi16EiPKfPKS1_PfEviT6_lT7_lT5_lS6_lS7_lS5_lT8_i.kd
    .uniform_work_group_size: 1
    .uses_dynamic_stack: false
    .vgpr_count:     93
    .vgpr_spill_count: 0
    .wavefront_size: 32
    .workgroup_processor_mode: 1
  - .args:
      - .offset:         0
        .size:           4
        .value_kind:     by_value
      - .address_space:  global
        .offset:         8
        .size:           8
        .value_kind:     global_buffer
      - .offset:         16
        .size:           8
        .value_kind:     by_value
      - .address_space:  global
        .offset:         24
        .size:           8
        .value_kind:     global_buffer
      - .offset:         32
        .size:           8
        .value_kind:     by_value
      - .actual_access:  read_only
        .address_space:  global
        .offset:         40
        .size:           8
        .value_kind:     global_buffer
      - .offset:         48
        .size:           8
        .value_kind:     by_value
      - .offset:         56
        .size:           4
        .value_kind:     by_value
      - .offset:         64
        .size:           8
        .value_kind:     by_value
      - .actual_access:  read_only
        .address_space:  global
        .offset:         72
        .size:           8
        .value_kind:     global_buffer
      - .offset:         80
        .size:           4
        .value_kind:     by_value
      - .offset:         88
        .size:           4
        .value_kind:     hidden_block_count_x
      - .offset:         92
        .size:           4
        .value_kind:     hidden_block_count_y
      - .offset:         96
        .size:           4
        .value_kind:     hidden_block_count_z
      - .offset:         100
        .size:           2
        .value_kind:     hidden_group_size_x
      - .offset:         102
        .size:           2
        .value_kind:     hidden_group_size_y
      - .offset:         104
        .size:           2
        .value_kind:     hidden_group_size_z
      - .offset:         106
        .size:           2
        .value_kind:     hidden_remainder_x
      - .offset:         108
        .size:           2
        .value_kind:     hidden_remainder_y
      - .offset:         110
        .size:           2
        .value_kind:     hidden_remainder_z
      - .offset:         128
        .size:           8
        .value_kind:     hidden_global_offset_x
      - .offset:         136
        .size:           8
        .value_kind:     hidden_global_offset_y
      - .offset:         144
        .size:           8
        .value_kind:     hidden_global_offset_z
      - .offset:         152
        .size:           2
        .value_kind:     hidden_grid_dims
    .group_segment_fixed_size: 0
    .kernarg_segment_align: 8
    .kernarg_segment_size: 344
    .language:       OpenCL C
    .language_version:
      - 2
      - 0
    .max_flat_workgroup_size: 64
    .name:           _ZL36rocblas_hemvn_kernel_lower_block_sumILi64EiPKfPKPffEviT1_lS5_lT2_lT0_lPT3_i
    .private_segment_fixed_size: 0
    .sgpr_count:     32
    .sgpr_spill_count: 0
    .symbol:         _ZL36rocblas_hemvn_kernel_lower_block_sumILi64EiPKfPKPffEviT1_lS5_lT2_lT0_lPT3_i.kd
    .uniform_work_group_size: 1
    .uses_dynamic_stack: false
    .vgpr_count:     10
    .vgpr_spill_count: 0
    .wavefront_size: 32
    .workgroup_processor_mode: 1
  - .args:
      - .offset:         0
        .size:           4
        .value_kind:     by_value
      - .offset:         4
        .size:           4
        .value_kind:     by_value
      - .offset:         8
        .size:           8
        .value_kind:     by_value
      - .address_space:  global
        .offset:         16
        .size:           8
        .value_kind:     global_buffer
      - .offset:         24
        .size:           8
        .value_kind:     by_value
      - .offset:         32
        .size:           8
        .value_kind:     by_value
      - .offset:         40
        .size:           8
        .value_kind:     by_value
      - .address_space:  global
        .offset:         48
        .size:           8
        .value_kind:     global_buffer
      - .offset:         56
        .size:           8
        .value_kind:     by_value
      - .offset:         64
        .size:           8
        .value_kind:     by_value
      - .offset:         72
        .size:           8
        .value_kind:     by_value
      - .offset:         80
        .size:           4
        .value_kind:     by_value
      - .offset:         88
        .size:           8
        .value_kind:     by_value
      - .address_space:  global
        .offset:         96
        .size:           8
        .value_kind:     global_buffer
      - .offset:         104
        .size:           4
        .value_kind:     by_value
      - .offset:         112
        .size:           4
        .value_kind:     hidden_block_count_x
      - .offset:         116
        .size:           4
        .value_kind:     hidden_block_count_y
      - .offset:         120
        .size:           4
        .value_kind:     hidden_block_count_z
      - .offset:         124
        .size:           2
        .value_kind:     hidden_group_size_x
      - .offset:         126
        .size:           2
        .value_kind:     hidden_group_size_y
      - .offset:         128
        .size:           2
        .value_kind:     hidden_group_size_z
      - .offset:         130
        .size:           2
        .value_kind:     hidden_remainder_x
      - .offset:         132
        .size:           2
        .value_kind:     hidden_remainder_y
      - .offset:         134
        .size:           2
        .value_kind:     hidden_remainder_z
      - .offset:         152
        .size:           8
        .value_kind:     hidden_global_offset_x
      - .offset:         160
        .size:           8
        .value_kind:     hidden_global_offset_y
      - .offset:         168
        .size:           8
        .value_kind:     hidden_global_offset_z
      - .offset:         176
        .size:           2
        .value_kind:     hidden_grid_dims
    .group_segment_fixed_size: 4800
    .kernarg_segment_align: 8
    .kernarg_segment_size: 368
    .language:       OpenCL C
    .language_version:
      - 2
      - 0
    .max_flat_workgroup_size: 256
    .name:           _ZL26rocblas_hemvn_kernel_lowerILb0ELi64ELi4ELi33ELi32ELi16ElfPKPKfPfEviT6_lT7_lT5_lS6_lS7_lS5_lT8_i
    .private_segment_fixed_size: 0
    .sgpr_count:     102
    .sgpr_spill_count: 0
    .symbol:         _ZL26rocblas_hemvn_kernel_lowerILb0ELi64ELi4ELi33ELi32ELi16ElfPKPKfPfEviT6_lT7_lT5_lS6_lS7_lS5_lT8_i.kd
    .uniform_work_group_size: 1
    .uses_dynamic_stack: false
    .vgpr_count:     91
    .vgpr_spill_count: 0
    .wavefront_size: 32
    .workgroup_processor_mode: 1
  - .args:
      - .offset:         0
        .size:           4
        .value_kind:     by_value
      - .offset:         4
        .size:           4
        .value_kind:     by_value
      - .offset:         8
        .size:           8
        .value_kind:     by_value
      - .offset:         16
        .size:           4
        .value_kind:     by_value
      - .offset:         24
        .size:           8
        .value_kind:     by_value
      - .actual_access:  read_only
        .address_space:  global
        .offset:         32
        .size:           8
        .value_kind:     global_buffer
      - .offset:         40
        .size:           8
        .value_kind:     by_value
      - .offset:         48
        .size:           8
        .value_kind:     by_value
      - .offset:         56
        .size:           8
        .value_kind:     by_value
      - .actual_access:  read_only
        .address_space:  global
        .offset:         64
        .size:           8
        .value_kind:     global_buffer
      - .offset:         72
        .size:           4
        .value_kind:     by_value
      - .offset:         80
        .size:           4
        .value_kind:     hidden_block_count_x
      - .offset:         84
        .size:           4
        .value_kind:     hidden_block_count_y
      - .offset:         88
        .size:           4
        .value_kind:     hidden_block_count_z
      - .offset:         92
        .size:           2
        .value_kind:     hidden_group_size_x
      - .offset:         94
        .size:           2
        .value_kind:     hidden_group_size_y
      - .offset:         96
        .size:           2
        .value_kind:     hidden_group_size_z
      - .offset:         98
        .size:           2
        .value_kind:     hidden_remainder_x
      - .offset:         100
        .size:           2
        .value_kind:     hidden_remainder_y
      - .offset:         102
        .size:           2
        .value_kind:     hidden_remainder_z
      - .offset:         120
        .size:           8
        .value_kind:     hidden_global_offset_x
      - .offset:         128
        .size:           8
        .value_kind:     hidden_global_offset_y
      - .offset:         136
        .size:           8
        .value_kind:     hidden_global_offset_z
      - .offset:         144
        .size:           2
        .value_kind:     hidden_grid_dims
    .group_segment_fixed_size: 0
    .kernarg_segment_align: 8
    .kernarg_segment_size: 336
    .language:       OpenCL C
    .language_version:
      - 2
      - 0
    .max_flat_workgroup_size: 64
    .name:           _ZL36rocblas_hemvn_kernel_lower_block_sumILi64ElfPKPffEviT1_lS3_lT2_lT0_lPT3_i
    .private_segment_fixed_size: 0
    .sgpr_count:     30
    .sgpr_spill_count: 0
    .symbol:         _ZL36rocblas_hemvn_kernel_lower_block_sumILi64ElfPKPffEviT1_lS3_lT2_lT0_lPT3_i.kd
    .uniform_work_group_size: 1
    .uses_dynamic_stack: false
    .vgpr_count:     8
    .vgpr_spill_count: 0
    .wavefront_size: 32
    .workgroup_processor_mode: 1
  - .args:
      - .offset:         0
        .size:           4
        .value_kind:     by_value
      - .offset:         4
        .size:           4
        .value_kind:     by_value
      - .offset:         8
        .size:           8
        .value_kind:     by_value
      - .address_space:  global
        .offset:         16
        .size:           8
        .value_kind:     global_buffer
      - .offset:         24
        .size:           8
        .value_kind:     by_value
      - .offset:         32
        .size:           4
        .value_kind:     by_value
      - .offset:         40
        .size:           8
        .value_kind:     by_value
      - .address_space:  global
        .offset:         48
        .size:           8
        .value_kind:     global_buffer
      - .offset:         56
        .size:           8
        .value_kind:     by_value
      - .offset:         64
        .size:           4
        .value_kind:     by_value
      - .offset:         72
        .size:           8
        .value_kind:     by_value
      - .offset:         80
        .size:           4
        .value_kind:     by_value
      - .offset:         88
        .size:           8
        .value_kind:     by_value
      - .address_space:  global
        .offset:         96
        .size:           8
        .value_kind:     global_buffer
      - .offset:         104
        .size:           4
        .value_kind:     by_value
      - .offset:         112
        .size:           4
        .value_kind:     hidden_block_count_x
      - .offset:         116
        .size:           4
        .value_kind:     hidden_block_count_y
      - .offset:         120
        .size:           4
        .value_kind:     hidden_block_count_z
      - .offset:         124
        .size:           2
        .value_kind:     hidden_group_size_x
      - .offset:         126
        .size:           2
        .value_kind:     hidden_group_size_y
      - .offset:         128
        .size:           2
        .value_kind:     hidden_group_size_z
      - .offset:         130
        .size:           2
        .value_kind:     hidden_remainder_x
      - .offset:         132
        .size:           2
        .value_kind:     hidden_remainder_y
      - .offset:         134
        .size:           2
        .value_kind:     hidden_remainder_z
      - .offset:         152
        .size:           8
        .value_kind:     hidden_global_offset_x
      - .offset:         160
        .size:           8
        .value_kind:     hidden_global_offset_y
      - .offset:         168
        .size:           8
        .value_kind:     hidden_global_offset_z
      - .offset:         176
        .size:           2
        .value_kind:     hidden_grid_dims
    .group_segment_fixed_size: 4800
    .kernarg_segment_align: 8
    .kernarg_segment_size: 368
    .language:       OpenCL C
    .language_version:
      - 2
      - 0
    .max_flat_workgroup_size: 256
    .name:           _ZL26rocblas_hemvn_kernel_lowerILb0ELi64ELi4ELi33ELi32ELi16EifPKPKfPfEviT6_lT7_lT5_lS6_lS7_lS5_lT8_i
    .private_segment_fixed_size: 0
    .sgpr_count:     105
    .sgpr_spill_count: 0
    .symbol:         _ZL26rocblas_hemvn_kernel_lowerILb0ELi64ELi4ELi33ELi32ELi16EifPKPKfPfEviT6_lT7_lT5_lS6_lS7_lS5_lT8_i.kd
    .uniform_work_group_size: 1
    .uses_dynamic_stack: false
    .vgpr_count:     92
    .vgpr_spill_count: 0
    .wavefront_size: 32
    .workgroup_processor_mode: 1
  - .args:
      - .offset:         0
        .size:           4
        .value_kind:     by_value
      - .offset:         4
        .size:           4
        .value_kind:     by_value
      - .offset:         8
        .size:           8
        .value_kind:     by_value
      - .offset:         16
        .size:           4
        .value_kind:     by_value
      - .offset:         24
        .size:           8
        .value_kind:     by_value
      - .actual_access:  read_only
        .address_space:  global
        .offset:         32
        .size:           8
        .value_kind:     global_buffer
      - .offset:         40
        .size:           8
        .value_kind:     by_value
      - .offset:         48
        .size:           4
        .value_kind:     by_value
      - .offset:         56
        .size:           8
        .value_kind:     by_value
      - .actual_access:  read_only
        .address_space:  global
        .offset:         64
        .size:           8
        .value_kind:     global_buffer
      - .offset:         72
        .size:           4
        .value_kind:     by_value
      - .offset:         80
        .size:           4
        .value_kind:     hidden_block_count_x
      - .offset:         84
        .size:           4
        .value_kind:     hidden_block_count_y
      - .offset:         88
        .size:           4
        .value_kind:     hidden_block_count_z
      - .offset:         92
        .size:           2
        .value_kind:     hidden_group_size_x
      - .offset:         94
        .size:           2
        .value_kind:     hidden_group_size_y
      - .offset:         96
        .size:           2
        .value_kind:     hidden_group_size_z
      - .offset:         98
        .size:           2
        .value_kind:     hidden_remainder_x
      - .offset:         100
        .size:           2
        .value_kind:     hidden_remainder_y
      - .offset:         102
        .size:           2
        .value_kind:     hidden_remainder_z
      - .offset:         120
        .size:           8
        .value_kind:     hidden_global_offset_x
      - .offset:         128
        .size:           8
        .value_kind:     hidden_global_offset_y
      - .offset:         136
        .size:           8
        .value_kind:     hidden_global_offset_z
      - .offset:         144
        .size:           2
        .value_kind:     hidden_grid_dims
    .group_segment_fixed_size: 0
    .kernarg_segment_align: 8
    .kernarg_segment_size: 336
    .language:       OpenCL C
    .language_version:
      - 2
      - 0
    .max_flat_workgroup_size: 64
    .name:           _ZL36rocblas_hemvn_kernel_lower_block_sumILi64EifPKPffEviT1_lS3_lT2_lT0_lPT3_i
    .private_segment_fixed_size: 0
    .sgpr_count:     30
    .sgpr_spill_count: 0
    .symbol:         _ZL36rocblas_hemvn_kernel_lower_block_sumILi64EifPKPffEviT1_lS3_lT2_lT0_lPT3_i.kd
    .uniform_work_group_size: 1
    .uses_dynamic_stack: false
    .vgpr_count:     8
    .vgpr_spill_count: 0
    .wavefront_size: 32
    .workgroup_processor_mode: 1
  - .args:
      - .offset:         0
        .size:           1
        .value_kind:     by_value
      - .offset:         4
        .size:           4
        .value_kind:     by_value
      - .offset:         8
        .size:           8
        .value_kind:     by_value
      - .offset:         16
        .size:           8
        .value_kind:     by_value
      - .address_space:  global
        .offset:         24
        .size:           8
        .value_kind:     global_buffer
      - .offset:         32
        .size:           8
        .value_kind:     by_value
      - .offset:         40
        .size:           8
        .value_kind:     by_value
      - .offset:         48
        .size:           8
        .value_kind:     by_value
      - .address_space:  global
        .offset:         56
        .size:           8
        .value_kind:     global_buffer
      - .offset:         64
        .size:           8
        .value_kind:     by_value
      - .offset:         72
        .size:           8
        .value_kind:     by_value
      - .offset:         80
        .size:           8
        .value_kind:     by_value
      - .offset:         88
        .size:           8
        .value_kind:     by_value
      - .offset:         96
        .size:           8
        .value_kind:     by_value
      - .actual_access:  read_only
        .address_space:  global
        .offset:         104
        .size:           8
        .value_kind:     global_buffer
      - .offset:         112
        .size:           8
        .value_kind:     by_value
      - .offset:         120
        .size:           8
        .value_kind:     by_value
      - .offset:         128
        .size:           8
        .value_kind:     by_value
      - .offset:         136
        .size:           4
        .value_kind:     by_value
    .group_segment_fixed_size: 10496
    .kernarg_segment_align: 8
    .kernarg_segment_size: 140
    .language:       OpenCL C
    .language_version:
      - 2
      - 0
    .max_flat_workgroup_size: 128
    .name:           _ZL50rocblas_symv_kernel_upper_double_buffered_diagonalILi32ELi4E24rocblas_internal_val_ptrIdEPKPKdPKPdEvbiT1_lT2_lllSA_lllS9_lT3_llli
    .private_segment_fixed_size: 24
    .sgpr_count:     52
    .sgpr_spill_count: 0
    .symbol:         _ZL50rocblas_symv_kernel_upper_double_buffered_diagonalILi32ELi4E24rocblas_internal_val_ptrIdEPKPKdPKPdEvbiT1_lT2_lllSA_lllS9_lT3_llli.kd
    .uniform_work_group_size: 1
    .uses_dynamic_stack: false
    .vgpr_count:     47
    .vgpr_spill_count: 0
    .wavefront_size: 32
    .workgroup_processor_mode: 1
  - .args:
      - .offset:         0
        .size:           1
        .value_kind:     by_value
      - .offset:         4
        .size:           4
        .value_kind:     by_value
      - .offset:         8
        .size:           8
        .value_kind:     by_value
      - .offset:         16
        .size:           8
        .value_kind:     by_value
      - .address_space:  global
        .offset:         24
        .size:           8
        .value_kind:     global_buffer
      - .offset:         32
        .size:           8
        .value_kind:     by_value
      - .offset:         40
        .size:           8
        .value_kind:     by_value
      - .offset:         48
        .size:           8
        .value_kind:     by_value
      - .address_space:  global
        .offset:         56
        .size:           8
        .value_kind:     global_buffer
      - .offset:         64
        .size:           8
        .value_kind:     by_value
      - .offset:         72
        .size:           8
        .value_kind:     by_value
      - .offset:         80
        .size:           8
        .value_kind:     by_value
      - .actual_access:  read_only
        .address_space:  global
        .offset:         88
        .size:           8
        .value_kind:     global_buffer
      - .offset:         96
        .size:           8
        .value_kind:     by_value
      - .offset:         104
        .size:           8
        .value_kind:     by_value
      - .offset:         112
        .size:           8
        .value_kind:     by_value
      - .offset:         120
        .size:           4
        .value_kind:     by_value
      - .offset:         128
        .size:           4
        .value_kind:     hidden_block_count_x
      - .offset:         132
        .size:           4
        .value_kind:     hidden_block_count_y
      - .offset:         136
        .size:           4
        .value_kind:     hidden_block_count_z
      - .offset:         140
        .size:           2
        .value_kind:     hidden_group_size_x
      - .offset:         142
        .size:           2
        .value_kind:     hidden_group_size_y
      - .offset:         144
        .size:           2
        .value_kind:     hidden_group_size_z
      - .offset:         146
        .size:           2
        .value_kind:     hidden_remainder_x
      - .offset:         148
        .size:           2
        .value_kind:     hidden_remainder_y
      - .offset:         150
        .size:           2
        .value_kind:     hidden_remainder_z
      - .offset:         168
        .size:           8
        .value_kind:     hidden_global_offset_x
      - .offset:         176
        .size:           8
        .value_kind:     hidden_global_offset_y
      - .offset:         184
        .size:           8
        .value_kind:     hidden_global_offset_z
      - .offset:         192
        .size:           2
        .value_kind:     hidden_grid_dims
    .group_segment_fixed_size: 7424
    .kernarg_segment_align: 8
    .kernarg_segment_size: 384
    .language:       OpenCL C
    .language_version:
      - 2
      - 0
    .max_flat_workgroup_size: 128
    .name:           _ZL54rocblas_symv_kernel_upper_double_buffered_non_diagonalILi32ELi4ELi4E24rocblas_internal_val_ptrIdEPKPKdPKPdEvbiT2_lT3_lllSA_lllT4_llli
    .private_segment_fixed_size: 0
    .sgpr_count:     56
    .sgpr_spill_count: 0
    .symbol:         _ZL54rocblas_symv_kernel_upper_double_buffered_non_diagonalILi32ELi4ELi4E24rocblas_internal_val_ptrIdEPKPKdPKPdEvbiT2_lT3_lllSA_lllT4_llli.kd
    .uniform_work_group_size: 1
    .uses_dynamic_stack: false
    .vgpr_count:     91
    .vgpr_spill_count: 0
    .wavefront_size: 32
    .workgroup_processor_mode: 1
  - .args:
      - .offset:         0
        .size:           1
        .value_kind:     by_value
      - .offset:         4
        .size:           4
        .value_kind:     by_value
      - .offset:         8
        .size:           8
        .value_kind:     by_value
      - .offset:         16
        .size:           8
        .value_kind:     by_value
      - .address_space:  global
        .offset:         24
        .size:           8
        .value_kind:     global_buffer
      - .offset:         32
        .size:           8
        .value_kind:     by_value
      - .offset:         40
        .size:           8
        .value_kind:     by_value
      - .offset:         48
        .size:           8
        .value_kind:     by_value
      - .address_space:  global
        .offset:         56
        .size:           8
        .value_kind:     global_buffer
      - .offset:         64
        .size:           8
        .value_kind:     by_value
      - .offset:         72
        .size:           8
        .value_kind:     by_value
      - .offset:         80
        .size:           8
        .value_kind:     by_value
      - .offset:         88
        .size:           8
        .value_kind:     by_value
      - .offset:         96
        .size:           8
        .value_kind:     by_value
      - .actual_access:  read_only
        .address_space:  global
        .offset:         104
        .size:           8
        .value_kind:     global_buffer
      - .offset:         112
        .size:           8
        .value_kind:     by_value
      - .offset:         120
        .size:           8
        .value_kind:     by_value
      - .offset:         128
        .size:           8
        .value_kind:     by_value
      - .offset:         136
        .size:           4
        .value_kind:     by_value
      - .offset:         140
        .size:           4
        .value_kind:     by_value
      - .offset:         144
        .size:           4
        .value_kind:     hidden_block_count_x
      - .offset:         148
        .size:           4
        .value_kind:     hidden_block_count_y
      - .offset:         152
        .size:           4
        .value_kind:     hidden_block_count_z
      - .offset:         156
        .size:           2
        .value_kind:     hidden_group_size_x
      - .offset:         158
        .size:           2
        .value_kind:     hidden_group_size_y
      - .offset:         160
        .size:           2
        .value_kind:     hidden_group_size_z
      - .offset:         162
        .size:           2
        .value_kind:     hidden_remainder_x
      - .offset:         164
        .size:           2
        .value_kind:     hidden_remainder_y
      - .offset:         166
        .size:           2
        .value_kind:     hidden_remainder_z
      - .offset:         184
        .size:           8
        .value_kind:     hidden_global_offset_x
      - .offset:         192
        .size:           8
        .value_kind:     hidden_global_offset_y
      - .offset:         200
        .size:           8
        .value_kind:     hidden_global_offset_z
      - .offset:         208
        .size:           2
        .value_kind:     hidden_grid_dims
    .group_segment_fixed_size: 14592
    .kernarg_segment_align: 8
    .kernarg_segment_size: 400
    .language:       OpenCL C
    .language_version:
      - 2
      - 0
    .max_flat_workgroup_size: 256
    .name:           _ZL58rocblas_symv_kernel_upper_double_buffered_diagonal_genericILi32ELi8E24rocblas_internal_val_ptrIdEPKPKdPKPdEvbiT1_lT2_lllSA_lllS9_lT3_lllii
    .private_segment_fixed_size: 16
    .sgpr_count:     54
    .sgpr_spill_count: 0
    .symbol:         _ZL58rocblas_symv_kernel_upper_double_buffered_diagonal_genericILi32ELi8E24rocblas_internal_val_ptrIdEPKPKdPKPdEvbiT1_lT2_lllSA_lllS9_lT3_lllii.kd
    .uniform_work_group_size: 1
    .uses_dynamic_stack: false
    .vgpr_count:     41
    .vgpr_spill_count: 0
    .wavefront_size: 32
    .workgroup_processor_mode: 1
  - .args:
      - .offset:         0
        .size:           1
        .value_kind:     by_value
      - .offset:         4
        .size:           4
        .value_kind:     by_value
      - .offset:         8
        .size:           8
        .value_kind:     by_value
      - .offset:         16
        .size:           8
        .value_kind:     by_value
      - .address_space:  global
        .offset:         24
        .size:           8
        .value_kind:     global_buffer
      - .offset:         32
        .size:           8
        .value_kind:     by_value
      - .offset:         40
        .size:           8
        .value_kind:     by_value
      - .offset:         48
        .size:           8
        .value_kind:     by_value
      - .address_space:  global
        .offset:         56
        .size:           8
        .value_kind:     global_buffer
      - .offset:         64
        .size:           8
        .value_kind:     by_value
      - .offset:         72
        .size:           8
        .value_kind:     by_value
      - .offset:         80
        .size:           8
        .value_kind:     by_value
      - .actual_access:  read_only
        .address_space:  global
        .offset:         88
        .size:           8
        .value_kind:     global_buffer
      - .offset:         96
        .size:           8
        .value_kind:     by_value
      - .offset:         104
        .size:           8
        .value_kind:     by_value
      - .offset:         112
        .size:           8
        .value_kind:     by_value
      - .offset:         120
        .size:           4
        .value_kind:     by_value
      - .offset:         124
        .size:           4
        .value_kind:     by_value
      - .offset:         128
        .size:           4
        .value_kind:     hidden_block_count_x
      - .offset:         132
        .size:           4
        .value_kind:     hidden_block_count_y
      - .offset:         136
        .size:           4
        .value_kind:     hidden_block_count_z
      - .offset:         140
        .size:           2
        .value_kind:     hidden_group_size_x
      - .offset:         142
        .size:           2
        .value_kind:     hidden_group_size_y
      - .offset:         144
        .size:           2
        .value_kind:     hidden_group_size_z
      - .offset:         146
        .size:           2
        .value_kind:     hidden_remainder_x
      - .offset:         148
        .size:           2
        .value_kind:     hidden_remainder_y
      - .offset:         150
        .size:           2
        .value_kind:     hidden_remainder_z
      - .offset:         168
        .size:           8
        .value_kind:     hidden_global_offset_x
      - .offset:         176
        .size:           8
        .value_kind:     hidden_global_offset_y
      - .offset:         184
        .size:           8
        .value_kind:     hidden_global_offset_z
      - .offset:         192
        .size:           2
        .value_kind:     hidden_grid_dims
    .group_segment_fixed_size: 10496
    .kernarg_segment_align: 8
    .kernarg_segment_size: 384
    .language:       OpenCL C
    .language_version:
      - 2
      - 0
    .max_flat_workgroup_size: 256
    .name:           _ZL62rocblas_symv_kernel_upper_double_buffered_non_diagonal_genericILi32ELi8ELi2ELi0E24rocblas_internal_val_ptrIdEPKPKdPKPdEvbiT3_lT4_lllSA_lllT5_lllii
    .private_segment_fixed_size: 0
    .sgpr_count:     58
    .sgpr_spill_count: 0
    .symbol:         _ZL62rocblas_symv_kernel_upper_double_buffered_non_diagonal_genericILi32ELi8ELi2ELi0E24rocblas_internal_val_ptrIdEPKPKdPKPdEvbiT3_lT4_lllSA_lllT5_lllii.kd
    .uniform_work_group_size: 1
    .uses_dynamic_stack: false
    .vgpr_count:     77
    .vgpr_spill_count: 0
    .wavefront_size: 32
    .workgroup_processor_mode: 1
  - .args:
      - .offset:         0
        .size:           1
        .value_kind:     by_value
      - .offset:         4
        .size:           4
        .value_kind:     by_value
      - .offset:         8
        .size:           8
        .value_kind:     by_value
      - .offset:         16
        .size:           8
        .value_kind:     by_value
      - .address_space:  global
        .offset:         24
        .size:           8
        .value_kind:     global_buffer
      - .offset:         32
        .size:           8
        .value_kind:     by_value
      - .offset:         40
        .size:           8
        .value_kind:     by_value
      - .offset:         48
        .size:           8
        .value_kind:     by_value
      - .address_space:  global
        .offset:         56
        .size:           8
        .value_kind:     global_buffer
      - .offset:         64
        .size:           8
        .value_kind:     by_value
      - .offset:         72
        .size:           8
        .value_kind:     by_value
      - .offset:         80
        .size:           8
        .value_kind:     by_value
      - .actual_access:  read_only
        .address_space:  global
        .offset:         88
        .size:           8
        .value_kind:     global_buffer
      - .offset:         96
        .size:           8
        .value_kind:     by_value
      - .offset:         104
        .size:           8
        .value_kind:     by_value
      - .offset:         112
        .size:           8
        .value_kind:     by_value
      - .offset:         120
        .size:           4
        .value_kind:     by_value
      - .offset:         124
        .size:           4
        .value_kind:     by_value
      - .offset:         128
        .size:           4
        .value_kind:     hidden_block_count_x
      - .offset:         132
        .size:           4
        .value_kind:     hidden_block_count_y
      - .offset:         136
        .size:           4
        .value_kind:     hidden_block_count_z
      - .offset:         140
        .size:           2
        .value_kind:     hidden_group_size_x
      - .offset:         142
        .size:           2
        .value_kind:     hidden_group_size_y
      - .offset:         144
        .size:           2
        .value_kind:     hidden_group_size_z
      - .offset:         146
        .size:           2
        .value_kind:     hidden_remainder_x
      - .offset:         148
        .size:           2
        .value_kind:     hidden_remainder_y
      - .offset:         150
        .size:           2
        .value_kind:     hidden_remainder_z
      - .offset:         168
        .size:           8
        .value_kind:     hidden_global_offset_x
      - .offset:         176
        .size:           8
        .value_kind:     hidden_global_offset_y
      - .offset:         184
        .size:           8
        .value_kind:     hidden_global_offset_z
      - .offset:         192
        .size:           2
        .value_kind:     hidden_grid_dims
    .group_segment_fixed_size: 10496
    .kernarg_segment_align: 8
    .kernarg_segment_size: 384
    .language:       OpenCL C
    .language_version:
      - 2
      - 0
    .max_flat_workgroup_size: 256
    .name:           _ZL62rocblas_symv_kernel_upper_double_buffered_non_diagonal_genericILi32ELi8ELi2ELi1E24rocblas_internal_val_ptrIdEPKPKdPKPdEvbiT3_lT4_lllSA_lllT5_lllii
    .private_segment_fixed_size: 0
    .sgpr_count:     58
    .sgpr_spill_count: 0
    .symbol:         _ZL62rocblas_symv_kernel_upper_double_buffered_non_diagonal_genericILi32ELi8ELi2ELi1E24rocblas_internal_val_ptrIdEPKPKdPKPdEvbiT3_lT4_lllSA_lllT5_lllii.kd
    .uniform_work_group_size: 1
    .uses_dynamic_stack: false
    .vgpr_count:     79
    .vgpr_spill_count: 0
    .wavefront_size: 32
    .workgroup_processor_mode: 1
  - .args:
      - .offset:         0
        .size:           4
        .value_kind:     by_value
      - .address_space:  global
        .offset:         8
        .size:           8
        .value_kind:     global_buffer
      - .offset:         16
        .size:           8
        .value_kind:     by_value
      - .address_space:  global
        .offset:         24
        .size:           8
        .value_kind:     global_buffer
      - .offset:         32
        .size:           8
        .value_kind:     by_value
      - .offset:         40
        .size:           8
        .value_kind:     by_value
      - .offset:         48
        .size:           8
        .value_kind:     by_value
      - .address_space:  global
        .offset:         56
        .size:           8
        .value_kind:     global_buffer
      - .offset:         64
        .size:           8
        .value_kind:     by_value
      - .offset:         72
        .size:           8
        .value_kind:     by_value
      - .offset:         80
        .size:           8
        .value_kind:     by_value
      - .address_space:  global
        .offset:         88
        .size:           8
        .value_kind:     global_buffer
      - .offset:         96
        .size:           8
        .value_kind:     by_value
      - .address_space:  global
        .offset:         104
        .size:           8
        .value_kind:     global_buffer
      - .offset:         112
        .size:           4
        .value_kind:     by_value
      - .offset:         120
        .size:           4
        .value_kind:     hidden_block_count_x
      - .offset:         124
        .size:           4
        .value_kind:     hidden_block_count_y
      - .offset:         128
        .size:           4
        .value_kind:     hidden_block_count_z
      - .offset:         132
        .size:           2
        .value_kind:     hidden_group_size_x
      - .offset:         134
        .size:           2
        .value_kind:     hidden_group_size_y
      - .offset:         136
        .size:           2
        .value_kind:     hidden_group_size_z
      - .offset:         138
        .size:           2
        .value_kind:     hidden_remainder_x
      - .offset:         140
        .size:           2
        .value_kind:     hidden_remainder_y
      - .offset:         142
        .size:           2
        .value_kind:     hidden_remainder_z
      - .offset:         160
        .size:           8
        .value_kind:     hidden_global_offset_x
      - .offset:         168
        .size:           8
        .value_kind:     hidden_global_offset_y
      - .offset:         176
        .size:           8
        .value_kind:     hidden_global_offset_z
      - .offset:         184
        .size:           2
        .value_kind:     hidden_grid_dims
    .group_segment_fixed_size: 9600
    .kernarg_segment_align: 8
    .kernarg_segment_size: 376
    .language:       OpenCL C
    .language_version:
      - 2
      - 0
    .max_flat_workgroup_size: 256
    .name:           _ZL26rocblas_hemvn_kernel_upperILb0ELi64ELi4ELi33ELi32ELi16ElPKdPKS1_PdEviT6_lT7_lT5_lS6_lS7_lS5_lT8_i
    .private_segment_fixed_size: 0
    .sgpr_count:     84
    .sgpr_spill_count: 0
    .symbol:         _ZL26rocblas_hemvn_kernel_upperILb0ELi64ELi4ELi33ELi32ELi16ElPKdPKS1_PdEviT6_lT7_lT5_lS6_lS7_lS5_lT8_i.kd
    .uniform_work_group_size: 1
    .uses_dynamic_stack: false
    .vgpr_count:     211
    .vgpr_spill_count: 0
    .wavefront_size: 32
    .workgroup_processor_mode: 1
  - .args:
      - .offset:         0
        .size:           4
        .value_kind:     by_value
      - .address_space:  global
        .offset:         8
        .size:           8
        .value_kind:     global_buffer
      - .offset:         16
        .size:           8
        .value_kind:     by_value
      - .address_space:  global
        .offset:         24
        .size:           8
        .value_kind:     global_buffer
      - .offset:         32
        .size:           8
        .value_kind:     by_value
      - .actual_access:  read_only
        .address_space:  global
        .offset:         40
        .size:           8
        .value_kind:     global_buffer
      - .offset:         48
        .size:           8
        .value_kind:     by_value
      - .offset:         56
        .size:           8
        .value_kind:     by_value
      - .offset:         64
        .size:           8
        .value_kind:     by_value
      - .address_space:  global
        .offset:         72
        .size:           8
        .value_kind:     global_buffer
      - .offset:         80
        .size:           4
        .value_kind:     by_value
      - .offset:         88
        .size:           4
        .value_kind:     hidden_block_count_x
      - .offset:         92
        .size:           4
        .value_kind:     hidden_block_count_y
      - .offset:         96
        .size:           4
        .value_kind:     hidden_block_count_z
      - .offset:         100
        .size:           2
        .value_kind:     hidden_group_size_x
      - .offset:         102
        .size:           2
        .value_kind:     hidden_group_size_y
      - .offset:         104
        .size:           2
        .value_kind:     hidden_group_size_z
      - .offset:         106
        .size:           2
        .value_kind:     hidden_remainder_x
      - .offset:         108
        .size:           2
        .value_kind:     hidden_remainder_y
      - .offset:         110
        .size:           2
        .value_kind:     hidden_remainder_z
      - .offset:         128
        .size:           8
        .value_kind:     hidden_global_offset_x
      - .offset:         136
        .size:           8
        .value_kind:     hidden_global_offset_y
      - .offset:         144
        .size:           8
        .value_kind:     hidden_global_offset_z
      - .offset:         152
        .size:           2
        .value_kind:     hidden_grid_dims
    .group_segment_fixed_size: 0
    .kernarg_segment_align: 8
    .kernarg_segment_size: 344
    .language:       OpenCL C
    .language_version:
      - 2
      - 0
    .max_flat_workgroup_size: 64
    .name:           _ZL36rocblas_hemvn_kernel_upper_block_sumILi64ElPKdPKPddEviT1_lS5_lT2_lT0_lPT3_i
    .private_segment_fixed_size: 0
    .sgpr_count:     30
    .sgpr_spill_count: 0
    .symbol:         _ZL36rocblas_hemvn_kernel_upper_block_sumILi64ElPKdPKPddEviT1_lS5_lT2_lT0_lPT3_i.kd
    .uniform_work_group_size: 1
    .uses_dynamic_stack: false
    .vgpr_count:     15
    .vgpr_spill_count: 0
    .wavefront_size: 32
    .workgroup_processor_mode: 1
  - .args:
      - .offset:         0
        .size:           4
        .value_kind:     by_value
      - .address_space:  global
        .offset:         8
        .size:           8
        .value_kind:     global_buffer
      - .offset:         16
        .size:           8
        .value_kind:     by_value
      - .address_space:  global
        .offset:         24
        .size:           8
        .value_kind:     global_buffer
      - .offset:         32
        .size:           8
        .value_kind:     by_value
      - .offset:         40
        .size:           4
        .value_kind:     by_value
      - .offset:         48
        .size:           8
        .value_kind:     by_value
      - .address_space:  global
        .offset:         56
        .size:           8
        .value_kind:     global_buffer
      - .offset:         64
        .size:           8
        .value_kind:     by_value
      - .offset:         72
        .size:           4
        .value_kind:     by_value
      - .offset:         80
        .size:           8
        .value_kind:     by_value
      - .address_space:  global
        .offset:         88
        .size:           8
        .value_kind:     global_buffer
      - .offset:         96
        .size:           8
        .value_kind:     by_value
      - .address_space:  global
        .offset:         104
        .size:           8
        .value_kind:     global_buffer
      - .offset:         112
        .size:           4
        .value_kind:     by_value
      - .offset:         120
        .size:           4
        .value_kind:     hidden_block_count_x
      - .offset:         124
        .size:           4
        .value_kind:     hidden_block_count_y
      - .offset:         128
        .size:           4
        .value_kind:     hidden_block_count_z
      - .offset:         132
        .size:           2
        .value_kind:     hidden_group_size_x
      - .offset:         134
        .size:           2
        .value_kind:     hidden_group_size_y
      - .offset:         136
        .size:           2
        .value_kind:     hidden_group_size_z
      - .offset:         138
        .size:           2
        .value_kind:     hidden_remainder_x
      - .offset:         140
        .size:           2
        .value_kind:     hidden_remainder_y
      - .offset:         142
        .size:           2
        .value_kind:     hidden_remainder_z
      - .offset:         160
        .size:           8
        .value_kind:     hidden_global_offset_x
      - .offset:         168
        .size:           8
        .value_kind:     hidden_global_offset_y
      - .offset:         176
        .size:           8
        .value_kind:     hidden_global_offset_z
      - .offset:         184
        .size:           2
        .value_kind:     hidden_grid_dims
    .group_segment_fixed_size: 9600
    .kernarg_segment_align: 8
    .kernarg_segment_size: 376
    .language:       OpenCL C
    .language_version:
      - 2
      - 0
    .max_flat_workgroup_size: 256
    .name:           _ZL26rocblas_hemvn_kernel_upperILb0ELi64ELi4ELi33ELi32ELi16EiPKdPKS1_PdEviT6_lT7_lT5_lS6_lS7_lS5_lT8_i
    .private_segment_fixed_size: 0
    .sgpr_count:     107
    .sgpr_spill_count: 5
    .symbol:         _ZL26rocblas_hemvn_kernel_upperILb0ELi64ELi4ELi33ELi32ELi16EiPKdPKS1_PdEviT6_lT7_lT5_lS6_lS7_lS5_lT8_i.kd
    .uniform_work_group_size: 1
    .uses_dynamic_stack: false
    .vgpr_count:     209
    .vgpr_spill_count: 0
    .wavefront_size: 32
    .workgroup_processor_mode: 1
  - .args:
      - .offset:         0
        .size:           4
        .value_kind:     by_value
      - .address_space:  global
        .offset:         8
        .size:           8
        .value_kind:     global_buffer
      - .offset:         16
        .size:           8
        .value_kind:     by_value
      - .address_space:  global
        .offset:         24
        .size:           8
        .value_kind:     global_buffer
      - .offset:         32
        .size:           8
        .value_kind:     by_value
      - .actual_access:  read_only
        .address_space:  global
        .offset:         40
        .size:           8
        .value_kind:     global_buffer
      - .offset:         48
        .size:           8
        .value_kind:     by_value
      - .offset:         56
        .size:           4
        .value_kind:     by_value
      - .offset:         64
        .size:           8
        .value_kind:     by_value
      - .address_space:  global
        .offset:         72
        .size:           8
        .value_kind:     global_buffer
      - .offset:         80
        .size:           4
        .value_kind:     by_value
      - .offset:         88
        .size:           4
        .value_kind:     hidden_block_count_x
      - .offset:         92
        .size:           4
        .value_kind:     hidden_block_count_y
      - .offset:         96
        .size:           4
        .value_kind:     hidden_block_count_z
      - .offset:         100
        .size:           2
        .value_kind:     hidden_group_size_x
      - .offset:         102
        .size:           2
        .value_kind:     hidden_group_size_y
      - .offset:         104
        .size:           2
        .value_kind:     hidden_group_size_z
      - .offset:         106
        .size:           2
        .value_kind:     hidden_remainder_x
      - .offset:         108
        .size:           2
        .value_kind:     hidden_remainder_y
      - .offset:         110
        .size:           2
        .value_kind:     hidden_remainder_z
      - .offset:         128
        .size:           8
        .value_kind:     hidden_global_offset_x
      - .offset:         136
        .size:           8
        .value_kind:     hidden_global_offset_y
      - .offset:         144
        .size:           8
        .value_kind:     hidden_global_offset_z
      - .offset:         152
        .size:           2
        .value_kind:     hidden_grid_dims
    .group_segment_fixed_size: 0
    .kernarg_segment_align: 8
    .kernarg_segment_size: 344
    .language:       OpenCL C
    .language_version:
      - 2
      - 0
    .max_flat_workgroup_size: 64
    .name:           _ZL36rocblas_hemvn_kernel_upper_block_sumILi64EiPKdPKPddEviT1_lS5_lT2_lT0_lPT3_i
    .private_segment_fixed_size: 0
    .sgpr_count:     30
    .sgpr_spill_count: 0
    .symbol:         _ZL36rocblas_hemvn_kernel_upper_block_sumILi64EiPKdPKPddEviT1_lS5_lT2_lT0_lPT3_i.kd
    .uniform_work_group_size: 1
    .uses_dynamic_stack: false
    .vgpr_count:     15
    .vgpr_spill_count: 0
    .wavefront_size: 32
    .workgroup_processor_mode: 1
  - .args:
      - .offset:         0
        .size:           4
        .value_kind:     by_value
      - .offset:         8
        .size:           8
        .value_kind:     by_value
      - .offset:         16
        .size:           8
        .value_kind:     by_value
      - .address_space:  global
        .offset:         24
        .size:           8
        .value_kind:     global_buffer
      - .offset:         32
        .size:           8
        .value_kind:     by_value
      - .offset:         40
        .size:           8
        .value_kind:     by_value
      - .offset:         48
        .size:           8
        .value_kind:     by_value
      - .address_space:  global
        .offset:         56
        .size:           8
        .value_kind:     global_buffer
      - .offset:         64
        .size:           8
        .value_kind:     by_value
      - .offset:         72
        .size:           8
        .value_kind:     by_value
      - .offset:         80
        .size:           8
        .value_kind:     by_value
      - .offset:         88
        .size:           8
        .value_kind:     by_value
      - .offset:         96
        .size:           8
        .value_kind:     by_value
      - .address_space:  global
        .offset:         104
        .size:           8
        .value_kind:     global_buffer
      - .offset:         112
        .size:           4
        .value_kind:     by_value
      - .offset:         120
        .size:           4
        .value_kind:     hidden_block_count_x
      - .offset:         124
        .size:           4
        .value_kind:     hidden_block_count_y
      - .offset:         128
        .size:           4
        .value_kind:     hidden_block_count_z
      - .offset:         132
        .size:           2
        .value_kind:     hidden_group_size_x
      - .offset:         134
        .size:           2
        .value_kind:     hidden_group_size_y
      - .offset:         136
        .size:           2
        .value_kind:     hidden_group_size_z
      - .offset:         138
        .size:           2
        .value_kind:     hidden_remainder_x
      - .offset:         140
        .size:           2
        .value_kind:     hidden_remainder_y
      - .offset:         142
        .size:           2
        .value_kind:     hidden_remainder_z
      - .offset:         160
        .size:           8
        .value_kind:     hidden_global_offset_x
      - .offset:         168
        .size:           8
        .value_kind:     hidden_global_offset_y
      - .offset:         176
        .size:           8
        .value_kind:     hidden_global_offset_z
      - .offset:         184
        .size:           2
        .value_kind:     hidden_grid_dims
    .group_segment_fixed_size: 9600
    .kernarg_segment_align: 8
    .kernarg_segment_size: 376
    .language:       OpenCL C
    .language_version:
      - 2
      - 0
    .max_flat_workgroup_size: 256
    .name:           _ZL26rocblas_hemvn_kernel_upperILb0ELi64ELi4ELi33ELi32ELi16EldPKPKdPdEviT6_lT7_lT5_lS6_lS7_lS5_lT8_i
    .private_segment_fixed_size: 0
    .sgpr_count:     78
    .sgpr_spill_count: 0
    .symbol:         _ZL26rocblas_hemvn_kernel_upperILb0ELi64ELi4ELi33ELi32ELi16EldPKPKdPdEviT6_lT7_lT5_lS6_lS7_lS5_lT8_i.kd
    .uniform_work_group_size: 1
    .uses_dynamic_stack: false
    .vgpr_count:     211
    .vgpr_spill_count: 0
    .wavefront_size: 32
    .workgroup_processor_mode: 1
  - .args:
      - .offset:         0
        .size:           4
        .value_kind:     by_value
      - .offset:         8
        .size:           8
        .value_kind:     by_value
      - .offset:         16
        .size:           8
        .value_kind:     by_value
      - .offset:         24
        .size:           8
        .value_kind:     by_value
      - .offset:         32
        .size:           8
        .value_kind:     by_value
      - .actual_access:  read_only
        .address_space:  global
        .offset:         40
        .size:           8
        .value_kind:     global_buffer
      - .offset:         48
        .size:           8
        .value_kind:     by_value
      - .offset:         56
        .size:           8
        .value_kind:     by_value
      - .offset:         64
        .size:           8
        .value_kind:     by_value
      - .address_space:  global
        .offset:         72
        .size:           8
        .value_kind:     global_buffer
      - .offset:         80
        .size:           4
        .value_kind:     by_value
      - .offset:         88
        .size:           4
        .value_kind:     hidden_block_count_x
      - .offset:         92
        .size:           4
        .value_kind:     hidden_block_count_y
      - .offset:         96
        .size:           4
        .value_kind:     hidden_block_count_z
      - .offset:         100
        .size:           2
        .value_kind:     hidden_group_size_x
      - .offset:         102
        .size:           2
        .value_kind:     hidden_group_size_y
      - .offset:         104
        .size:           2
        .value_kind:     hidden_group_size_z
      - .offset:         106
        .size:           2
        .value_kind:     hidden_remainder_x
      - .offset:         108
        .size:           2
        .value_kind:     hidden_remainder_y
      - .offset:         110
        .size:           2
        .value_kind:     hidden_remainder_z
      - .offset:         128
        .size:           8
        .value_kind:     hidden_global_offset_x
      - .offset:         136
        .size:           8
        .value_kind:     hidden_global_offset_y
      - .offset:         144
        .size:           8
        .value_kind:     hidden_global_offset_z
      - .offset:         152
        .size:           2
        .value_kind:     hidden_grid_dims
    .group_segment_fixed_size: 0
    .kernarg_segment_align: 8
    .kernarg_segment_size: 344
    .language:       OpenCL C
    .language_version:
      - 2
      - 0
    .max_flat_workgroup_size: 64
    .name:           _ZL36rocblas_hemvn_kernel_upper_block_sumILi64EldPKPddEviT1_lS3_lT2_lT0_lPT3_i
    .private_segment_fixed_size: 0
    .sgpr_count:     30
    .sgpr_spill_count: 0
    .symbol:         _ZL36rocblas_hemvn_kernel_upper_block_sumILi64EldPKPddEviT1_lS3_lT2_lT0_lPT3_i.kd
    .uniform_work_group_size: 1
    .uses_dynamic_stack: false
    .vgpr_count:     10
    .vgpr_spill_count: 0
    .wavefront_size: 32
    .workgroup_processor_mode: 1
  - .args:
      - .offset:         0
        .size:           4
        .value_kind:     by_value
      - .offset:         8
        .size:           8
        .value_kind:     by_value
      - .offset:         16
        .size:           8
        .value_kind:     by_value
      - .address_space:  global
        .offset:         24
        .size:           8
        .value_kind:     global_buffer
      - .offset:         32
        .size:           8
        .value_kind:     by_value
      - .offset:         40
        .size:           4
        .value_kind:     by_value
      - .offset:         48
        .size:           8
        .value_kind:     by_value
      - .address_space:  global
        .offset:         56
        .size:           8
        .value_kind:     global_buffer
      - .offset:         64
        .size:           8
        .value_kind:     by_value
      - .offset:         72
        .size:           4
        .value_kind:     by_value
      - .offset:         80
        .size:           8
        .value_kind:     by_value
      - .offset:         88
        .size:           8
        .value_kind:     by_value
      - .offset:         96
        .size:           8
        .value_kind:     by_value
      - .address_space:  global
        .offset:         104
        .size:           8
        .value_kind:     global_buffer
      - .offset:         112
        .size:           4
        .value_kind:     by_value
      - .offset:         120
        .size:           4
        .value_kind:     hidden_block_count_x
      - .offset:         124
        .size:           4
        .value_kind:     hidden_block_count_y
      - .offset:         128
        .size:           4
        .value_kind:     hidden_block_count_z
      - .offset:         132
        .size:           2
        .value_kind:     hidden_group_size_x
      - .offset:         134
        .size:           2
        .value_kind:     hidden_group_size_y
      - .offset:         136
        .size:           2
        .value_kind:     hidden_group_size_z
      - .offset:         138
        .size:           2
        .value_kind:     hidden_remainder_x
      - .offset:         140
        .size:           2
        .value_kind:     hidden_remainder_y
      - .offset:         142
        .size:           2
        .value_kind:     hidden_remainder_z
      - .offset:         160
        .size:           8
        .value_kind:     hidden_global_offset_x
      - .offset:         168
        .size:           8
        .value_kind:     hidden_global_offset_y
      - .offset:         176
        .size:           8
        .value_kind:     hidden_global_offset_z
      - .offset:         184
        .size:           2
        .value_kind:     hidden_grid_dims
    .group_segment_fixed_size: 9600
    .kernarg_segment_align: 8
    .kernarg_segment_size: 376
    .language:       OpenCL C
    .language_version:
      - 2
      - 0
    .max_flat_workgroup_size: 256
    .name:           _ZL26rocblas_hemvn_kernel_upperILb0ELi64ELi4ELi33ELi32ELi16EidPKPKdPdEviT6_lT7_lT5_lS6_lS7_lS5_lT8_i
    .private_segment_fixed_size: 0
    .sgpr_count:     105
    .sgpr_spill_count: 0
    .symbol:         _ZL26rocblas_hemvn_kernel_upperILb0ELi64ELi4ELi33ELi32ELi16EidPKPKdPdEviT6_lT7_lT5_lS6_lS7_lS5_lT8_i.kd
    .uniform_work_group_size: 1
    .uses_dynamic_stack: false
    .vgpr_count:     216
    .vgpr_spill_count: 0
    .wavefront_size: 32
    .workgroup_processor_mode: 1
  - .args:
      - .offset:         0
        .size:           4
        .value_kind:     by_value
      - .offset:         8
        .size:           8
        .value_kind:     by_value
      - .offset:         16
        .size:           8
        .value_kind:     by_value
      - .offset:         24
        .size:           8
        .value_kind:     by_value
      - .offset:         32
        .size:           8
        .value_kind:     by_value
      - .actual_access:  read_only
        .address_space:  global
        .offset:         40
        .size:           8
        .value_kind:     global_buffer
      - .offset:         48
        .size:           8
        .value_kind:     by_value
      - .offset:         56
        .size:           4
        .value_kind:     by_value
      - .offset:         64
        .size:           8
        .value_kind:     by_value
      - .address_space:  global
        .offset:         72
        .size:           8
        .value_kind:     global_buffer
      - .offset:         80
        .size:           4
        .value_kind:     by_value
      - .offset:         88
        .size:           4
        .value_kind:     hidden_block_count_x
      - .offset:         92
        .size:           4
        .value_kind:     hidden_block_count_y
      - .offset:         96
        .size:           4
        .value_kind:     hidden_block_count_z
      - .offset:         100
        .size:           2
        .value_kind:     hidden_group_size_x
      - .offset:         102
        .size:           2
        .value_kind:     hidden_group_size_y
      - .offset:         104
        .size:           2
        .value_kind:     hidden_group_size_z
      - .offset:         106
        .size:           2
        .value_kind:     hidden_remainder_x
      - .offset:         108
        .size:           2
        .value_kind:     hidden_remainder_y
      - .offset:         110
        .size:           2
        .value_kind:     hidden_remainder_z
      - .offset:         128
        .size:           8
        .value_kind:     hidden_global_offset_x
      - .offset:         136
        .size:           8
        .value_kind:     hidden_global_offset_y
      - .offset:         144
        .size:           8
        .value_kind:     hidden_global_offset_z
      - .offset:         152
        .size:           2
        .value_kind:     hidden_grid_dims
    .group_segment_fixed_size: 0
    .kernarg_segment_align: 8
    .kernarg_segment_size: 344
    .language:       OpenCL C
    .language_version:
      - 2
      - 0
    .max_flat_workgroup_size: 64
    .name:           _ZL36rocblas_hemvn_kernel_upper_block_sumILi64EidPKPddEviT1_lS3_lT2_lT0_lPT3_i
    .private_segment_fixed_size: 0
    .sgpr_count:     30
    .sgpr_spill_count: 0
    .symbol:         _ZL36rocblas_hemvn_kernel_upper_block_sumILi64EidPKPddEviT1_lS3_lT2_lT0_lPT3_i.kd
    .uniform_work_group_size: 1
    .uses_dynamic_stack: false
    .vgpr_count:     10
    .vgpr_spill_count: 0
    .wavefront_size: 32
    .workgroup_processor_mode: 1
  - .args:
      - .offset:         0
        .size:           1
        .value_kind:     by_value
      - .offset:         4
        .size:           4
        .value_kind:     by_value
      - .offset:         8
        .size:           8
        .value_kind:     by_value
      - .offset:         16
        .size:           8
        .value_kind:     by_value
      - .address_space:  global
        .offset:         24
        .size:           8
        .value_kind:     global_buffer
      - .offset:         32
        .size:           8
        .value_kind:     by_value
      - .offset:         40
        .size:           8
        .value_kind:     by_value
      - .offset:         48
        .size:           8
        .value_kind:     by_value
      - .address_space:  global
        .offset:         56
        .size:           8
        .value_kind:     global_buffer
      - .offset:         64
        .size:           8
        .value_kind:     by_value
      - .offset:         72
        .size:           8
        .value_kind:     by_value
      - .offset:         80
        .size:           8
        .value_kind:     by_value
      - .offset:         88
        .size:           8
        .value_kind:     by_value
      - .offset:         96
        .size:           8
        .value_kind:     by_value
      - .actual_access:  read_only
        .address_space:  global
        .offset:         104
        .size:           8
        .value_kind:     global_buffer
      - .offset:         112
        .size:           8
        .value_kind:     by_value
      - .offset:         120
        .size:           8
        .value_kind:     by_value
      - .offset:         128
        .size:           8
        .value_kind:     by_value
      - .offset:         136
        .size:           4
        .value_kind:     by_value
    .group_segment_fixed_size: 10496
    .kernarg_segment_align: 8
    .kernarg_segment_size: 140
    .language:       OpenCL C
    .language_version:
      - 2
      - 0
    .max_flat_workgroup_size: 128
    .name:           _ZL50rocblas_symv_kernel_lower_double_buffered_diagonalILi32ELi4E24rocblas_internal_val_ptrIdEPKPKdPKPdEvbiT1_lT2_lllSA_lllS9_lT3_llli
    .private_segment_fixed_size: 24
    .sgpr_count:     50
    .sgpr_spill_count: 0
    .symbol:         _ZL50rocblas_symv_kernel_lower_double_buffered_diagonalILi32ELi4E24rocblas_internal_val_ptrIdEPKPKdPKPdEvbiT1_lT2_lllSA_lllS9_lT3_llli.kd
    .uniform_work_group_size: 1
    .uses_dynamic_stack: false
    .vgpr_count:     43
    .vgpr_spill_count: 0
    .wavefront_size: 32
    .workgroup_processor_mode: 1
  - .args:
      - .offset:         0
        .size:           1
        .value_kind:     by_value
      - .offset:         4
        .size:           4
        .value_kind:     by_value
      - .offset:         8
        .size:           8
        .value_kind:     by_value
      - .offset:         16
        .size:           8
        .value_kind:     by_value
      - .address_space:  global
        .offset:         24
        .size:           8
        .value_kind:     global_buffer
      - .offset:         32
        .size:           8
        .value_kind:     by_value
      - .offset:         40
        .size:           8
        .value_kind:     by_value
      - .offset:         48
        .size:           8
        .value_kind:     by_value
      - .address_space:  global
        .offset:         56
        .size:           8
        .value_kind:     global_buffer
      - .offset:         64
        .size:           8
        .value_kind:     by_value
      - .offset:         72
        .size:           8
        .value_kind:     by_value
      - .offset:         80
        .size:           8
        .value_kind:     by_value
      - .actual_access:  read_only
        .address_space:  global
        .offset:         88
        .size:           8
        .value_kind:     global_buffer
      - .offset:         96
        .size:           8
        .value_kind:     by_value
      - .offset:         104
        .size:           8
        .value_kind:     by_value
      - .offset:         112
        .size:           8
        .value_kind:     by_value
      - .offset:         120
        .size:           4
        .value_kind:     by_value
      - .offset:         128
        .size:           4
        .value_kind:     hidden_block_count_x
      - .offset:         132
        .size:           4
        .value_kind:     hidden_block_count_y
      - .offset:         136
        .size:           4
        .value_kind:     hidden_block_count_z
      - .offset:         140
        .size:           2
        .value_kind:     hidden_group_size_x
      - .offset:         142
        .size:           2
        .value_kind:     hidden_group_size_y
      - .offset:         144
        .size:           2
        .value_kind:     hidden_group_size_z
      - .offset:         146
        .size:           2
        .value_kind:     hidden_remainder_x
      - .offset:         148
        .size:           2
        .value_kind:     hidden_remainder_y
      - .offset:         150
        .size:           2
        .value_kind:     hidden_remainder_z
      - .offset:         168
        .size:           8
        .value_kind:     hidden_global_offset_x
      - .offset:         176
        .size:           8
        .value_kind:     hidden_global_offset_y
      - .offset:         184
        .size:           8
        .value_kind:     hidden_global_offset_z
      - .offset:         192
        .size:           2
        .value_kind:     hidden_grid_dims
    .group_segment_fixed_size: 7424
    .kernarg_segment_align: 8
    .kernarg_segment_size: 384
    .language:       OpenCL C
    .language_version:
      - 2
      - 0
    .max_flat_workgroup_size: 128
    .name:           _ZL54rocblas_symv_kernel_lower_double_buffered_non_diagonalILi32ELi4ELi4E24rocblas_internal_val_ptrIdEPKPKdPKPdEvbiT2_lT3_lllSA_lllT4_llli
    .private_segment_fixed_size: 0
    .sgpr_count:     56
    .sgpr_spill_count: 0
    .symbol:         _ZL54rocblas_symv_kernel_lower_double_buffered_non_diagonalILi32ELi4ELi4E24rocblas_internal_val_ptrIdEPKPKdPKPdEvbiT2_lT3_lllSA_lllT4_llli.kd
    .uniform_work_group_size: 1
    .uses_dynamic_stack: false
    .vgpr_count:     89
    .vgpr_spill_count: 0
    .wavefront_size: 32
    .workgroup_processor_mode: 1
  - .args:
      - .offset:         0
        .size:           1
        .value_kind:     by_value
      - .offset:         4
        .size:           4
        .value_kind:     by_value
      - .offset:         8
        .size:           8
        .value_kind:     by_value
      - .offset:         16
        .size:           8
        .value_kind:     by_value
      - .address_space:  global
        .offset:         24
        .size:           8
        .value_kind:     global_buffer
      - .offset:         32
        .size:           8
        .value_kind:     by_value
      - .offset:         40
        .size:           8
        .value_kind:     by_value
      - .offset:         48
        .size:           8
        .value_kind:     by_value
      - .address_space:  global
        .offset:         56
        .size:           8
        .value_kind:     global_buffer
      - .offset:         64
        .size:           8
        .value_kind:     by_value
      - .offset:         72
        .size:           8
        .value_kind:     by_value
      - .offset:         80
        .size:           8
        .value_kind:     by_value
      - .offset:         88
        .size:           8
        .value_kind:     by_value
      - .offset:         96
        .size:           8
        .value_kind:     by_value
      - .actual_access:  read_only
        .address_space:  global
        .offset:         104
        .size:           8
        .value_kind:     global_buffer
      - .offset:         112
        .size:           8
        .value_kind:     by_value
      - .offset:         120
        .size:           8
        .value_kind:     by_value
      - .offset:         128
        .size:           8
        .value_kind:     by_value
      - .offset:         136
        .size:           4
        .value_kind:     by_value
      - .offset:         140
        .size:           4
        .value_kind:     by_value
      - .offset:         144
        .size:           4
        .value_kind:     hidden_block_count_x
      - .offset:         148
        .size:           4
        .value_kind:     hidden_block_count_y
      - .offset:         152
        .size:           4
        .value_kind:     hidden_block_count_z
      - .offset:         156
        .size:           2
        .value_kind:     hidden_group_size_x
      - .offset:         158
        .size:           2
        .value_kind:     hidden_group_size_y
      - .offset:         160
        .size:           2
        .value_kind:     hidden_group_size_z
      - .offset:         162
        .size:           2
        .value_kind:     hidden_remainder_x
      - .offset:         164
        .size:           2
        .value_kind:     hidden_remainder_y
      - .offset:         166
        .size:           2
        .value_kind:     hidden_remainder_z
      - .offset:         184
        .size:           8
        .value_kind:     hidden_global_offset_x
      - .offset:         192
        .size:           8
        .value_kind:     hidden_global_offset_y
      - .offset:         200
        .size:           8
        .value_kind:     hidden_global_offset_z
      - .offset:         208
        .size:           2
        .value_kind:     hidden_grid_dims
    .group_segment_fixed_size: 10496
    .kernarg_segment_align: 8
    .kernarg_segment_size: 400
    .language:       OpenCL C
    .language_version:
      - 2
      - 0
    .max_flat_workgroup_size: 128
    .name:           _ZL58rocblas_symv_kernel_lower_double_buffered_diagonal_genericILi32ELi4E24rocblas_internal_val_ptrIdEPKPKdPKPdEvbiT1_lT2_lllSA_lllS9_lT3_lllii
    .private_segment_fixed_size: 24
    .sgpr_count:     56
    .sgpr_spill_count: 0
    .symbol:         _ZL58rocblas_symv_kernel_lower_double_buffered_diagonal_genericILi32ELi4E24rocblas_internal_val_ptrIdEPKPKdPKPdEvbiT1_lT2_lllSA_lllS9_lT3_lllii.kd
    .uniform_work_group_size: 1
    .uses_dynamic_stack: false
    .vgpr_count:     52
    .vgpr_spill_count: 0
    .wavefront_size: 32
    .workgroup_processor_mode: 1
  - .args:
      - .offset:         0
        .size:           1
        .value_kind:     by_value
      - .offset:         4
        .size:           4
        .value_kind:     by_value
      - .offset:         8
        .size:           8
        .value_kind:     by_value
      - .offset:         16
        .size:           8
        .value_kind:     by_value
      - .address_space:  global
        .offset:         24
        .size:           8
        .value_kind:     global_buffer
      - .offset:         32
        .size:           8
        .value_kind:     by_value
      - .offset:         40
        .size:           8
        .value_kind:     by_value
      - .offset:         48
        .size:           8
        .value_kind:     by_value
      - .address_space:  global
        .offset:         56
        .size:           8
        .value_kind:     global_buffer
      - .offset:         64
        .size:           8
        .value_kind:     by_value
      - .offset:         72
        .size:           8
        .value_kind:     by_value
      - .offset:         80
        .size:           8
        .value_kind:     by_value
      - .actual_access:  read_only
        .address_space:  global
        .offset:         88
        .size:           8
        .value_kind:     global_buffer
      - .offset:         96
        .size:           8
        .value_kind:     by_value
      - .offset:         104
        .size:           8
        .value_kind:     by_value
      - .offset:         112
        .size:           8
        .value_kind:     by_value
      - .offset:         120
        .size:           4
        .value_kind:     by_value
      - .offset:         124
        .size:           4
        .value_kind:     by_value
      - .offset:         128
        .size:           4
        .value_kind:     hidden_block_count_x
      - .offset:         132
        .size:           4
        .value_kind:     hidden_block_count_y
      - .offset:         136
        .size:           4
        .value_kind:     hidden_block_count_z
      - .offset:         140
        .size:           2
        .value_kind:     hidden_group_size_x
      - .offset:         142
        .size:           2
        .value_kind:     hidden_group_size_y
      - .offset:         144
        .size:           2
        .value_kind:     hidden_group_size_z
      - .offset:         146
        .size:           2
        .value_kind:     hidden_remainder_x
      - .offset:         148
        .size:           2
        .value_kind:     hidden_remainder_y
      - .offset:         150
        .size:           2
        .value_kind:     hidden_remainder_z
      - .offset:         168
        .size:           8
        .value_kind:     hidden_global_offset_x
      - .offset:         176
        .size:           8
        .value_kind:     hidden_global_offset_y
      - .offset:         184
        .size:           8
        .value_kind:     hidden_global_offset_z
      - .offset:         192
        .size:           2
        .value_kind:     hidden_grid_dims
    .group_segment_fixed_size: 7424
    .kernarg_segment_align: 8
    .kernarg_segment_size: 384
    .language:       OpenCL C
    .language_version:
      - 2
      - 0
    .max_flat_workgroup_size: 128
    .name:           _ZL62rocblas_symv_kernel_lower_double_buffered_non_diagonal_genericILi32ELi4ELi4E24rocblas_internal_val_ptrIdEPKPKdPKPdEvbiT2_lT3_lllSA_lllT4_lllii
    .private_segment_fixed_size: 0
    .sgpr_count:     70
    .sgpr_spill_count: 0
    .symbol:         _ZL62rocblas_symv_kernel_lower_double_buffered_non_diagonal_genericILi32ELi4ELi4E24rocblas_internal_val_ptrIdEPKPKdPKPdEvbiT2_lT3_lllSA_lllT4_lllii.kd
    .uniform_work_group_size: 1
    .uses_dynamic_stack: false
    .vgpr_count:     89
    .vgpr_spill_count: 0
    .wavefront_size: 32
    .workgroup_processor_mode: 1
  - .args:
      - .offset:         0
        .size:           4
        .value_kind:     by_value
      - .address_space:  global
        .offset:         8
        .size:           8
        .value_kind:     global_buffer
      - .offset:         16
        .size:           8
        .value_kind:     by_value
      - .address_space:  global
        .offset:         24
        .size:           8
        .value_kind:     global_buffer
      - .offset:         32
        .size:           8
        .value_kind:     by_value
      - .offset:         40
        .size:           8
        .value_kind:     by_value
      - .offset:         48
        .size:           8
        .value_kind:     by_value
      - .address_space:  global
        .offset:         56
        .size:           8
        .value_kind:     global_buffer
      - .offset:         64
        .size:           8
        .value_kind:     by_value
      - .offset:         72
        .size:           8
        .value_kind:     by_value
      - .offset:         80
        .size:           8
        .value_kind:     by_value
      - .address_space:  global
        .offset:         88
        .size:           8
        .value_kind:     global_buffer
      - .offset:         96
        .size:           8
        .value_kind:     by_value
      - .address_space:  global
        .offset:         104
        .size:           8
        .value_kind:     global_buffer
      - .offset:         112
        .size:           4
        .value_kind:     by_value
      - .offset:         120
        .size:           4
        .value_kind:     hidden_block_count_x
      - .offset:         124
        .size:           4
        .value_kind:     hidden_block_count_y
      - .offset:         128
        .size:           4
        .value_kind:     hidden_block_count_z
      - .offset:         132
        .size:           2
        .value_kind:     hidden_group_size_x
      - .offset:         134
        .size:           2
        .value_kind:     hidden_group_size_y
      - .offset:         136
        .size:           2
        .value_kind:     hidden_group_size_z
      - .offset:         138
        .size:           2
        .value_kind:     hidden_remainder_x
      - .offset:         140
        .size:           2
        .value_kind:     hidden_remainder_y
      - .offset:         142
        .size:           2
        .value_kind:     hidden_remainder_z
      - .offset:         160
        .size:           8
        .value_kind:     hidden_global_offset_x
      - .offset:         168
        .size:           8
        .value_kind:     hidden_global_offset_y
      - .offset:         176
        .size:           8
        .value_kind:     hidden_global_offset_z
      - .offset:         184
        .size:           2
        .value_kind:     hidden_grid_dims
    .group_segment_fixed_size: 9600
    .kernarg_segment_align: 8
    .kernarg_segment_size: 376
    .language:       OpenCL C
    .language_version:
      - 2
      - 0
    .max_flat_workgroup_size: 256
    .name:           _ZL26rocblas_hemvn_kernel_lowerILb0ELi64ELi4ELi33ELi32ELi16ElPKdPKS1_PdEviT6_lT7_lT5_lS6_lS7_lS5_lT8_i
    .private_segment_fixed_size: 0
    .sgpr_count:     107
    .sgpr_spill_count: 0
    .symbol:         _ZL26rocblas_hemvn_kernel_lowerILb0ELi64ELi4ELi33ELi32ELi16ElPKdPKS1_PdEviT6_lT7_lT5_lS6_lS7_lS5_lT8_i.kd
    .uniform_work_group_size: 1
    .uses_dynamic_stack: false
    .vgpr_count:     125
    .vgpr_spill_count: 0
    .wavefront_size: 32
    .workgroup_processor_mode: 1
  - .args:
      - .offset:         0
        .size:           4
        .value_kind:     by_value
      - .address_space:  global
        .offset:         8
        .size:           8
        .value_kind:     global_buffer
      - .offset:         16
        .size:           8
        .value_kind:     by_value
      - .address_space:  global
        .offset:         24
        .size:           8
        .value_kind:     global_buffer
      - .offset:         32
        .size:           8
        .value_kind:     by_value
      - .actual_access:  read_only
        .address_space:  global
        .offset:         40
        .size:           8
        .value_kind:     global_buffer
      - .offset:         48
        .size:           8
        .value_kind:     by_value
      - .offset:         56
        .size:           8
        .value_kind:     by_value
      - .offset:         64
        .size:           8
        .value_kind:     by_value
      - .actual_access:  read_only
        .address_space:  global
        .offset:         72
        .size:           8
        .value_kind:     global_buffer
      - .offset:         80
        .size:           4
        .value_kind:     by_value
      - .offset:         88
        .size:           4
        .value_kind:     hidden_block_count_x
      - .offset:         92
        .size:           4
        .value_kind:     hidden_block_count_y
      - .offset:         96
        .size:           4
        .value_kind:     hidden_block_count_z
      - .offset:         100
        .size:           2
        .value_kind:     hidden_group_size_x
      - .offset:         102
        .size:           2
        .value_kind:     hidden_group_size_y
      - .offset:         104
        .size:           2
        .value_kind:     hidden_group_size_z
      - .offset:         106
        .size:           2
        .value_kind:     hidden_remainder_x
      - .offset:         108
        .size:           2
        .value_kind:     hidden_remainder_y
      - .offset:         110
        .size:           2
        .value_kind:     hidden_remainder_z
      - .offset:         128
        .size:           8
        .value_kind:     hidden_global_offset_x
      - .offset:         136
        .size:           8
        .value_kind:     hidden_global_offset_y
      - .offset:         144
        .size:           8
        .value_kind:     hidden_global_offset_z
      - .offset:         152
        .size:           2
        .value_kind:     hidden_grid_dims
    .group_segment_fixed_size: 0
    .kernarg_segment_align: 8
    .kernarg_segment_size: 344
    .language:       OpenCL C
    .language_version:
      - 2
      - 0
    .max_flat_workgroup_size: 64
    .name:           _ZL36rocblas_hemvn_kernel_lower_block_sumILi64ElPKdPKPddEviT1_lS5_lT2_lT0_lPT3_i
    .private_segment_fixed_size: 0
    .sgpr_count:     32
    .sgpr_spill_count: 0
    .symbol:         _ZL36rocblas_hemvn_kernel_lower_block_sumILi64ElPKdPKPddEviT1_lS5_lT2_lT0_lPT3_i.kd
    .uniform_work_group_size: 1
    .uses_dynamic_stack: false
    .vgpr_count:     15
    .vgpr_spill_count: 0
    .wavefront_size: 32
    .workgroup_processor_mode: 1
  - .args:
      - .offset:         0
        .size:           4
        .value_kind:     by_value
      - .address_space:  global
        .offset:         8
        .size:           8
        .value_kind:     global_buffer
      - .offset:         16
        .size:           8
        .value_kind:     by_value
      - .address_space:  global
        .offset:         24
        .size:           8
        .value_kind:     global_buffer
      - .offset:         32
        .size:           8
        .value_kind:     by_value
      - .offset:         40
        .size:           4
        .value_kind:     by_value
      - .offset:         48
        .size:           8
        .value_kind:     by_value
      - .address_space:  global
        .offset:         56
        .size:           8
        .value_kind:     global_buffer
      - .offset:         64
        .size:           8
        .value_kind:     by_value
      - .offset:         72
        .size:           4
        .value_kind:     by_value
      - .offset:         80
        .size:           8
        .value_kind:     by_value
      - .address_space:  global
        .offset:         88
        .size:           8
        .value_kind:     global_buffer
      - .offset:         96
        .size:           8
        .value_kind:     by_value
      - .address_space:  global
        .offset:         104
        .size:           8
        .value_kind:     global_buffer
      - .offset:         112
        .size:           4
        .value_kind:     by_value
      - .offset:         120
        .size:           4
        .value_kind:     hidden_block_count_x
      - .offset:         124
        .size:           4
        .value_kind:     hidden_block_count_y
      - .offset:         128
        .size:           4
        .value_kind:     hidden_block_count_z
      - .offset:         132
        .size:           2
        .value_kind:     hidden_group_size_x
      - .offset:         134
        .size:           2
        .value_kind:     hidden_group_size_y
      - .offset:         136
        .size:           2
        .value_kind:     hidden_group_size_z
      - .offset:         138
        .size:           2
        .value_kind:     hidden_remainder_x
      - .offset:         140
        .size:           2
        .value_kind:     hidden_remainder_y
      - .offset:         142
        .size:           2
        .value_kind:     hidden_remainder_z
      - .offset:         160
        .size:           8
        .value_kind:     hidden_global_offset_x
      - .offset:         168
        .size:           8
        .value_kind:     hidden_global_offset_y
      - .offset:         176
        .size:           8
        .value_kind:     hidden_global_offset_z
      - .offset:         184
        .size:           2
        .value_kind:     hidden_grid_dims
    .group_segment_fixed_size: 9600
    .kernarg_segment_align: 8
    .kernarg_segment_size: 376
    .language:       OpenCL C
    .language_version:
      - 2
      - 0
    .max_flat_workgroup_size: 256
    .name:           _ZL26rocblas_hemvn_kernel_lowerILb0ELi64ELi4ELi33ELi32ELi16EiPKdPKS1_PdEviT6_lT7_lT5_lS6_lS7_lS5_lT8_i
    .private_segment_fixed_size: 0
    .sgpr_count:     107
    .sgpr_spill_count: 5
    .symbol:         _ZL26rocblas_hemvn_kernel_lowerILb0ELi64ELi4ELi33ELi32ELi16EiPKdPKS1_PdEviT6_lT7_lT5_lS6_lS7_lS5_lT8_i.kd
    .uniform_work_group_size: 1
    .uses_dynamic_stack: false
    .vgpr_count:     128
    .vgpr_spill_count: 0
    .wavefront_size: 32
    .workgroup_processor_mode: 1
  - .args:
      - .offset:         0
        .size:           4
        .value_kind:     by_value
      - .address_space:  global
        .offset:         8
        .size:           8
        .value_kind:     global_buffer
      - .offset:         16
        .size:           8
        .value_kind:     by_value
      - .address_space:  global
        .offset:         24
        .size:           8
        .value_kind:     global_buffer
      - .offset:         32
        .size:           8
        .value_kind:     by_value
      - .actual_access:  read_only
        .address_space:  global
        .offset:         40
        .size:           8
        .value_kind:     global_buffer
      - .offset:         48
        .size:           8
        .value_kind:     by_value
      - .offset:         56
        .size:           4
        .value_kind:     by_value
      - .offset:         64
        .size:           8
        .value_kind:     by_value
      - .actual_access:  read_only
        .address_space:  global
        .offset:         72
        .size:           8
        .value_kind:     global_buffer
      - .offset:         80
        .size:           4
        .value_kind:     by_value
      - .offset:         88
        .size:           4
        .value_kind:     hidden_block_count_x
      - .offset:         92
        .size:           4
        .value_kind:     hidden_block_count_y
      - .offset:         96
        .size:           4
        .value_kind:     hidden_block_count_z
      - .offset:         100
        .size:           2
        .value_kind:     hidden_group_size_x
      - .offset:         102
        .size:           2
        .value_kind:     hidden_group_size_y
      - .offset:         104
        .size:           2
        .value_kind:     hidden_group_size_z
      - .offset:         106
        .size:           2
        .value_kind:     hidden_remainder_x
      - .offset:         108
        .size:           2
        .value_kind:     hidden_remainder_y
      - .offset:         110
        .size:           2
        .value_kind:     hidden_remainder_z
      - .offset:         128
        .size:           8
        .value_kind:     hidden_global_offset_x
      - .offset:         136
        .size:           8
        .value_kind:     hidden_global_offset_y
      - .offset:         144
        .size:           8
        .value_kind:     hidden_global_offset_z
      - .offset:         152
        .size:           2
        .value_kind:     hidden_grid_dims
    .group_segment_fixed_size: 0
    .kernarg_segment_align: 8
    .kernarg_segment_size: 344
    .language:       OpenCL C
    .language_version:
      - 2
      - 0
    .max_flat_workgroup_size: 64
    .name:           _ZL36rocblas_hemvn_kernel_lower_block_sumILi64EiPKdPKPddEviT1_lS5_lT2_lT0_lPT3_i
    .private_segment_fixed_size: 0
    .sgpr_count:     32
    .sgpr_spill_count: 0
    .symbol:         _ZL36rocblas_hemvn_kernel_lower_block_sumILi64EiPKdPKPddEviT1_lS5_lT2_lT0_lPT3_i.kd
    .uniform_work_group_size: 1
    .uses_dynamic_stack: false
    .vgpr_count:     15
    .vgpr_spill_count: 0
    .wavefront_size: 32
    .workgroup_processor_mode: 1
  - .args:
      - .offset:         0
        .size:           4
        .value_kind:     by_value
      - .offset:         8
        .size:           8
        .value_kind:     by_value
      - .offset:         16
        .size:           8
        .value_kind:     by_value
      - .address_space:  global
        .offset:         24
        .size:           8
        .value_kind:     global_buffer
      - .offset:         32
        .size:           8
        .value_kind:     by_value
      - .offset:         40
        .size:           8
        .value_kind:     by_value
      - .offset:         48
        .size:           8
        .value_kind:     by_value
      - .address_space:  global
        .offset:         56
        .size:           8
        .value_kind:     global_buffer
      - .offset:         64
        .size:           8
        .value_kind:     by_value
      - .offset:         72
        .size:           8
        .value_kind:     by_value
      - .offset:         80
        .size:           8
        .value_kind:     by_value
      - .offset:         88
        .size:           8
        .value_kind:     by_value
      - .offset:         96
        .size:           8
        .value_kind:     by_value
      - .address_space:  global
        .offset:         104
        .size:           8
        .value_kind:     global_buffer
      - .offset:         112
        .size:           4
        .value_kind:     by_value
      - .offset:         120
        .size:           4
        .value_kind:     hidden_block_count_x
      - .offset:         124
        .size:           4
        .value_kind:     hidden_block_count_y
      - .offset:         128
        .size:           4
        .value_kind:     hidden_block_count_z
      - .offset:         132
        .size:           2
        .value_kind:     hidden_group_size_x
      - .offset:         134
        .size:           2
        .value_kind:     hidden_group_size_y
      - .offset:         136
        .size:           2
        .value_kind:     hidden_group_size_z
      - .offset:         138
        .size:           2
        .value_kind:     hidden_remainder_x
      - .offset:         140
        .size:           2
        .value_kind:     hidden_remainder_y
      - .offset:         142
        .size:           2
        .value_kind:     hidden_remainder_z
      - .offset:         160
        .size:           8
        .value_kind:     hidden_global_offset_x
      - .offset:         168
        .size:           8
        .value_kind:     hidden_global_offset_y
      - .offset:         176
        .size:           8
        .value_kind:     hidden_global_offset_z
      - .offset:         184
        .size:           2
        .value_kind:     hidden_grid_dims
    .group_segment_fixed_size: 9600
    .kernarg_segment_align: 8
    .kernarg_segment_size: 376
    .language:       OpenCL C
    .language_version:
      - 2
      - 0
    .max_flat_workgroup_size: 256
    .name:           _ZL26rocblas_hemvn_kernel_lowerILb0ELi64ELi4ELi33ELi32ELi16EldPKPKdPdEviT6_lT7_lT5_lS6_lS7_lS5_lT8_i
    .private_segment_fixed_size: 0
    .sgpr_count:     104
    .sgpr_spill_count: 0
    .symbol:         _ZL26rocblas_hemvn_kernel_lowerILb0ELi64ELi4ELi33ELi32ELi16EldPKPKdPdEviT6_lT7_lT5_lS6_lS7_lS5_lT8_i.kd
    .uniform_work_group_size: 1
    .uses_dynamic_stack: false
    .vgpr_count:     139
    .vgpr_spill_count: 0
    .wavefront_size: 32
    .workgroup_processor_mode: 1
  - .args:
      - .offset:         0
        .size:           4
        .value_kind:     by_value
      - .offset:         8
        .size:           8
        .value_kind:     by_value
      - .offset:         16
        .size:           8
        .value_kind:     by_value
      - .offset:         24
        .size:           8
        .value_kind:     by_value
      - .offset:         32
        .size:           8
        .value_kind:     by_value
      - .actual_access:  read_only
        .address_space:  global
        .offset:         40
        .size:           8
        .value_kind:     global_buffer
      - .offset:         48
        .size:           8
        .value_kind:     by_value
      - .offset:         56
        .size:           8
        .value_kind:     by_value
      - .offset:         64
        .size:           8
        .value_kind:     by_value
      - .actual_access:  read_only
        .address_space:  global
        .offset:         72
        .size:           8
        .value_kind:     global_buffer
      - .offset:         80
        .size:           4
        .value_kind:     by_value
      - .offset:         88
        .size:           4
        .value_kind:     hidden_block_count_x
      - .offset:         92
        .size:           4
        .value_kind:     hidden_block_count_y
      - .offset:         96
        .size:           4
        .value_kind:     hidden_block_count_z
      - .offset:         100
        .size:           2
        .value_kind:     hidden_group_size_x
      - .offset:         102
        .size:           2
        .value_kind:     hidden_group_size_y
      - .offset:         104
        .size:           2
        .value_kind:     hidden_group_size_z
      - .offset:         106
        .size:           2
        .value_kind:     hidden_remainder_x
      - .offset:         108
        .size:           2
        .value_kind:     hidden_remainder_y
      - .offset:         110
        .size:           2
        .value_kind:     hidden_remainder_z
      - .offset:         128
        .size:           8
        .value_kind:     hidden_global_offset_x
      - .offset:         136
        .size:           8
        .value_kind:     hidden_global_offset_y
      - .offset:         144
        .size:           8
        .value_kind:     hidden_global_offset_z
      - .offset:         152
        .size:           2
        .value_kind:     hidden_grid_dims
    .group_segment_fixed_size: 0
    .kernarg_segment_align: 8
    .kernarg_segment_size: 344
    .language:       OpenCL C
    .language_version:
      - 2
      - 0
    .max_flat_workgroup_size: 64
    .name:           _ZL36rocblas_hemvn_kernel_lower_block_sumILi64EldPKPddEviT1_lS3_lT2_lT0_lPT3_i
    .private_segment_fixed_size: 0
    .sgpr_count:     32
    .sgpr_spill_count: 0
    .symbol:         _ZL36rocblas_hemvn_kernel_lower_block_sumILi64EldPKPddEviT1_lS3_lT2_lT0_lPT3_i.kd
    .uniform_work_group_size: 1
    .uses_dynamic_stack: false
    .vgpr_count:     10
    .vgpr_spill_count: 0
    .wavefront_size: 32
    .workgroup_processor_mode: 1
  - .args:
      - .offset:         0
        .size:           4
        .value_kind:     by_value
      - .offset:         8
        .size:           8
        .value_kind:     by_value
      - .offset:         16
        .size:           8
        .value_kind:     by_value
      - .address_space:  global
        .offset:         24
        .size:           8
        .value_kind:     global_buffer
      - .offset:         32
        .size:           8
        .value_kind:     by_value
      - .offset:         40
        .size:           4
        .value_kind:     by_value
      - .offset:         48
        .size:           8
        .value_kind:     by_value
      - .address_space:  global
        .offset:         56
        .size:           8
        .value_kind:     global_buffer
      - .offset:         64
        .size:           8
        .value_kind:     by_value
      - .offset:         72
        .size:           4
        .value_kind:     by_value
      - .offset:         80
        .size:           8
        .value_kind:     by_value
      - .offset:         88
        .size:           8
        .value_kind:     by_value
      - .offset:         96
        .size:           8
        .value_kind:     by_value
      - .address_space:  global
        .offset:         104
        .size:           8
        .value_kind:     global_buffer
      - .offset:         112
        .size:           4
        .value_kind:     by_value
      - .offset:         120
        .size:           4
        .value_kind:     hidden_block_count_x
      - .offset:         124
        .size:           4
        .value_kind:     hidden_block_count_y
      - .offset:         128
        .size:           4
        .value_kind:     hidden_block_count_z
      - .offset:         132
        .size:           2
        .value_kind:     hidden_group_size_x
      - .offset:         134
        .size:           2
        .value_kind:     hidden_group_size_y
      - .offset:         136
        .size:           2
        .value_kind:     hidden_group_size_z
      - .offset:         138
        .size:           2
        .value_kind:     hidden_remainder_x
      - .offset:         140
        .size:           2
        .value_kind:     hidden_remainder_y
      - .offset:         142
        .size:           2
        .value_kind:     hidden_remainder_z
      - .offset:         160
        .size:           8
        .value_kind:     hidden_global_offset_x
      - .offset:         168
        .size:           8
        .value_kind:     hidden_global_offset_y
      - .offset:         176
        .size:           8
        .value_kind:     hidden_global_offset_z
      - .offset:         184
        .size:           2
        .value_kind:     hidden_grid_dims
    .group_segment_fixed_size: 9600
    .kernarg_segment_align: 8
    .kernarg_segment_size: 376
    .language:       OpenCL C
    .language_version:
      - 2
      - 0
    .max_flat_workgroup_size: 256
    .name:           _ZL26rocblas_hemvn_kernel_lowerILb0ELi64ELi4ELi33ELi32ELi16EidPKPKdPdEviT6_lT7_lT5_lS6_lS7_lS5_lT8_i
    .private_segment_fixed_size: 0
    .sgpr_count:     105
    .sgpr_spill_count: 0
    .symbol:         _ZL26rocblas_hemvn_kernel_lowerILb0ELi64ELi4ELi33ELi32ELi16EidPKPKdPdEviT6_lT7_lT5_lS6_lS7_lS5_lT8_i.kd
    .uniform_work_group_size: 1
    .uses_dynamic_stack: false
    .vgpr_count:     141
    .vgpr_spill_count: 0
    .wavefront_size: 32
    .workgroup_processor_mode: 1
  - .args:
      - .offset:         0
        .size:           4
        .value_kind:     by_value
      - .offset:         8
        .size:           8
        .value_kind:     by_value
      - .offset:         16
        .size:           8
        .value_kind:     by_value
      - .offset:         24
        .size:           8
        .value_kind:     by_value
      - .offset:         32
        .size:           8
        .value_kind:     by_value
      - .actual_access:  read_only
        .address_space:  global
        .offset:         40
        .size:           8
        .value_kind:     global_buffer
      - .offset:         48
        .size:           8
        .value_kind:     by_value
      - .offset:         56
        .size:           4
        .value_kind:     by_value
      - .offset:         64
        .size:           8
        .value_kind:     by_value
      - .actual_access:  read_only
        .address_space:  global
        .offset:         72
        .size:           8
        .value_kind:     global_buffer
      - .offset:         80
        .size:           4
        .value_kind:     by_value
      - .offset:         88
        .size:           4
        .value_kind:     hidden_block_count_x
      - .offset:         92
        .size:           4
        .value_kind:     hidden_block_count_y
      - .offset:         96
        .size:           4
        .value_kind:     hidden_block_count_z
      - .offset:         100
        .size:           2
        .value_kind:     hidden_group_size_x
      - .offset:         102
        .size:           2
        .value_kind:     hidden_group_size_y
      - .offset:         104
        .size:           2
        .value_kind:     hidden_group_size_z
      - .offset:         106
        .size:           2
        .value_kind:     hidden_remainder_x
      - .offset:         108
        .size:           2
        .value_kind:     hidden_remainder_y
      - .offset:         110
        .size:           2
        .value_kind:     hidden_remainder_z
      - .offset:         128
        .size:           8
        .value_kind:     hidden_global_offset_x
      - .offset:         136
        .size:           8
        .value_kind:     hidden_global_offset_y
      - .offset:         144
        .size:           8
        .value_kind:     hidden_global_offset_z
      - .offset:         152
        .size:           2
        .value_kind:     hidden_grid_dims
    .group_segment_fixed_size: 0
    .kernarg_segment_align: 8
    .kernarg_segment_size: 344
    .language:       OpenCL C
    .language_version:
      - 2
      - 0
    .max_flat_workgroup_size: 64
    .name:           _ZL36rocblas_hemvn_kernel_lower_block_sumILi64EidPKPddEviT1_lS3_lT2_lT0_lPT3_i
    .private_segment_fixed_size: 0
    .sgpr_count:     32
    .sgpr_spill_count: 0
    .symbol:         _ZL36rocblas_hemvn_kernel_lower_block_sumILi64EidPKPddEviT1_lS3_lT2_lT0_lPT3_i.kd
    .uniform_work_group_size: 1
    .uses_dynamic_stack: false
    .vgpr_count:     10
    .vgpr_spill_count: 0
    .wavefront_size: 32
    .workgroup_processor_mode: 1
  - .args:
      - .offset:         0
        .size:           4
        .value_kind:     by_value
      - .address_space:  global
        .offset:         8
        .size:           8
        .value_kind:     global_buffer
      - .offset:         16
        .size:           8
        .value_kind:     by_value
      - .address_space:  global
        .offset:         24
        .size:           8
        .value_kind:     global_buffer
      - .offset:         32
        .size:           8
        .value_kind:     by_value
      - .offset:         40
        .size:           8
        .value_kind:     by_value
      - .offset:         48
        .size:           8
        .value_kind:     by_value
      - .address_space:  global
        .offset:         56
        .size:           8
        .value_kind:     global_buffer
      - .offset:         64
        .size:           8
        .value_kind:     by_value
      - .offset:         72
        .size:           8
        .value_kind:     by_value
      - .offset:         80
        .size:           8
        .value_kind:     by_value
      - .address_space:  global
        .offset:         88
        .size:           8
        .value_kind:     global_buffer
      - .offset:         96
        .size:           8
        .value_kind:     by_value
      - .address_space:  global
        .offset:         104
        .size:           8
        .value_kind:     global_buffer
      - .offset:         112
        .size:           4
        .value_kind:     by_value
      - .offset:         120
        .size:           4
        .value_kind:     hidden_block_count_x
      - .offset:         124
        .size:           4
        .value_kind:     hidden_block_count_y
      - .offset:         128
        .size:           4
        .value_kind:     hidden_block_count_z
      - .offset:         132
        .size:           2
        .value_kind:     hidden_group_size_x
      - .offset:         134
        .size:           2
        .value_kind:     hidden_group_size_y
      - .offset:         136
        .size:           2
        .value_kind:     hidden_group_size_z
      - .offset:         138
        .size:           2
        .value_kind:     hidden_remainder_x
      - .offset:         140
        .size:           2
        .value_kind:     hidden_remainder_y
      - .offset:         142
        .size:           2
        .value_kind:     hidden_remainder_z
      - .offset:         160
        .size:           8
        .value_kind:     hidden_global_offset_x
      - .offset:         168
        .size:           8
        .value_kind:     hidden_global_offset_y
      - .offset:         176
        .size:           8
        .value_kind:     hidden_global_offset_z
      - .offset:         184
        .size:           2
        .value_kind:     hidden_grid_dims
    .group_segment_fixed_size: 9600
    .kernarg_segment_align: 8
    .kernarg_segment_size: 376
    .language:       OpenCL C
    .language_version:
      - 2
      - 0
    .max_flat_workgroup_size: 256
    .name:           _ZL26rocblas_hemvn_kernel_upperILb0ELi64ELi4ELi33ELi32ELi16ElPK19rocblas_complex_numIfEPKS3_PS1_EviT6_lT7_lT5_lS8_lS9_lS7_lT8_i
    .private_segment_fixed_size: 0
    .sgpr_count:     84
    .sgpr_spill_count: 0
    .symbol:         _ZL26rocblas_hemvn_kernel_upperILb0ELi64ELi4ELi33ELi32ELi16ElPK19rocblas_complex_numIfEPKS3_PS1_EviT6_lT7_lT5_lS8_lS9_lS7_lT8_i.kd
    .uniform_work_group_size: 1
    .uses_dynamic_stack: false
    .vgpr_count:     211
    .vgpr_spill_count: 0
    .wavefront_size: 32
    .workgroup_processor_mode: 1
  - .args:
      - .offset:         0
        .size:           4
        .value_kind:     by_value
      - .address_space:  global
        .offset:         8
        .size:           8
        .value_kind:     global_buffer
      - .offset:         16
        .size:           8
        .value_kind:     by_value
      - .address_space:  global
        .offset:         24
        .size:           8
        .value_kind:     global_buffer
      - .offset:         32
        .size:           8
        .value_kind:     by_value
      - .offset:         40
        .size:           4
        .value_kind:     by_value
      - .offset:         48
        .size:           8
        .value_kind:     by_value
      - .address_space:  global
        .offset:         56
        .size:           8
        .value_kind:     global_buffer
      - .offset:         64
        .size:           8
        .value_kind:     by_value
      - .offset:         72
        .size:           4
        .value_kind:     by_value
      - .offset:         80
        .size:           8
        .value_kind:     by_value
      - .address_space:  global
        .offset:         88
        .size:           8
        .value_kind:     global_buffer
      - .offset:         96
        .size:           8
        .value_kind:     by_value
      - .address_space:  global
        .offset:         104
        .size:           8
        .value_kind:     global_buffer
      - .offset:         112
        .size:           4
        .value_kind:     by_value
      - .offset:         120
        .size:           4
        .value_kind:     hidden_block_count_x
      - .offset:         124
        .size:           4
        .value_kind:     hidden_block_count_y
      - .offset:         128
        .size:           4
        .value_kind:     hidden_block_count_z
      - .offset:         132
        .size:           2
        .value_kind:     hidden_group_size_x
      - .offset:         134
        .size:           2
        .value_kind:     hidden_group_size_y
      - .offset:         136
        .size:           2
        .value_kind:     hidden_group_size_z
      - .offset:         138
        .size:           2
        .value_kind:     hidden_remainder_x
      - .offset:         140
        .size:           2
        .value_kind:     hidden_remainder_y
      - .offset:         142
        .size:           2
        .value_kind:     hidden_remainder_z
      - .offset:         160
        .size:           8
        .value_kind:     hidden_global_offset_x
      - .offset:         168
        .size:           8
        .value_kind:     hidden_global_offset_y
      - .offset:         176
        .size:           8
        .value_kind:     hidden_global_offset_z
      - .offset:         184
        .size:           2
        .value_kind:     hidden_grid_dims
    .group_segment_fixed_size: 9600
    .kernarg_segment_align: 8
    .kernarg_segment_size: 376
    .language:       OpenCL C
    .language_version:
      - 2
      - 0
    .max_flat_workgroup_size: 256
    .name:           _ZL26rocblas_hemvn_kernel_upperILb0ELi64ELi4ELi33ELi32ELi16EiPK19rocblas_complex_numIfEPKS3_PS1_EviT6_lT7_lT5_lS8_lS9_lS7_lT8_i
    .private_segment_fixed_size: 0
    .sgpr_count:     94
    .sgpr_spill_count: 0
    .symbol:         _ZL26rocblas_hemvn_kernel_upperILb0ELi64ELi4ELi33ELi32ELi16EiPK19rocblas_complex_numIfEPKS3_PS1_EviT6_lT7_lT5_lS8_lS9_lS7_lT8_i.kd
    .uniform_work_group_size: 1
    .uses_dynamic_stack: false
    .vgpr_count:     218
    .vgpr_spill_count: 0
    .wavefront_size: 32
    .workgroup_processor_mode: 1
  - .args:
      - .offset:         0
        .size:           4
        .value_kind:     by_value
      - .offset:         4
        .size:           8
        .value_kind:     by_value
      - .offset:         16
        .size:           8
        .value_kind:     by_value
      - .address_space:  global
        .offset:         24
        .size:           8
        .value_kind:     global_buffer
      - .offset:         32
        .size:           8
        .value_kind:     by_value
      - .offset:         40
        .size:           8
        .value_kind:     by_value
      - .offset:         48
        .size:           8
        .value_kind:     by_value
      - .address_space:  global
        .offset:         56
        .size:           8
        .value_kind:     global_buffer
      - .offset:         64
        .size:           8
        .value_kind:     by_value
      - .offset:         72
        .size:           8
        .value_kind:     by_value
      - .offset:         80
        .size:           8
        .value_kind:     by_value
      - .offset:         88
        .size:           8
        .value_kind:     by_value
      - .offset:         96
        .size:           8
        .value_kind:     by_value
      - .address_space:  global
        .offset:         104
        .size:           8
        .value_kind:     global_buffer
      - .offset:         112
        .size:           4
        .value_kind:     by_value
      - .offset:         120
        .size:           4
        .value_kind:     hidden_block_count_x
      - .offset:         124
        .size:           4
        .value_kind:     hidden_block_count_y
      - .offset:         128
        .size:           4
        .value_kind:     hidden_block_count_z
      - .offset:         132
        .size:           2
        .value_kind:     hidden_group_size_x
      - .offset:         134
        .size:           2
        .value_kind:     hidden_group_size_y
      - .offset:         136
        .size:           2
        .value_kind:     hidden_group_size_z
      - .offset:         138
        .size:           2
        .value_kind:     hidden_remainder_x
      - .offset:         140
        .size:           2
        .value_kind:     hidden_remainder_y
      - .offset:         142
        .size:           2
        .value_kind:     hidden_remainder_z
      - .offset:         160
        .size:           8
        .value_kind:     hidden_global_offset_x
      - .offset:         168
        .size:           8
        .value_kind:     hidden_global_offset_y
      - .offset:         176
        .size:           8
        .value_kind:     hidden_global_offset_z
      - .offset:         184
        .size:           2
        .value_kind:     hidden_grid_dims
    .group_segment_fixed_size: 9600
    .kernarg_segment_align: 8
    .kernarg_segment_size: 376
    .language:       OpenCL C
    .language_version:
      - 2
      - 0
    .max_flat_workgroup_size: 256
    .name:           _ZL26rocblas_hemvn_kernel_upperILb0ELi64ELi4ELi33ELi32ELi16El19rocblas_complex_numIfEPKPKS1_PS1_EviT6_lT7_lT5_lS8_lS9_lS7_lT8_i
    .private_segment_fixed_size: 0
    .sgpr_count:     78
    .sgpr_spill_count: 0
    .symbol:         _ZL26rocblas_hemvn_kernel_upperILb0ELi64ELi4ELi33ELi32ELi16El19rocblas_complex_numIfEPKPKS1_PS1_EviT6_lT7_lT5_lS8_lS9_lS7_lT8_i.kd
    .uniform_work_group_size: 1
    .uses_dynamic_stack: false
    .vgpr_count:     211
    .vgpr_spill_count: 0
    .wavefront_size: 32
    .workgroup_processor_mode: 1
  - .args:
      - .offset:         0
        .size:           4
        .value_kind:     by_value
      - .offset:         4
        .size:           8
        .value_kind:     by_value
      - .offset:         16
        .size:           8
        .value_kind:     by_value
      - .address_space:  global
        .offset:         24
        .size:           8
        .value_kind:     global_buffer
      - .offset:         32
        .size:           8
        .value_kind:     by_value
      - .offset:         40
        .size:           4
        .value_kind:     by_value
      - .offset:         48
        .size:           8
        .value_kind:     by_value
      - .address_space:  global
        .offset:         56
        .size:           8
        .value_kind:     global_buffer
      - .offset:         64
        .size:           8
        .value_kind:     by_value
      - .offset:         72
        .size:           4
        .value_kind:     by_value
      - .offset:         80
        .size:           8
        .value_kind:     by_value
      - .offset:         88
        .size:           8
        .value_kind:     by_value
      - .offset:         96
        .size:           8
        .value_kind:     by_value
      - .address_space:  global
        .offset:         104
        .size:           8
        .value_kind:     global_buffer
      - .offset:         112
        .size:           4
        .value_kind:     by_value
      - .offset:         120
        .size:           4
        .value_kind:     hidden_block_count_x
      - .offset:         124
        .size:           4
        .value_kind:     hidden_block_count_y
      - .offset:         128
        .size:           4
        .value_kind:     hidden_block_count_z
      - .offset:         132
        .size:           2
        .value_kind:     hidden_group_size_x
      - .offset:         134
        .size:           2
        .value_kind:     hidden_group_size_y
      - .offset:         136
        .size:           2
        .value_kind:     hidden_group_size_z
      - .offset:         138
        .size:           2
        .value_kind:     hidden_remainder_x
      - .offset:         140
        .size:           2
        .value_kind:     hidden_remainder_y
      - .offset:         142
        .size:           2
        .value_kind:     hidden_remainder_z
      - .offset:         160
        .size:           8
        .value_kind:     hidden_global_offset_x
      - .offset:         168
        .size:           8
        .value_kind:     hidden_global_offset_y
      - .offset:         176
        .size:           8
        .value_kind:     hidden_global_offset_z
      - .offset:         184
        .size:           2
        .value_kind:     hidden_grid_dims
    .group_segment_fixed_size: 9600
    .kernarg_segment_align: 8
    .kernarg_segment_size: 376
    .language:       OpenCL C
    .language_version:
      - 2
      - 0
    .max_flat_workgroup_size: 256
    .name:           _ZL26rocblas_hemvn_kernel_upperILb0ELi64ELi4ELi33ELi32ELi16Ei19rocblas_complex_numIfEPKPKS1_PS1_EviT6_lT7_lT5_lS8_lS9_lS7_lT8_i
    .private_segment_fixed_size: 0
    .sgpr_count:     89
    .sgpr_spill_count: 0
    .symbol:         _ZL26rocblas_hemvn_kernel_upperILb0ELi64ELi4ELi33ELi32ELi16Ei19rocblas_complex_numIfEPKPKS1_PS1_EviT6_lT7_lT5_lS8_lS9_lS7_lT8_i.kd
    .uniform_work_group_size: 1
    .uses_dynamic_stack: false
    .vgpr_count:     217
    .vgpr_spill_count: 0
    .wavefront_size: 32
    .workgroup_processor_mode: 1
  - .args:
      - .offset:         0
        .size:           4
        .value_kind:     by_value
      - .address_space:  global
        .offset:         8
        .size:           8
        .value_kind:     global_buffer
      - .offset:         16
        .size:           8
        .value_kind:     by_value
      - .address_space:  global
        .offset:         24
        .size:           8
        .value_kind:     global_buffer
      - .offset:         32
        .size:           8
        .value_kind:     by_value
      - .offset:         40
        .size:           8
        .value_kind:     by_value
      - .offset:         48
        .size:           8
        .value_kind:     by_value
      - .address_space:  global
        .offset:         56
        .size:           8
        .value_kind:     global_buffer
      - .offset:         64
        .size:           8
        .value_kind:     by_value
      - .offset:         72
        .size:           8
        .value_kind:     by_value
      - .offset:         80
        .size:           8
        .value_kind:     by_value
      - .address_space:  global
        .offset:         88
        .size:           8
        .value_kind:     global_buffer
      - .offset:         96
        .size:           8
        .value_kind:     by_value
      - .address_space:  global
        .offset:         104
        .size:           8
        .value_kind:     global_buffer
      - .offset:         112
        .size:           4
        .value_kind:     by_value
      - .offset:         120
        .size:           4
        .value_kind:     hidden_block_count_x
      - .offset:         124
        .size:           4
        .value_kind:     hidden_block_count_y
      - .offset:         128
        .size:           4
        .value_kind:     hidden_block_count_z
      - .offset:         132
        .size:           2
        .value_kind:     hidden_group_size_x
      - .offset:         134
        .size:           2
        .value_kind:     hidden_group_size_y
      - .offset:         136
        .size:           2
        .value_kind:     hidden_group_size_z
      - .offset:         138
        .size:           2
        .value_kind:     hidden_remainder_x
      - .offset:         140
        .size:           2
        .value_kind:     hidden_remainder_y
      - .offset:         142
        .size:           2
        .value_kind:     hidden_remainder_z
      - .offset:         160
        .size:           8
        .value_kind:     hidden_global_offset_x
      - .offset:         168
        .size:           8
        .value_kind:     hidden_global_offset_y
      - .offset:         176
        .size:           8
        .value_kind:     hidden_global_offset_z
      - .offset:         184
        .size:           2
        .value_kind:     hidden_grid_dims
    .group_segment_fixed_size: 9600
    .kernarg_segment_align: 8
    .kernarg_segment_size: 376
    .language:       OpenCL C
    .language_version:
      - 2
      - 0
    .max_flat_workgroup_size: 256
    .name:           _ZL26rocblas_hemvn_kernel_lowerILb0ELi64ELi4ELi33ELi32ELi16ElPK19rocblas_complex_numIfEPKS3_PS1_EviT6_lT7_lT5_lS8_lS9_lS7_lT8_i
    .private_segment_fixed_size: 0
    .sgpr_count:     107
    .sgpr_spill_count: 0
    .symbol:         _ZL26rocblas_hemvn_kernel_lowerILb0ELi64ELi4ELi33ELi32ELi16ElPK19rocblas_complex_numIfEPKS3_PS1_EviT6_lT7_lT5_lS8_lS9_lS7_lT8_i.kd
    .uniform_work_group_size: 1
    .uses_dynamic_stack: false
    .vgpr_count:     138
    .vgpr_spill_count: 0
    .wavefront_size: 32
    .workgroup_processor_mode: 1
  - .args:
      - .offset:         0
        .size:           4
        .value_kind:     by_value
      - .address_space:  global
        .offset:         8
        .size:           8
        .value_kind:     global_buffer
      - .offset:         16
        .size:           8
        .value_kind:     by_value
      - .address_space:  global
        .offset:         24
        .size:           8
        .value_kind:     global_buffer
      - .offset:         32
        .size:           8
        .value_kind:     by_value
      - .offset:         40
        .size:           4
        .value_kind:     by_value
      - .offset:         48
        .size:           8
        .value_kind:     by_value
      - .address_space:  global
        .offset:         56
        .size:           8
        .value_kind:     global_buffer
      - .offset:         64
        .size:           8
        .value_kind:     by_value
      - .offset:         72
        .size:           4
        .value_kind:     by_value
      - .offset:         80
        .size:           8
        .value_kind:     by_value
      - .address_space:  global
        .offset:         88
        .size:           8
        .value_kind:     global_buffer
      - .offset:         96
        .size:           8
        .value_kind:     by_value
      - .address_space:  global
        .offset:         104
        .size:           8
        .value_kind:     global_buffer
      - .offset:         112
        .size:           4
        .value_kind:     by_value
      - .offset:         120
        .size:           4
        .value_kind:     hidden_block_count_x
      - .offset:         124
        .size:           4
        .value_kind:     hidden_block_count_y
      - .offset:         128
        .size:           4
        .value_kind:     hidden_block_count_z
      - .offset:         132
        .size:           2
        .value_kind:     hidden_group_size_x
      - .offset:         134
        .size:           2
        .value_kind:     hidden_group_size_y
      - .offset:         136
        .size:           2
        .value_kind:     hidden_group_size_z
      - .offset:         138
        .size:           2
        .value_kind:     hidden_remainder_x
      - .offset:         140
        .size:           2
        .value_kind:     hidden_remainder_y
      - .offset:         142
        .size:           2
        .value_kind:     hidden_remainder_z
      - .offset:         160
        .size:           8
        .value_kind:     hidden_global_offset_x
      - .offset:         168
        .size:           8
        .value_kind:     hidden_global_offset_y
      - .offset:         176
        .size:           8
        .value_kind:     hidden_global_offset_z
      - .offset:         184
        .size:           2
        .value_kind:     hidden_grid_dims
    .group_segment_fixed_size: 9600
    .kernarg_segment_align: 8
    .kernarg_segment_size: 376
    .language:       OpenCL C
    .language_version:
      - 2
      - 0
    .max_flat_workgroup_size: 256
    .name:           _ZL26rocblas_hemvn_kernel_lowerILb0ELi64ELi4ELi33ELi32ELi16EiPK19rocblas_complex_numIfEPKS3_PS1_EviT6_lT7_lT5_lS8_lS9_lS7_lT8_i
    .private_segment_fixed_size: 0
    .sgpr_count:     107
    .sgpr_spill_count: 5
    .symbol:         _ZL26rocblas_hemvn_kernel_lowerILb0ELi64ELi4ELi33ELi32ELi16EiPK19rocblas_complex_numIfEPKS3_PS1_EviT6_lT7_lT5_lS8_lS9_lS7_lT8_i.kd
    .uniform_work_group_size: 1
    .uses_dynamic_stack: false
    .vgpr_count:     123
    .vgpr_spill_count: 0
    .wavefront_size: 32
    .workgroup_processor_mode: 1
  - .args:
      - .offset:         0
        .size:           4
        .value_kind:     by_value
      - .offset:         4
        .size:           8
        .value_kind:     by_value
      - .offset:         16
        .size:           8
        .value_kind:     by_value
      - .address_space:  global
        .offset:         24
        .size:           8
        .value_kind:     global_buffer
      - .offset:         32
        .size:           8
        .value_kind:     by_value
      - .offset:         40
        .size:           8
        .value_kind:     by_value
      - .offset:         48
        .size:           8
        .value_kind:     by_value
      - .address_space:  global
        .offset:         56
        .size:           8
        .value_kind:     global_buffer
      - .offset:         64
        .size:           8
        .value_kind:     by_value
      - .offset:         72
        .size:           8
        .value_kind:     by_value
      - .offset:         80
        .size:           8
        .value_kind:     by_value
      - .offset:         88
        .size:           8
        .value_kind:     by_value
      - .offset:         96
        .size:           8
        .value_kind:     by_value
      - .address_space:  global
        .offset:         104
        .size:           8
        .value_kind:     global_buffer
      - .offset:         112
        .size:           4
        .value_kind:     by_value
      - .offset:         120
        .size:           4
        .value_kind:     hidden_block_count_x
      - .offset:         124
        .size:           4
        .value_kind:     hidden_block_count_y
      - .offset:         128
        .size:           4
        .value_kind:     hidden_block_count_z
      - .offset:         132
        .size:           2
        .value_kind:     hidden_group_size_x
      - .offset:         134
        .size:           2
        .value_kind:     hidden_group_size_y
      - .offset:         136
        .size:           2
        .value_kind:     hidden_group_size_z
      - .offset:         138
        .size:           2
        .value_kind:     hidden_remainder_x
      - .offset:         140
        .size:           2
        .value_kind:     hidden_remainder_y
      - .offset:         142
        .size:           2
        .value_kind:     hidden_remainder_z
      - .offset:         160
        .size:           8
        .value_kind:     hidden_global_offset_x
      - .offset:         168
        .size:           8
        .value_kind:     hidden_global_offset_y
      - .offset:         176
        .size:           8
        .value_kind:     hidden_global_offset_z
      - .offset:         184
        .size:           2
        .value_kind:     hidden_grid_dims
    .group_segment_fixed_size: 9600
    .kernarg_segment_align: 8
    .kernarg_segment_size: 376
    .language:       OpenCL C
    .language_version:
      - 2
      - 0
    .max_flat_workgroup_size: 256
    .name:           _ZL26rocblas_hemvn_kernel_lowerILb0ELi64ELi4ELi33ELi32ELi16El19rocblas_complex_numIfEPKPKS1_PS1_EviT6_lT7_lT5_lS8_lS9_lS7_lT8_i
    .private_segment_fixed_size: 0
    .sgpr_count:     104
    .sgpr_spill_count: 0
    .symbol:         _ZL26rocblas_hemvn_kernel_lowerILb0ELi64ELi4ELi33ELi32ELi16El19rocblas_complex_numIfEPKPKS1_PS1_EviT6_lT7_lT5_lS8_lS9_lS7_lT8_i.kd
    .uniform_work_group_size: 1
    .uses_dynamic_stack: false
    .vgpr_count:     138
    .vgpr_spill_count: 0
    .wavefront_size: 32
    .workgroup_processor_mode: 1
  - .args:
      - .offset:         0
        .size:           4
        .value_kind:     by_value
      - .offset:         4
        .size:           8
        .value_kind:     by_value
      - .offset:         16
        .size:           8
        .value_kind:     by_value
      - .address_space:  global
        .offset:         24
        .size:           8
        .value_kind:     global_buffer
      - .offset:         32
        .size:           8
        .value_kind:     by_value
      - .offset:         40
        .size:           4
        .value_kind:     by_value
      - .offset:         48
        .size:           8
        .value_kind:     by_value
      - .address_space:  global
        .offset:         56
        .size:           8
        .value_kind:     global_buffer
      - .offset:         64
        .size:           8
        .value_kind:     by_value
      - .offset:         72
        .size:           4
        .value_kind:     by_value
      - .offset:         80
        .size:           8
        .value_kind:     by_value
      - .offset:         88
        .size:           8
        .value_kind:     by_value
      - .offset:         96
        .size:           8
        .value_kind:     by_value
      - .address_space:  global
        .offset:         104
        .size:           8
        .value_kind:     global_buffer
      - .offset:         112
        .size:           4
        .value_kind:     by_value
      - .offset:         120
        .size:           4
        .value_kind:     hidden_block_count_x
      - .offset:         124
        .size:           4
        .value_kind:     hidden_block_count_y
      - .offset:         128
        .size:           4
        .value_kind:     hidden_block_count_z
      - .offset:         132
        .size:           2
        .value_kind:     hidden_group_size_x
      - .offset:         134
        .size:           2
        .value_kind:     hidden_group_size_y
      - .offset:         136
        .size:           2
        .value_kind:     hidden_group_size_z
      - .offset:         138
        .size:           2
        .value_kind:     hidden_remainder_x
      - .offset:         140
        .size:           2
        .value_kind:     hidden_remainder_y
      - .offset:         142
        .size:           2
        .value_kind:     hidden_remainder_z
      - .offset:         160
        .size:           8
        .value_kind:     hidden_global_offset_x
      - .offset:         168
        .size:           8
        .value_kind:     hidden_global_offset_y
      - .offset:         176
        .size:           8
        .value_kind:     hidden_global_offset_z
      - .offset:         184
        .size:           2
        .value_kind:     hidden_grid_dims
    .group_segment_fixed_size: 9600
    .kernarg_segment_align: 8
    .kernarg_segment_size: 376
    .language:       OpenCL C
    .language_version:
      - 2
      - 0
    .max_flat_workgroup_size: 256
    .name:           _ZL26rocblas_hemvn_kernel_lowerILb0ELi64ELi4ELi33ELi32ELi16Ei19rocblas_complex_numIfEPKPKS1_PS1_EviT6_lT7_lT5_lS8_lS9_lS7_lT8_i
    .private_segment_fixed_size: 0
    .sgpr_count:     105
    .sgpr_spill_count: 0
    .symbol:         _ZL26rocblas_hemvn_kernel_lowerILb0ELi64ELi4ELi33ELi32ELi16Ei19rocblas_complex_numIfEPKPKS1_PS1_EviT6_lT7_lT5_lS8_lS9_lS7_lT8_i.kd
    .uniform_work_group_size: 1
    .uses_dynamic_stack: false
    .vgpr_count:     140
    .vgpr_spill_count: 0
    .wavefront_size: 32
    .workgroup_processor_mode: 1
  - .args:
      - .offset:         0
        .size:           4
        .value_kind:     by_value
      - .address_space:  global
        .offset:         8
        .size:           8
        .value_kind:     global_buffer
      - .offset:         16
        .size:           8
        .value_kind:     by_value
      - .address_space:  global
        .offset:         24
        .size:           8
        .value_kind:     global_buffer
      - .offset:         32
        .size:           8
        .value_kind:     by_value
      - .offset:         40
        .size:           8
        .value_kind:     by_value
      - .offset:         48
        .size:           8
        .value_kind:     by_value
      - .address_space:  global
        .offset:         56
        .size:           8
        .value_kind:     global_buffer
      - .offset:         64
        .size:           8
        .value_kind:     by_value
      - .offset:         72
        .size:           8
        .value_kind:     by_value
      - .offset:         80
        .size:           8
        .value_kind:     by_value
      - .address_space:  global
        .offset:         88
        .size:           8
        .value_kind:     global_buffer
      - .offset:         96
        .size:           8
        .value_kind:     by_value
      - .address_space:  global
        .offset:         104
        .size:           8
        .value_kind:     global_buffer
      - .offset:         112
        .size:           4
        .value_kind:     by_value
      - .offset:         120
        .size:           4
        .value_kind:     hidden_block_count_x
      - .offset:         124
        .size:           4
        .value_kind:     hidden_block_count_y
      - .offset:         128
        .size:           4
        .value_kind:     hidden_block_count_z
      - .offset:         132
        .size:           2
        .value_kind:     hidden_group_size_x
      - .offset:         134
        .size:           2
        .value_kind:     hidden_group_size_y
      - .offset:         136
        .size:           2
        .value_kind:     hidden_group_size_z
      - .offset:         138
        .size:           2
        .value_kind:     hidden_remainder_x
      - .offset:         140
        .size:           2
        .value_kind:     hidden_remainder_y
      - .offset:         142
        .size:           2
        .value_kind:     hidden_remainder_z
      - .offset:         160
        .size:           8
        .value_kind:     hidden_global_offset_x
      - .offset:         168
        .size:           8
        .value_kind:     hidden_global_offset_y
      - .offset:         176
        .size:           8
        .value_kind:     hidden_global_offset_z
      - .offset:         184
        .size:           2
        .value_kind:     hidden_grid_dims
    .group_segment_fixed_size: 19200
    .kernarg_segment_align: 8
    .kernarg_segment_size: 376
    .language:       OpenCL C
    .language_version:
      - 2
      - 0
    .max_flat_workgroup_size: 256
    .name:           _ZL26rocblas_hemvn_kernel_upperILb0ELi64ELi4ELi33ELi32ELi16ElPK19rocblas_complex_numIdEPKS3_PS1_EviT6_lT7_lT5_lS8_lS9_lS7_lT8_i
    .private_segment_fixed_size: 148
    .sgpr_count:     84
    .sgpr_spill_count: 0
    .symbol:         _ZL26rocblas_hemvn_kernel_upperILb0ELi64ELi4ELi33ELi32ELi16ElPK19rocblas_complex_numIdEPKS3_PS1_EviT6_lT7_lT5_lS8_lS9_lS7_lT8_i.kd
    .uniform_work_group_size: 1
    .uses_dynamic_stack: false
    .vgpr_count:     256
    .vgpr_spill_count: 36
    .wavefront_size: 32
    .workgroup_processor_mode: 1
  - .args:
      - .offset:         0
        .size:           4
        .value_kind:     by_value
      - .address_space:  global
        .offset:         8
        .size:           8
        .value_kind:     global_buffer
      - .offset:         16
        .size:           8
        .value_kind:     by_value
      - .address_space:  global
        .offset:         24
        .size:           8
        .value_kind:     global_buffer
      - .offset:         32
        .size:           8
        .value_kind:     by_value
      - .offset:         40
        .size:           4
        .value_kind:     by_value
      - .offset:         48
        .size:           8
        .value_kind:     by_value
      - .address_space:  global
        .offset:         56
        .size:           8
        .value_kind:     global_buffer
      - .offset:         64
        .size:           8
        .value_kind:     by_value
      - .offset:         72
        .size:           4
        .value_kind:     by_value
      - .offset:         80
        .size:           8
        .value_kind:     by_value
      - .address_space:  global
        .offset:         88
        .size:           8
        .value_kind:     global_buffer
      - .offset:         96
        .size:           8
        .value_kind:     by_value
      - .address_space:  global
        .offset:         104
        .size:           8
        .value_kind:     global_buffer
      - .offset:         112
        .size:           4
        .value_kind:     by_value
      - .offset:         120
        .size:           4
        .value_kind:     hidden_block_count_x
      - .offset:         124
        .size:           4
        .value_kind:     hidden_block_count_y
      - .offset:         128
        .size:           4
        .value_kind:     hidden_block_count_z
      - .offset:         132
        .size:           2
        .value_kind:     hidden_group_size_x
      - .offset:         134
        .size:           2
        .value_kind:     hidden_group_size_y
      - .offset:         136
        .size:           2
        .value_kind:     hidden_group_size_z
      - .offset:         138
        .size:           2
        .value_kind:     hidden_remainder_x
      - .offset:         140
        .size:           2
        .value_kind:     hidden_remainder_y
      - .offset:         142
        .size:           2
        .value_kind:     hidden_remainder_z
      - .offset:         160
        .size:           8
        .value_kind:     hidden_global_offset_x
      - .offset:         168
        .size:           8
        .value_kind:     hidden_global_offset_y
      - .offset:         176
        .size:           8
        .value_kind:     hidden_global_offset_z
      - .offset:         184
        .size:           2
        .value_kind:     hidden_grid_dims
    .group_segment_fixed_size: 19200
    .kernarg_segment_align: 8
    .kernarg_segment_size: 376
    .language:       OpenCL C
    .language_version:
      - 2
      - 0
    .max_flat_workgroup_size: 256
    .name:           _ZL26rocblas_hemvn_kernel_upperILb0ELi64ELi4ELi33ELi32ELi16EiPK19rocblas_complex_numIdEPKS3_PS1_EviT6_lT7_lT5_lS8_lS9_lS7_lT8_i
    .private_segment_fixed_size: 208
    .sgpr_count:     94
    .sgpr_spill_count: 0
    .symbol:         _ZL26rocblas_hemvn_kernel_upperILb0ELi64ELi4ELi33ELi32ELi16EiPK19rocblas_complex_numIdEPKS3_PS1_EviT6_lT7_lT5_lS8_lS9_lS7_lT8_i.kd
    .uniform_work_group_size: 1
    .uses_dynamic_stack: false
    .vgpr_count:     256
    .vgpr_spill_count: 51
    .wavefront_size: 32
    .workgroup_processor_mode: 1
  - .args:
      - .offset:         0
        .size:           4
        .value_kind:     by_value
      - .offset:         8
        .size:           16
        .value_kind:     by_value
      - .offset:         24
        .size:           8
        .value_kind:     by_value
      - .address_space:  global
        .offset:         32
        .size:           8
        .value_kind:     global_buffer
      - .offset:         40
        .size:           8
        .value_kind:     by_value
      - .offset:         48
        .size:           8
        .value_kind:     by_value
      - .offset:         56
        .size:           8
        .value_kind:     by_value
      - .address_space:  global
        .offset:         64
        .size:           8
        .value_kind:     global_buffer
      - .offset:         72
        .size:           8
        .value_kind:     by_value
      - .offset:         80
        .size:           8
        .value_kind:     by_value
      - .offset:         88
        .size:           8
        .value_kind:     by_value
      - .offset:         96
        .size:           16
        .value_kind:     by_value
      - .offset:         112
        .size:           8
        .value_kind:     by_value
      - .address_space:  global
        .offset:         120
        .size:           8
        .value_kind:     global_buffer
      - .offset:         128
        .size:           4
        .value_kind:     by_value
      - .offset:         136
        .size:           4
        .value_kind:     hidden_block_count_x
      - .offset:         140
        .size:           4
        .value_kind:     hidden_block_count_y
      - .offset:         144
        .size:           4
        .value_kind:     hidden_block_count_z
      - .offset:         148
        .size:           2
        .value_kind:     hidden_group_size_x
      - .offset:         150
        .size:           2
        .value_kind:     hidden_group_size_y
      - .offset:         152
        .size:           2
        .value_kind:     hidden_group_size_z
      - .offset:         154
        .size:           2
        .value_kind:     hidden_remainder_x
      - .offset:         156
        .size:           2
        .value_kind:     hidden_remainder_y
      - .offset:         158
        .size:           2
        .value_kind:     hidden_remainder_z
      - .offset:         176
        .size:           8
        .value_kind:     hidden_global_offset_x
      - .offset:         184
        .size:           8
        .value_kind:     hidden_global_offset_y
      - .offset:         192
        .size:           8
        .value_kind:     hidden_global_offset_z
      - .offset:         200
        .size:           2
        .value_kind:     hidden_grid_dims
    .group_segment_fixed_size: 19200
    .kernarg_segment_align: 8
    .kernarg_segment_size: 392
    .language:       OpenCL C
    .language_version:
      - 2
      - 0
    .max_flat_workgroup_size: 256
    .name:           _ZL26rocblas_hemvn_kernel_upperILb0ELi64ELi4ELi33ELi32ELi16El19rocblas_complex_numIdEPKPKS1_PS1_EviT6_lT7_lT5_lS8_lS9_lS7_lT8_i
    .private_segment_fixed_size: 148
    .sgpr_count:     78
    .sgpr_spill_count: 0
    .symbol:         _ZL26rocblas_hemvn_kernel_upperILb0ELi64ELi4ELi33ELi32ELi16El19rocblas_complex_numIdEPKPKS1_PS1_EviT6_lT7_lT5_lS8_lS9_lS7_lT8_i.kd
    .uniform_work_group_size: 1
    .uses_dynamic_stack: false
    .vgpr_count:     256
    .vgpr_spill_count: 36
    .wavefront_size: 32
    .workgroup_processor_mode: 1
  - .args:
      - .offset:         0
        .size:           4
        .value_kind:     by_value
      - .offset:         8
        .size:           16
        .value_kind:     by_value
      - .offset:         24
        .size:           8
        .value_kind:     by_value
      - .address_space:  global
        .offset:         32
        .size:           8
        .value_kind:     global_buffer
      - .offset:         40
        .size:           8
        .value_kind:     by_value
      - .offset:         48
        .size:           4
        .value_kind:     by_value
      - .offset:         56
        .size:           8
        .value_kind:     by_value
      - .address_space:  global
        .offset:         64
        .size:           8
        .value_kind:     global_buffer
      - .offset:         72
        .size:           8
        .value_kind:     by_value
      - .offset:         80
        .size:           4
        .value_kind:     by_value
      - .offset:         88
        .size:           8
        .value_kind:     by_value
      - .offset:         96
        .size:           16
        .value_kind:     by_value
      - .offset:         112
        .size:           8
        .value_kind:     by_value
      - .address_space:  global
        .offset:         120
        .size:           8
        .value_kind:     global_buffer
      - .offset:         128
        .size:           4
        .value_kind:     by_value
      - .offset:         136
        .size:           4
        .value_kind:     hidden_block_count_x
      - .offset:         140
        .size:           4
        .value_kind:     hidden_block_count_y
      - .offset:         144
        .size:           4
        .value_kind:     hidden_block_count_z
      - .offset:         148
        .size:           2
        .value_kind:     hidden_group_size_x
      - .offset:         150
        .size:           2
        .value_kind:     hidden_group_size_y
      - .offset:         152
        .size:           2
        .value_kind:     hidden_group_size_z
      - .offset:         154
        .size:           2
        .value_kind:     hidden_remainder_x
      - .offset:         156
        .size:           2
        .value_kind:     hidden_remainder_y
      - .offset:         158
        .size:           2
        .value_kind:     hidden_remainder_z
      - .offset:         176
        .size:           8
        .value_kind:     hidden_global_offset_x
      - .offset:         184
        .size:           8
        .value_kind:     hidden_global_offset_y
      - .offset:         192
        .size:           8
        .value_kind:     hidden_global_offset_z
      - .offset:         200
        .size:           2
        .value_kind:     hidden_grid_dims
    .group_segment_fixed_size: 19200
    .kernarg_segment_align: 8
    .kernarg_segment_size: 392
    .language:       OpenCL C
    .language_version:
      - 2
      - 0
    .max_flat_workgroup_size: 256
    .name:           _ZL26rocblas_hemvn_kernel_upperILb0ELi64ELi4ELi33ELi32ELi16Ei19rocblas_complex_numIdEPKPKS1_PS1_EviT6_lT7_lT5_lS8_lS9_lS7_lT8_i
    .private_segment_fixed_size: 208
    .sgpr_count:     88
    .sgpr_spill_count: 0
    .symbol:         _ZL26rocblas_hemvn_kernel_upperILb0ELi64ELi4ELi33ELi32ELi16Ei19rocblas_complex_numIdEPKPKS1_PS1_EviT6_lT7_lT5_lS8_lS9_lS7_lT8_i.kd
    .uniform_work_group_size: 1
    .uses_dynamic_stack: false
    .vgpr_count:     256
    .vgpr_spill_count: 51
    .wavefront_size: 32
    .workgroup_processor_mode: 1
  - .args:
      - .offset:         0
        .size:           4
        .value_kind:     by_value
      - .address_space:  global
        .offset:         8
        .size:           8
        .value_kind:     global_buffer
      - .offset:         16
        .size:           8
        .value_kind:     by_value
      - .address_space:  global
        .offset:         24
        .size:           8
        .value_kind:     global_buffer
      - .offset:         32
        .size:           8
        .value_kind:     by_value
      - .offset:         40
        .size:           8
        .value_kind:     by_value
      - .offset:         48
        .size:           8
        .value_kind:     by_value
      - .address_space:  global
        .offset:         56
        .size:           8
        .value_kind:     global_buffer
      - .offset:         64
        .size:           8
        .value_kind:     by_value
      - .offset:         72
        .size:           8
        .value_kind:     by_value
      - .offset:         80
        .size:           8
        .value_kind:     by_value
      - .address_space:  global
        .offset:         88
        .size:           8
        .value_kind:     global_buffer
      - .offset:         96
        .size:           8
        .value_kind:     by_value
      - .address_space:  global
        .offset:         104
        .size:           8
        .value_kind:     global_buffer
      - .offset:         112
        .size:           4
        .value_kind:     by_value
      - .offset:         120
        .size:           4
        .value_kind:     hidden_block_count_x
      - .offset:         124
        .size:           4
        .value_kind:     hidden_block_count_y
      - .offset:         128
        .size:           4
        .value_kind:     hidden_block_count_z
      - .offset:         132
        .size:           2
        .value_kind:     hidden_group_size_x
      - .offset:         134
        .size:           2
        .value_kind:     hidden_group_size_y
      - .offset:         136
        .size:           2
        .value_kind:     hidden_group_size_z
      - .offset:         138
        .size:           2
        .value_kind:     hidden_remainder_x
      - .offset:         140
        .size:           2
        .value_kind:     hidden_remainder_y
      - .offset:         142
        .size:           2
        .value_kind:     hidden_remainder_z
      - .offset:         160
        .size:           8
        .value_kind:     hidden_global_offset_x
      - .offset:         168
        .size:           8
        .value_kind:     hidden_global_offset_y
      - .offset:         176
        .size:           8
        .value_kind:     hidden_global_offset_z
      - .offset:         184
        .size:           2
        .value_kind:     hidden_grid_dims
    .group_segment_fixed_size: 19200
    .kernarg_segment_align: 8
    .kernarg_segment_size: 376
    .language:       OpenCL C
    .language_version:
      - 2
      - 0
    .max_flat_workgroup_size: 256
    .name:           _ZL26rocblas_hemvn_kernel_lowerILb0ELi64ELi4ELi33ELi32ELi16ElPK19rocblas_complex_numIdEPKS3_PS1_EviT6_lT7_lT5_lS8_lS9_lS7_lT8_i
    .private_segment_fixed_size: 0
    .sgpr_count:     84
    .sgpr_spill_count: 0
    .symbol:         _ZL26rocblas_hemvn_kernel_lowerILb0ELi64ELi4ELi33ELi32ELi16ElPK19rocblas_complex_numIdEPKS3_PS1_EviT6_lT7_lT5_lS8_lS9_lS7_lT8_i.kd
    .uniform_work_group_size: 1
    .uses_dynamic_stack: false
    .vgpr_count:     217
    .vgpr_spill_count: 0
    .wavefront_size: 32
    .workgroup_processor_mode: 1
  - .args:
      - .offset:         0
        .size:           4
        .value_kind:     by_value
      - .address_space:  global
        .offset:         8
        .size:           8
        .value_kind:     global_buffer
      - .offset:         16
        .size:           8
        .value_kind:     by_value
      - .address_space:  global
        .offset:         24
        .size:           8
        .value_kind:     global_buffer
      - .offset:         32
        .size:           8
        .value_kind:     by_value
      - .offset:         40
        .size:           4
        .value_kind:     by_value
      - .offset:         48
        .size:           8
        .value_kind:     by_value
      - .address_space:  global
        .offset:         56
        .size:           8
        .value_kind:     global_buffer
      - .offset:         64
        .size:           8
        .value_kind:     by_value
      - .offset:         72
        .size:           4
        .value_kind:     by_value
      - .offset:         80
        .size:           8
        .value_kind:     by_value
      - .address_space:  global
        .offset:         88
        .size:           8
        .value_kind:     global_buffer
      - .offset:         96
        .size:           8
        .value_kind:     by_value
      - .address_space:  global
        .offset:         104
        .size:           8
        .value_kind:     global_buffer
      - .offset:         112
        .size:           4
        .value_kind:     by_value
      - .offset:         120
        .size:           4
        .value_kind:     hidden_block_count_x
      - .offset:         124
        .size:           4
        .value_kind:     hidden_block_count_y
      - .offset:         128
        .size:           4
        .value_kind:     hidden_block_count_z
      - .offset:         132
        .size:           2
        .value_kind:     hidden_group_size_x
      - .offset:         134
        .size:           2
        .value_kind:     hidden_group_size_y
      - .offset:         136
        .size:           2
        .value_kind:     hidden_group_size_z
      - .offset:         138
        .size:           2
        .value_kind:     hidden_remainder_x
      - .offset:         140
        .size:           2
        .value_kind:     hidden_remainder_y
      - .offset:         142
        .size:           2
        .value_kind:     hidden_remainder_z
      - .offset:         160
        .size:           8
        .value_kind:     hidden_global_offset_x
      - .offset:         168
        .size:           8
        .value_kind:     hidden_global_offset_y
      - .offset:         176
        .size:           8
        .value_kind:     hidden_global_offset_z
      - .offset:         184
        .size:           2
        .value_kind:     hidden_grid_dims
    .group_segment_fixed_size: 19200
    .kernarg_segment_align: 8
    .kernarg_segment_size: 376
    .language:       OpenCL C
    .language_version:
      - 2
      - 0
    .max_flat_workgroup_size: 256
    .name:           _ZL26rocblas_hemvn_kernel_lowerILb0ELi64ELi4ELi33ELi32ELi16EiPK19rocblas_complex_numIdEPKS3_PS1_EviT6_lT7_lT5_lS8_lS9_lS7_lT8_i
    .private_segment_fixed_size: 0
    .sgpr_count:     86
    .sgpr_spill_count: 0
    .symbol:         _ZL26rocblas_hemvn_kernel_lowerILb0ELi64ELi4ELi33ELi32ELi16EiPK19rocblas_complex_numIdEPKS3_PS1_EviT6_lT7_lT5_lS8_lS9_lS7_lT8_i.kd
    .uniform_work_group_size: 1
    .uses_dynamic_stack: false
    .vgpr_count:     215
    .vgpr_spill_count: 0
    .wavefront_size: 32
    .workgroup_processor_mode: 1
  - .args:
      - .offset:         0
        .size:           4
        .value_kind:     by_value
      - .offset:         8
        .size:           16
        .value_kind:     by_value
      - .offset:         24
        .size:           8
        .value_kind:     by_value
      - .address_space:  global
        .offset:         32
        .size:           8
        .value_kind:     global_buffer
      - .offset:         40
        .size:           8
        .value_kind:     by_value
      - .offset:         48
        .size:           8
        .value_kind:     by_value
      - .offset:         56
        .size:           8
        .value_kind:     by_value
      - .address_space:  global
        .offset:         64
        .size:           8
        .value_kind:     global_buffer
      - .offset:         72
        .size:           8
        .value_kind:     by_value
      - .offset:         80
        .size:           8
        .value_kind:     by_value
      - .offset:         88
        .size:           8
        .value_kind:     by_value
      - .offset:         96
        .size:           16
        .value_kind:     by_value
      - .offset:         112
        .size:           8
        .value_kind:     by_value
      - .address_space:  global
        .offset:         120
        .size:           8
        .value_kind:     global_buffer
      - .offset:         128
        .size:           4
        .value_kind:     by_value
      - .offset:         136
        .size:           4
        .value_kind:     hidden_block_count_x
      - .offset:         140
        .size:           4
        .value_kind:     hidden_block_count_y
      - .offset:         144
        .size:           4
        .value_kind:     hidden_block_count_z
      - .offset:         148
        .size:           2
        .value_kind:     hidden_group_size_x
      - .offset:         150
        .size:           2
        .value_kind:     hidden_group_size_y
      - .offset:         152
        .size:           2
        .value_kind:     hidden_group_size_z
      - .offset:         154
        .size:           2
        .value_kind:     hidden_remainder_x
      - .offset:         156
        .size:           2
        .value_kind:     hidden_remainder_y
      - .offset:         158
        .size:           2
        .value_kind:     hidden_remainder_z
      - .offset:         176
        .size:           8
        .value_kind:     hidden_global_offset_x
      - .offset:         184
        .size:           8
        .value_kind:     hidden_global_offset_y
      - .offset:         192
        .size:           8
        .value_kind:     hidden_global_offset_z
      - .offset:         200
        .size:           2
        .value_kind:     hidden_grid_dims
    .group_segment_fixed_size: 19200
    .kernarg_segment_align: 8
    .kernarg_segment_size: 392
    .language:       OpenCL C
    .language_version:
      - 2
      - 0
    .max_flat_workgroup_size: 256
    .name:           _ZL26rocblas_hemvn_kernel_lowerILb0ELi64ELi4ELi33ELi32ELi16El19rocblas_complex_numIdEPKPKS1_PS1_EviT6_lT7_lT5_lS8_lS9_lS7_lT8_i
    .private_segment_fixed_size: 0
    .sgpr_count:     78
    .sgpr_spill_count: 0
    .symbol:         _ZL26rocblas_hemvn_kernel_lowerILb0ELi64ELi4ELi33ELi32ELi16El19rocblas_complex_numIdEPKPKS1_PS1_EviT6_lT7_lT5_lS8_lS9_lS7_lT8_i.kd
    .uniform_work_group_size: 1
    .uses_dynamic_stack: false
    .vgpr_count:     249
    .vgpr_spill_count: 0
    .wavefront_size: 32
    .workgroup_processor_mode: 1
  - .args:
      - .offset:         0
        .size:           4
        .value_kind:     by_value
      - .offset:         8
        .size:           16
        .value_kind:     by_value
      - .offset:         24
        .size:           8
        .value_kind:     by_value
      - .address_space:  global
        .offset:         32
        .size:           8
        .value_kind:     global_buffer
      - .offset:         40
        .size:           8
        .value_kind:     by_value
      - .offset:         48
        .size:           4
        .value_kind:     by_value
      - .offset:         56
        .size:           8
        .value_kind:     by_value
      - .address_space:  global
        .offset:         64
        .size:           8
        .value_kind:     global_buffer
      - .offset:         72
        .size:           8
        .value_kind:     by_value
      - .offset:         80
        .size:           4
        .value_kind:     by_value
      - .offset:         88
        .size:           8
        .value_kind:     by_value
      - .offset:         96
        .size:           16
        .value_kind:     by_value
      - .offset:         112
        .size:           8
        .value_kind:     by_value
      - .address_space:  global
        .offset:         120
        .size:           8
        .value_kind:     global_buffer
      - .offset:         128
        .size:           4
        .value_kind:     by_value
      - .offset:         136
        .size:           4
        .value_kind:     hidden_block_count_x
      - .offset:         140
        .size:           4
        .value_kind:     hidden_block_count_y
      - .offset:         144
        .size:           4
        .value_kind:     hidden_block_count_z
      - .offset:         148
        .size:           2
        .value_kind:     hidden_group_size_x
      - .offset:         150
        .size:           2
        .value_kind:     hidden_group_size_y
      - .offset:         152
        .size:           2
        .value_kind:     hidden_group_size_z
      - .offset:         154
        .size:           2
        .value_kind:     hidden_remainder_x
      - .offset:         156
        .size:           2
        .value_kind:     hidden_remainder_y
      - .offset:         158
        .size:           2
        .value_kind:     hidden_remainder_z
      - .offset:         176
        .size:           8
        .value_kind:     hidden_global_offset_x
      - .offset:         184
        .size:           8
        .value_kind:     hidden_global_offset_y
      - .offset:         192
        .size:           8
        .value_kind:     hidden_global_offset_z
      - .offset:         200
        .size:           2
        .value_kind:     hidden_grid_dims
    .group_segment_fixed_size: 19200
    .kernarg_segment_align: 8
    .kernarg_segment_size: 392
    .language:       OpenCL C
    .language_version:
      - 2
      - 0
    .max_flat_workgroup_size: 256
    .name:           _ZL26rocblas_hemvn_kernel_lowerILb0ELi64ELi4ELi33ELi32ELi16Ei19rocblas_complex_numIdEPKPKS1_PS1_EviT6_lT7_lT5_lS8_lS9_lS7_lT8_i
    .private_segment_fixed_size: 0
    .sgpr_count:     80
    .sgpr_spill_count: 0
    .symbol:         _ZL26rocblas_hemvn_kernel_lowerILb0ELi64ELi4ELi33ELi32ELi16Ei19rocblas_complex_numIdEPKPKS1_PS1_EviT6_lT7_lT5_lS8_lS9_lS7_lT8_i.kd
    .uniform_work_group_size: 1
    .uses_dynamic_stack: false
    .vgpr_count:     250
    .vgpr_spill_count: 0
    .wavefront_size: 32
    .workgroup_processor_mode: 1
amdhsa.target:   amdgcn-amd-amdhsa--gfx1201
amdhsa.version:
  - 1
  - 2
...

	.end_amdgpu_metadata
